;; amdgpu-corpus repo=pytorch/pytorch kind=compiled arch=gfx1250 opt=O3
	.amdgcn_target "amdgcn-amd-amdhsa--gfx1250"
	.amdhsa_code_object_version 6
	.section	.text._ZN2at6native12_GLOBAL__N_130segment_reduce_backward_kernelIdiEEvNS0_13ReductionTypeEPT_PKS4_S7_S7_PKT0_SA_llS4_lllllll,"axG",@progbits,_ZN2at6native12_GLOBAL__N_130segment_reduce_backward_kernelIdiEEvNS0_13ReductionTypeEPT_PKS4_S7_S7_PKT0_SA_llS4_lllllll,comdat
	.globl	_ZN2at6native12_GLOBAL__N_130segment_reduce_backward_kernelIdiEEvNS0_13ReductionTypeEPT_PKS4_S7_S7_PKT0_SA_llS4_lllllll ; -- Begin function _ZN2at6native12_GLOBAL__N_130segment_reduce_backward_kernelIdiEEvNS0_13ReductionTypeEPT_PKS4_S7_S7_PKT0_SA_llS4_lllllll
	.p2align	8
	.type	_ZN2at6native12_GLOBAL__N_130segment_reduce_backward_kernelIdiEEvNS0_13ReductionTypeEPT_PKS4_S7_S7_PKT0_SA_llS4_lllllll,@function
_ZN2at6native12_GLOBAL__N_130segment_reduce_backward_kernelIdiEEvNS0_13ReductionTypeEPT_PKS4_S7_S7_PKT0_SA_llS4_lllllll: ; @_ZN2at6native12_GLOBAL__N_130segment_reduce_backward_kernelIdiEEvNS0_13ReductionTypeEPT_PKS4_S7_S7_PKT0_SA_llS4_lllllll
; %bb.0:
	s_clause 0x2
	s_load_b32 s2, s[0:1], 0x94
	s_load_b512 s[4:19], s[0:1], 0x8
	s_load_b512 s[36:51], s[0:1], 0x48
	s_bfe_u32 s3, ttmp6, 0x4000c
	v_mov_b32_e32 v2, 0
	s_add_co_i32 s3, s3, 1
	s_and_b32 s20, ttmp6, 15
	s_mul_i32 s3, ttmp9, s3
	s_getreg_b32 s21, hwreg(HW_REG_IB_STS2, 6, 4)
	v_mov_b32_e32 v1, v2
	s_add_co_i32 s20, s20, s3
	s_wait_kmcnt 0x0
	s_and_b32 s2, s2, 0xffff
	s_cmp_eq_u32 s21, 0
	s_cselect_b32 s3, ttmp9, s20
	s_delay_alu instid0(SALU_CYCLE_1) | instskip(SKIP_1) | instid1(SALU_CYCLE_1)
	v_mad_nc_u64_u32 v[0:1], s2, s3, v[0:1]
	s_mul_u64 s[2:3], s[38:39], s[16:17]
	s_mul_u64 s[2:3], s[2:3], s[40:41]
	s_delay_alu instid0(VALU_DEP_1) | instid1(SALU_CYCLE_1)
	v_cmp_gt_i64_e32 vcc_lo, s[2:3], v[0:1]
	s_and_saveexec_b32 s2, vcc_lo
	s_cbranch_execz .LBB0_54
; %bb.1:
	v_or_b32_e32 v3, s41, v1
                                        ; implicit-def: $vgpr4_vgpr5
	s_mov_b32 s2, exec_lo
	s_delay_alu instid0(VALU_DEP_1)
	v_cmpx_ne_u64_e32 0, v[2:3]
	s_xor_b32 s3, exec_lo, s2
	s_cbranch_execz .LBB0_3
; %bb.2:
	s_ashr_i32 s20, s41, 31
	s_mov_b32 s31, 0
	s_mov_b32 s21, s20
	v_dual_mov_b32 v7, 0 :: v_dual_ashrrev_i32 v2, 31, v1
	s_add_nc_u64 s[22:23], s[40:41], s[20:21]
	s_delay_alu instid0(SALU_CYCLE_1) | instskip(NEXT) | instid1(VALU_DEP_1)
	s_xor_b64 s[22:23], s[22:23], s[20:21]
	v_mov_b32_e32 v3, v2
	s_cvt_f32_u32 s2, s22
	s_cvt_f32_u32 s21, s23
	s_sub_nc_u64 s[26:27], 0, s[22:23]
	s_delay_alu instid0(VALU_DEP_1) | instskip(NEXT) | instid1(SALU_CYCLE_1)
	v_add_nc_u64_e32 v[4:5], v[0:1], v[2:3]
	s_fmamk_f32 s2, s21, 0x4f800000, s2
	v_mov_b32_e32 v9, v7
	s_delay_alu instid0(SALU_CYCLE_2) | instskip(NEXT) | instid1(VALU_DEP_2)
	v_s_rcp_f32 s2, s2
	v_xor_b32_e32 v6, v4, v2
	s_delay_alu instid0(VALU_DEP_3) | instskip(SKIP_1) | instid1(TRANS32_DEP_1)
	v_dual_mov_b32 v15, v7 :: v_dual_bitop2_b32 v8, v5, v2 bitop3:0x14
	v_xor_b32_e32 v2, s20, v2
	s_mul_f32 s2, s2, 0x5f7ffffc
	s_delay_alu instid0(SALU_CYCLE_3) | instskip(NEXT) | instid1(SALU_CYCLE_3)
	s_mul_f32 s21, s2, 0x2f800000
	s_trunc_f32 s21, s21
	s_delay_alu instid0(SALU_CYCLE_3) | instskip(SKIP_1) | instid1(SALU_CYCLE_2)
	s_fmamk_f32 s2, s21, 0xcf800000, s2
	s_cvt_u32_f32 s25, s21
	s_cvt_u32_f32 s24, s2
	s_delay_alu instid0(SALU_CYCLE_3) | instskip(NEXT) | instid1(SALU_CYCLE_1)
	s_mul_u64 s[28:29], s[26:27], s[24:25]
	s_mul_hi_u32 s35, s24, s29
	s_mul_i32 s34, s24, s29
	s_mul_hi_u32 s30, s24, s28
	s_mul_i32 s21, s25, s28
	s_add_nc_u64 s[34:35], s[30:31], s[34:35]
	s_mul_hi_u32 s2, s25, s28
	s_mul_hi_u32 s33, s25, s29
	s_add_co_u32 s21, s34, s21
	s_add_co_ci_u32 s30, s35, s2
	s_mul_i32 s28, s25, s29
	s_add_co_ci_u32 s29, s33, 0
	s_delay_alu instid0(SALU_CYCLE_1) | instskip(NEXT) | instid1(SALU_CYCLE_1)
	s_add_nc_u64 s[28:29], s[30:31], s[28:29]
	s_add_co_u32 s24, s24, s28
	s_cselect_b32 s2, -1, 0
	s_delay_alu instid0(SALU_CYCLE_1) | instskip(SKIP_1) | instid1(SALU_CYCLE_1)
	s_cmp_lg_u32 s2, 0
	s_add_co_ci_u32 s25, s25, s29
	s_mul_u64 s[26:27], s[26:27], s[24:25]
	s_delay_alu instid0(SALU_CYCLE_1)
	s_mul_hi_u32 s29, s24, s27
	s_mul_i32 s28, s24, s27
	s_mul_hi_u32 s30, s24, s26
	s_mul_i32 s21, s25, s26
	s_add_nc_u64 s[28:29], s[30:31], s[28:29]
	s_mul_hi_u32 s2, s25, s26
	s_mul_hi_u32 s33, s25, s27
	s_add_co_u32 s21, s28, s21
	s_add_co_ci_u32 s30, s29, s2
	s_mul_i32 s26, s25, s27
	s_add_co_ci_u32 s27, s33, 0
	s_delay_alu instid0(SALU_CYCLE_1) | instskip(NEXT) | instid1(SALU_CYCLE_1)
	s_add_nc_u64 s[26:27], s[30:31], s[26:27]
	s_add_co_u32 s2, s24, s26
	s_cselect_b32 s21, -1, 0
	v_mul_hi_u32 v14, v6, s2
	s_cmp_lg_u32 s21, 0
	s_add_co_ci_u32 s30, s25, s27
	s_mov_b64 s[24:25], 0xffffffff
	v_mul_u64_e32 v[10:11], s[30:31], v[6:7]
	s_and_b64 s[24:25], s[2:3], s[24:25]
	v_mul_u64_e32 v[12:13], s[30:31], v[8:9]
	v_mul_u64_e32 v[4:5], s[24:25], v[8:9]
	s_delay_alu instid0(VALU_DEP_3) | instskip(NEXT) | instid1(VALU_DEP_1)
	v_add_nc_u64_e32 v[10:11], v[14:15], v[10:11]
	v_add_co_u32 v3, vcc_lo, v10, v4
	s_delay_alu instid0(VALU_DEP_2) | instskip(SKIP_1) | instid1(VALU_DEP_1)
	v_add_co_ci_u32_e32 v14, vcc_lo, v11, v5, vcc_lo
	v_add_co_ci_u32_e32 v13, vcc_lo, 0, v13, vcc_lo
	v_add_nc_u64_e32 v[4:5], v[14:15], v[12:13]
	s_delay_alu instid0(VALU_DEP_1) | instskip(NEXT) | instid1(VALU_DEP_1)
	v_mul_u64_e32 v[10:11], s[22:23], v[4:5]
	v_sub_nc_u32_e32 v3, v8, v11
	s_delay_alu instid0(VALU_DEP_2) | instskip(NEXT) | instid1(VALU_DEP_1)
	v_sub_co_u32 v6, vcc_lo, v6, v10
	v_sub_co_ci_u32_e64 v10, null, v8, v11, vcc_lo
	s_delay_alu instid0(VALU_DEP_3) | instskip(NEXT) | instid1(VALU_DEP_3)
	v_subrev_co_ci_u32_e64 v3, null, s23, v3, vcc_lo
	v_sub_co_u32 v7, s2, v6, s22
	s_delay_alu instid0(VALU_DEP_1) | instskip(NEXT) | instid1(VALU_DEP_2)
	v_subrev_co_ci_u32_e64 v3, null, 0, v3, s2
	v_cmp_le_u32_e32 vcc_lo, s22, v7
	v_cndmask_b32_e64 v7, 0, -1, vcc_lo
	s_delay_alu instid0(VALU_DEP_3)
	v_cmp_le_u32_e32 vcc_lo, s23, v3
	v_cndmask_b32_e64 v8, 0, -1, vcc_lo
	v_cmp_le_u32_e32 vcc_lo, s22, v6
	v_cndmask_b32_e64 v11, 0, -1, vcc_lo
	;; [unrolled: 2-line block ×3, first 2 shown]
	v_cmp_eq_u32_e32 vcc_lo, s23, v3
	v_cndmask_b32_e32 v3, v8, v7, vcc_lo
	v_cmp_eq_u32_e32 vcc_lo, s23, v10
	v_add_nc_u64_e32 v[6:7], 2, v[4:5]
	v_add_nc_u64_e32 v[8:9], 1, v[4:5]
	v_cndmask_b32_e32 v10, v12, v11, vcc_lo
	v_cmp_ne_u32_e32 vcc_lo, 0, v3
	s_delay_alu instid0(VALU_DEP_2) | instskip(NEXT) | instid1(VALU_DEP_4)
	v_cmp_ne_u32_e64 s2, 0, v10
	v_dual_cndmask_b32 v6, v8, v6 :: v_dual_cndmask_b32 v3, v9, v7
	s_delay_alu instid0(VALU_DEP_1) | instskip(NEXT) | instid1(VALU_DEP_1)
	v_dual_cndmask_b32 v4, v4, v6, s2 :: v_dual_cndmask_b32 v5, v5, v3, s2
	v_dual_mov_b32 v3, v2 :: v_dual_bitop2_b32 v4, v4, v2 bitop3:0x14
	s_delay_alu instid0(VALU_DEP_2) | instskip(NEXT) | instid1(VALU_DEP_1)
	v_xor_b32_e32 v5, v5, v2
	v_sub_nc_u64_e32 v[4:5], v[4:5], v[2:3]
.LBB0_3:
	s_and_not1_saveexec_b32 s2, s3
	s_cbranch_execz .LBB0_5
; %bb.4:
	v_cvt_f32_u32_e32 v2, s40
	s_sub_co_i32 s3, 0, s40
	s_delay_alu instid0(VALU_DEP_1) | instskip(SKIP_1) | instid1(TRANS32_DEP_1)
	v_rcp_iflag_f32_e32 v2, v2
	v_nop
	v_mul_f32_e32 v2, 0x4f7ffffe, v2
	s_delay_alu instid0(VALU_DEP_1) | instskip(NEXT) | instid1(VALU_DEP_1)
	v_cvt_u32_f32_e32 v2, v2
	v_mul_lo_u32 v3, s3, v2
	s_delay_alu instid0(VALU_DEP_1) | instskip(NEXT) | instid1(VALU_DEP_1)
	v_mul_hi_u32 v3, v2, v3
	v_add_nc_u32_e32 v2, v2, v3
	s_delay_alu instid0(VALU_DEP_1) | instskip(NEXT) | instid1(VALU_DEP_1)
	v_mul_hi_u32 v2, v0, v2
	v_mul_lo_u32 v3, v2, s40
	s_delay_alu instid0(VALU_DEP_1) | instskip(NEXT) | instid1(VALU_DEP_1)
	v_dual_add_nc_u32 v4, 1, v2 :: v_dual_sub_nc_u32 v3, v0, v3
	v_subrev_nc_u32_e32 v5, s40, v3
	v_cmp_le_u32_e32 vcc_lo, s40, v3
	s_delay_alu instid0(VALU_DEP_2) | instskip(NEXT) | instid1(VALU_DEP_4)
	v_dual_cndmask_b32 v3, v3, v5, vcc_lo :: v_dual_mov_b32 v5, 0
	v_cndmask_b32_e32 v2, v2, v4, vcc_lo
	s_delay_alu instid0(VALU_DEP_2) | instskip(NEXT) | instid1(VALU_DEP_2)
	v_cmp_le_u32_e32 vcc_lo, s40, v3
	v_add_nc_u32_e32 v4, 1, v2
	s_delay_alu instid0(VALU_DEP_1)
	v_cndmask_b32_e32 v4, v2, v4, vcc_lo
.LBB0_5:
	s_or_b32 exec_lo, exec_lo, s2
	s_delay_alu instid0(VALU_DEP_1) | instskip(SKIP_1) | instid1(VALU_DEP_1)
	v_dual_mov_b32 v6, 0 :: v_dual_bitop2_b32 v7, s17, v5 bitop3:0x54
                                        ; implicit-def: $vgpr2_vgpr3
	s_mov_b32 s2, exec_lo
	v_cmpx_ne_u64_e32 0, v[6:7]
	s_xor_b32 s3, exec_lo, s2
	s_cbranch_execz .LBB0_7
; %bb.6:
	s_ashr_i32 s20, s17, 31
	s_mov_b32 s31, 0
	s_mov_b32 s21, s20
	v_dual_mov_b32 v11, v6 :: v_dual_ashrrev_i32 v2, 31, v5
	s_add_nc_u64 s[22:23], s[16:17], s[20:21]
	v_dual_mov_b32 v19, v6 :: v_dual_mov_b32 v7, v6
	s_xor_b64 s[22:23], s[22:23], s[20:21]
	s_delay_alu instid0(VALU_DEP_2) | instskip(SKIP_3) | instid1(VALU_DEP_1)
	v_mov_b32_e32 v3, v2
	s_cvt_f32_u32 s2, s22
	s_cvt_f32_u32 s21, s23
	s_sub_nc_u64 s[26:27], 0, s[22:23]
	v_add_nc_u64_e32 v[8:9], v[4:5], v[2:3]
	s_delay_alu instid0(SALU_CYCLE_1) | instskip(SKIP_1) | instid1(SALU_CYCLE_2)
	s_fmamk_f32 s2, s21, 0x4f800000, s2
	v_mov_b32_e32 v13, v6
	v_s_rcp_f32 s2, s2
	s_delay_alu instid0(VALU_DEP_2) | instskip(NEXT) | instid1(VALU_DEP_3)
	v_xor_b32_e32 v10, v8, v2
	v_xor_b32_e32 v12, v9, v2
	;; [unrolled: 1-line block ×3, first 2 shown]
	s_delay_alu instid0(TRANS32_DEP_1) | instskip(NEXT) | instid1(SALU_CYCLE_3)
	s_mul_f32 s2, s2, 0x5f7ffffc
	s_mul_f32 s21, s2, 0x2f800000
	s_delay_alu instid0(SALU_CYCLE_3) | instskip(NEXT) | instid1(SALU_CYCLE_3)
	s_trunc_f32 s21, s21
	s_fmamk_f32 s2, s21, 0xcf800000, s2
	s_cvt_u32_f32 s25, s21
	s_delay_alu instid0(SALU_CYCLE_2) | instskip(NEXT) | instid1(SALU_CYCLE_3)
	s_cvt_u32_f32 s24, s2
	s_mul_u64 s[28:29], s[26:27], s[24:25]
	s_delay_alu instid0(SALU_CYCLE_1)
	s_mul_hi_u32 s35, s24, s29
	s_mul_i32 s34, s24, s29
	s_mul_hi_u32 s30, s24, s28
	s_mul_i32 s21, s25, s28
	s_add_nc_u64 s[34:35], s[30:31], s[34:35]
	s_mul_hi_u32 s2, s25, s28
	s_mul_hi_u32 s33, s25, s29
	s_add_co_u32 s21, s34, s21
	s_add_co_ci_u32 s30, s35, s2
	s_mul_i32 s28, s25, s29
	s_add_co_ci_u32 s29, s33, 0
	s_delay_alu instid0(SALU_CYCLE_1) | instskip(NEXT) | instid1(SALU_CYCLE_1)
	s_add_nc_u64 s[28:29], s[30:31], s[28:29]
	s_add_co_u32 s24, s24, s28
	s_cselect_b32 s2, -1, 0
	s_delay_alu instid0(SALU_CYCLE_1) | instskip(SKIP_1) | instid1(SALU_CYCLE_1)
	s_cmp_lg_u32 s2, 0
	s_add_co_ci_u32 s25, s25, s29
	s_mul_u64 s[26:27], s[26:27], s[24:25]
	s_delay_alu instid0(SALU_CYCLE_1)
	s_mul_hi_u32 s29, s24, s27
	s_mul_i32 s28, s24, s27
	s_mul_hi_u32 s30, s24, s26
	s_mul_i32 s21, s25, s26
	s_add_nc_u64 s[28:29], s[30:31], s[28:29]
	s_mul_hi_u32 s2, s25, s26
	s_mul_hi_u32 s33, s25, s27
	s_add_co_u32 s21, s28, s21
	s_add_co_ci_u32 s30, s29, s2
	s_mul_i32 s26, s25, s27
	s_add_co_ci_u32 s27, s33, 0
	s_delay_alu instid0(SALU_CYCLE_1) | instskip(NEXT) | instid1(SALU_CYCLE_1)
	s_add_nc_u64 s[26:27], s[30:31], s[26:27]
	s_add_co_u32 s2, s24, s26
	s_cselect_b32 s21, -1, 0
	v_mul_hi_u32 v18, v10, s2
	s_cmp_lg_u32 s21, 0
	s_add_co_ci_u32 s30, s25, s27
	s_mov_b64 s[24:25], 0xffffffff
	v_mul_u64_e32 v[14:15], s[30:31], v[10:11]
	s_and_b64 s[24:25], s[2:3], s[24:25]
	v_mul_u64_e32 v[16:17], s[30:31], v[12:13]
	v_mul_u64_e32 v[8:9], s[24:25], v[12:13]
	s_delay_alu instid0(VALU_DEP_3) | instskip(NEXT) | instid1(VALU_DEP_1)
	v_add_nc_u64_e32 v[14:15], v[18:19], v[14:15]
	v_add_co_u32 v3, vcc_lo, v14, v8
	s_delay_alu instid0(VALU_DEP_2) | instskip(SKIP_1) | instid1(VALU_DEP_1)
	v_add_co_ci_u32_e32 v6, vcc_lo, v15, v9, vcc_lo
	v_add_co_ci_u32_e32 v17, vcc_lo, 0, v17, vcc_lo
	v_add_nc_u64_e32 v[6:7], v[6:7], v[16:17]
	s_delay_alu instid0(VALU_DEP_1) | instskip(NEXT) | instid1(VALU_DEP_1)
	v_mul_u64_e32 v[8:9], s[22:23], v[6:7]
	v_sub_nc_u32_e32 v3, v12, v9
	s_delay_alu instid0(VALU_DEP_2) | instskip(NEXT) | instid1(VALU_DEP_1)
	v_sub_co_u32 v8, vcc_lo, v10, v8
	v_sub_co_ci_u32_e64 v12, null, v12, v9, vcc_lo
	s_delay_alu instid0(VALU_DEP_3) | instskip(NEXT) | instid1(VALU_DEP_3)
	v_subrev_co_ci_u32_e64 v3, null, s23, v3, vcc_lo
	v_sub_co_u32 v10, s2, v8, s22
	s_delay_alu instid0(VALU_DEP_1) | instskip(NEXT) | instid1(VALU_DEP_2)
	v_subrev_co_ci_u32_e64 v3, null, 0, v3, s2
	v_cmp_le_u32_e32 vcc_lo, s22, v10
	v_cndmask_b32_e64 v9, 0, -1, vcc_lo
	s_delay_alu instid0(VALU_DEP_3)
	v_cmp_le_u32_e32 vcc_lo, s23, v3
	v_cndmask_b32_e64 v10, 0, -1, vcc_lo
	v_cmp_le_u32_e32 vcc_lo, s22, v8
	v_cndmask_b32_e64 v13, 0, -1, vcc_lo
	v_cmp_le_u32_e32 vcc_lo, s23, v12
	v_cndmask_b32_e64 v14, 0, -1, vcc_lo
	v_cmp_eq_u32_e32 vcc_lo, s23, v3
	v_cndmask_b32_e32 v3, v10, v9, vcc_lo
	v_cmp_eq_u32_e32 vcc_lo, s23, v12
	v_add_nc_u64_e32 v[8:9], 2, v[6:7]
	v_add_nc_u64_e32 v[10:11], 1, v[6:7]
	v_cndmask_b32_e32 v12, v14, v13, vcc_lo
	v_cmp_ne_u32_e32 vcc_lo, 0, v3
	s_delay_alu instid0(VALU_DEP_2) | instskip(NEXT) | instid1(VALU_DEP_4)
	v_cmp_ne_u32_e64 s2, 0, v12
	v_dual_cndmask_b32 v8, v10, v8 :: v_dual_cndmask_b32 v3, v11, v9
	s_delay_alu instid0(VALU_DEP_1) | instskip(SKIP_1) | instid1(VALU_DEP_2)
	v_dual_cndmask_b32 v6, v6, v8, s2 :: v_dual_cndmask_b32 v7, v7, v3, s2
	v_mov_b32_e32 v3, v2
	v_xor_b32_e32 v6, v6, v2
	s_delay_alu instid0(VALU_DEP_3) | instskip(NEXT) | instid1(VALU_DEP_1)
	v_xor_b32_e32 v7, v7, v2
	v_sub_nc_u64_e32 v[2:3], v[6:7], v[2:3]
.LBB0_7:
	s_and_not1_saveexec_b32 s2, s3
	s_cbranch_execz .LBB0_9
; %bb.8:
	v_cvt_f32_u32_e32 v2, s16
	s_sub_co_i32 s3, 0, s16
	s_delay_alu instid0(VALU_DEP_1) | instskip(SKIP_1) | instid1(TRANS32_DEP_1)
	v_rcp_iflag_f32_e32 v2, v2
	v_nop
	v_mul_f32_e32 v2, 0x4f7ffffe, v2
	s_delay_alu instid0(VALU_DEP_1) | instskip(NEXT) | instid1(VALU_DEP_1)
	v_cvt_u32_f32_e32 v2, v2
	v_mul_lo_u32 v3, s3, v2
	s_delay_alu instid0(VALU_DEP_1) | instskip(NEXT) | instid1(VALU_DEP_1)
	v_mul_hi_u32 v3, v2, v3
	v_add_nc_u32_e32 v2, v2, v3
	s_delay_alu instid0(VALU_DEP_1) | instskip(NEXT) | instid1(VALU_DEP_1)
	v_mul_hi_u32 v2, v4, v2
	v_mul_lo_u32 v3, v2, s16
	s_delay_alu instid0(VALU_DEP_1) | instskip(NEXT) | instid1(VALU_DEP_1)
	v_sub_nc_u32_e32 v3, v4, v3
	v_subrev_nc_u32_e32 v7, s16, v3
	v_cmp_le_u32_e32 vcc_lo, s16, v3
	s_delay_alu instid0(VALU_DEP_2) | instskip(NEXT) | instid1(VALU_DEP_1)
	v_dual_cndmask_b32 v3, v3, v7 :: v_dual_add_nc_u32 v6, 1, v2
	v_cndmask_b32_e32 v2, v2, v6, vcc_lo
	s_delay_alu instid0(VALU_DEP_2) | instskip(NEXT) | instid1(VALU_DEP_2)
	v_cmp_le_u32_e32 vcc_lo, s16, v3
	v_dual_mov_b32 v3, 0 :: v_dual_add_nc_u32 v6, 1, v2
	s_delay_alu instid0(VALU_DEP_1)
	v_cndmask_b32_e32 v2, v2, v6, vcc_lo
.LBB0_9:
	s_or_b32 exec_lo, exec_lo, s2
	s_delay_alu instid0(VALU_DEP_1) | instskip(NEXT) | instid1(VALU_DEP_1)
	v_mul_u64_e32 v[6:7], s[16:17], v[2:3]
	v_mul_u64_e32 v[8:9], s[18:19], v[6:7]
	v_sub_nc_u64_e32 v[6:7], v[4:5], v[6:7]
	s_delay_alu instid0(VALU_DEP_2) | instskip(NEXT) | instid1(VALU_DEP_1)
	v_lshl_add_u64 v[8:9], v[8:9], 2, s[12:13]
	v_lshl_add_u64 v[8:9], v[6:7], 2, v[8:9]
	global_load_b32 v32, v[8:9], off
	s_wait_loadcnt 0x0
	v_cmp_ne_u32_e32 vcc_lo, 0, v32
	s_and_b32 exec_lo, exec_lo, vcc_lo
	s_cbranch_execz .LBB0_54
; %bb.10:
	s_add_nc_u64 s[2:3], s[16:17], 1
	v_mul_u64_e32 v[4:5], s[40:41], v[4:5]
	s_mul_u64 s[2:3], s[50:51], s[2:3]
	v_mad_nc_u64_u32 v[10:11], v2, s48, v[6:7]
	v_mul_u64_e32 v[8:9], s[2:3], v[2:3]
	s_delay_alu instid0(VALU_DEP_3) | instskip(NEXT) | instid1(VALU_DEP_2)
	v_sub_nc_u64_e32 v[14:15], v[0:1], v[4:5]
	v_lshl_add_u64 v[8:9], v[8:9], 2, s[14:15]
	s_load_b32 s14, s[0:1], 0x0
	s_delay_alu instid0(VALU_DEP_1)
	v_lshl_add_u64 v[8:9], v[6:7], 2, v[8:9]
	v_mad_u32 v6, v3, s48, v11
	global_load_b64 v[8:9], v[8:9], off
	v_mad_u32 v11, v2, s49, v6
	v_mad_nc_u64_u32 v[6:7], v10, s46, v[14:15]
	s_wait_kmcnt 0x0
	s_and_b32 s0, s14, -3
	s_delay_alu instid0(SALU_CYCLE_1) | instskip(NEXT) | instid1(VALU_DEP_1)
	s_cmp_lg_u32 s0, 0
	v_mad_u32 v7, v11, s46, v7
	s_delay_alu instid0(VALU_DEP_1)
	v_mad_u32 v7, v10, s47, v7
	s_cbranch_scc0 .LBB0_25
; %bb.11:
	s_cmp_lt_i32 s14, 3
	s_mov_b32 s0, -1
	s_cbranch_scc1 .LBB0_34
; %bb.12:
	s_cmp_lt_i32 s14, 4
	s_cbranch_scc1 .LBB0_28
; %bb.13:
	s_cmp_eq_u32 s14, 4
	s_cbranch_scc0 .LBB0_27
; %bb.14:
	s_mov_b32 s15, exec_lo
	s_wait_loadcnt 0x0
	v_cmpx_lt_i32_e64 v8, v9
	s_cbranch_execz .LBB0_26
; %bb.15:
	v_lshlrev_b64_e32 v[12:13], 3, v[6:7]
	v_mul_u64_e32 v[20:21], s[44:45], v[2:3]
	v_lshlrev_b64_e32 v[24:25], 3, v[0:1]
	s_lshl_b64 s[0:1], s[42:43], 3
	s_mov_b64 s[2:3], 0
	s_mov_b32 s16, 0
	s_delay_alu instid0(VALU_DEP_3)
	v_add_nc_u64_e32 v[10:11], s[6:7], v[12:13]
	v_add_nc_u64_e32 v[12:13], s[8:9], v[12:13]
	global_load_b64 v[16:17], v[10:11], off
	global_load_b64 v[18:19], v[12:13], off
	s_wait_xcnt 0x0
	v_dual_mov_b32 v12, v8 :: v_dual_ashrrev_i32 v13, 31, v8
	s_delay_alu instid0(VALU_DEP_1) | instskip(NEXT) | instid1(VALU_DEP_1)
	v_lshlrev_b64_e32 v[22:23], 3, v[12:13]
	v_lshl_add_u64 v[22:23], v[20:21], 3, v[22:23]
	v_mad_nc_u64_u32 v[14:15], v20, s42, v[14:15]
	s_delay_alu instid0(VALU_DEP_2) | instskip(NEXT) | instid1(VALU_DEP_2)
	v_mad_nc_u64_u32 v[24:25], s42, v22, v[24:25]
	v_mad_u32 v15, v21, s42, v15
	s_delay_alu instid0(VALU_DEP_2) | instskip(NEXT) | instid1(VALU_DEP_2)
	v_mad_u32 v22, s43, v22, v25
	v_mad_u32 v15, v20, s43, v15
	s_delay_alu instid0(VALU_DEP_2) | instskip(SKIP_3) | instid1(VALU_DEP_1)
	v_mad_u32 v25, s42, v23, v22
	s_wait_loadcnt 0x0
	v_mul_f64_e32 v[16:17], v[16:17], v[18:19]
	v_lshlrev_b64_e32 v[18:19], 3, v[4:5]
	v_sub_nc_u64_e32 v[22:23], v[24:25], v[18:19]
	v_dual_mov_b32 v18, v9 :: v_dual_ashrrev_i32 v19, 31, v9
	s_delay_alu instid0(VALU_DEP_2)
	v_add_nc_u64_e32 v[20:21], s[10:11], v[22:23]
	v_mov_b64_e32 v[22:23], v[12:13]
	s_branch .LBB0_18
.LBB0_16:                               ;   in Loop: Header=BB0_18 Depth=1
	s_or_b32 exec_lo, exec_lo, s18
	global_load_b64 v[28:29], v[10:11], off
	s_wait_loadcnt 0x0
	v_mul_f64_e32 v[26:27], v[26:27], v[28:29]
.LBB0_17:                               ;   in Loop: Header=BB0_18 Depth=1
	s_wait_xcnt 0x0
	s_or_b32 exec_lo, exec_lo, s17
	v_add_nc_u64_e32 v[22:23], 1, v[22:23]
	v_lshl_add_u64 v[24:25], v[24:25], 3, s[4:5]
	s_add_nc_u64 s[2:3], s[2:3], 1
	global_store_b64 v[24:25], v[26:27], off
	v_cmp_ge_i64_e32 vcc_lo, v[22:23], v[18:19]
	s_or_b32 s16, vcc_lo, s16
	s_wait_xcnt 0x0
	s_and_not1_b32 exec_lo, exec_lo, s16
	s_cbranch_execz .LBB0_26
.LBB0_18:                               ; =>This Loop Header: Depth=1
                                        ;     Child Loop BB0_23 Depth 2
	s_delay_alu instid0(VALU_DEP_1) | instskip(SKIP_1) | instid1(VALU_DEP_1)
	v_mad_nc_u64_u32 v[24:25], v22, s42, v[14:15]
	s_mov_b32 s12, exec_lo
	v_mad_u32 v25, v23, s42, v25
	s_delay_alu instid0(VALU_DEP_1) | instskip(NEXT) | instid1(VALU_DEP_1)
	v_mad_u32 v25, v22, s43, v25
	v_lshl_add_u64 v[26:27], v[24:25], 3, s[10:11]
	global_load_b64 v[28:29], v[26:27], off
                                        ; implicit-def: $vgpr26_vgpr27
	s_wait_loadcnt 0x0
	s_wait_xcnt 0x0
	v_cmpx_lg_f64_e32 0, v[28:29]
	s_xor_b32 s12, exec_lo, s12
	s_cbranch_execz .LBB0_20
; %bb.19:                               ;   in Loop: Header=BB0_18 Depth=1
	v_div_scale_f64 v[26:27], null, v[28:29], v[28:29], v[16:17]
	s_delay_alu instid0(VALU_DEP_1) | instskip(SKIP_1) | instid1(TRANS32_DEP_1)
	v_rcp_f64_e32 v[30:31], v[26:27]
	v_nop
	v_fma_f64 v[34:35], -v[26:27], v[30:31], 1.0
	s_delay_alu instid0(VALU_DEP_1) | instskip(NEXT) | instid1(VALU_DEP_1)
	v_fmac_f64_e32 v[30:31], v[30:31], v[34:35]
	v_fma_f64 v[34:35], -v[26:27], v[30:31], 1.0
	s_delay_alu instid0(VALU_DEP_1) | instskip(SKIP_1) | instid1(VALU_DEP_1)
	v_fmac_f64_e32 v[30:31], v[30:31], v[34:35]
	v_div_scale_f64 v[34:35], vcc_lo, v[16:17], v[28:29], v[16:17]
	v_mul_f64_e32 v[36:37], v[34:35], v[30:31]
	s_delay_alu instid0(VALU_DEP_1) | instskip(NEXT) | instid1(VALU_DEP_1)
	v_fma_f64 v[26:27], -v[26:27], v[36:37], v[34:35]
	v_div_fmas_f64 v[26:27], v[26:27], v[30:31], v[36:37]
	s_delay_alu instid0(VALU_DEP_1)
	v_div_fixup_f64 v[26:27], v[26:27], v[28:29], v[16:17]
.LBB0_20:                               ;   in Loop: Header=BB0_18 Depth=1
	s_and_not1_saveexec_b32 s17, s12
	s_cbranch_execz .LBB0_17
; %bb.21:                               ;   in Loop: Header=BB0_18 Depth=1
	v_mov_b64_e32 v[26:27], s[36:37]
	v_mov_b64_e32 v[28:29], v[20:21]
	;; [unrolled: 1-line block ×3, first 2 shown]
	s_mov_b32 s18, 0
	s_mov_b64 s[12:13], s[2:3]
	s_branch .LBB0_23
.LBB0_22:                               ;   in Loop: Header=BB0_23 Depth=2
	s_delay_alu instid0(VALU_DEP_1) | instskip(SKIP_3) | instid1(VALU_DEP_2)
	v_add_nc_u64_e32 v[30:31], 1, v[30:31]
	s_wait_xcnt 0x0
	v_add_nc_u64_e32 v[28:29], s[0:1], v[28:29]
	s_add_nc_u64 s[12:13], s[12:13], -1
	v_cmp_ge_i64_e32 vcc_lo, v[30:31], v[18:19]
	s_or_b32 s18, vcc_lo, s18
	s_delay_alu instid0(SALU_CYCLE_1)
	s_and_not1_b32 exec_lo, exec_lo, s18
	s_cbranch_execz .LBB0_16
.LBB0_23:                               ;   Parent Loop BB0_18 Depth=1
                                        ; =>  This Inner Loop Header: Depth=2
	s_cmp_eq_u64 s[12:13], 0
	s_cbranch_scc1 .LBB0_22
; %bb.24:                               ;   in Loop: Header=BB0_23 Depth=2
	global_load_b64 v[34:35], v[28:29], off
	s_wait_loadcnt 0x0
	v_mul_f64_e32 v[26:27], v[26:27], v[34:35]
	s_branch .LBB0_22
.LBB0_25:
	s_cbranch_execnz .LBB0_41
	s_branch .LBB0_54
.LBB0_26:
	s_or_b32 exec_lo, exec_lo, s15
.LBB0_27:
	s_mov_b32 s0, 0
.LBB0_28:
	s_delay_alu instid0(SALU_CYCLE_1)
	s_and_not1_b32 vcc_lo, exec_lo, s0
	s_cbranch_vccnz .LBB0_33
; %bb.29:
	s_mov_b32 s2, exec_lo
	s_wait_loadcnt 0x0
	v_cmpx_lt_i32_e64 v8, v9
	s_cbranch_execz .LBB0_32
; %bb.30:
	v_lshl_add_u64 v[10:11], v[6:7], 3, s[6:7]
	v_mul_u64_e32 v[14:15], s[44:45], v[2:3]
	v_dual_mov_b32 v12, v8 :: v_dual_ashrrev_i32 v13, 31, v8
	v_lshlrev_b64_e32 v[18:19], 3, v[0:1]
	global_load_b64 v[10:11], v[10:11], off
	s_lshl_b64 s[0:1], s[42:43], 3
	s_mov_b32 s3, 0
	v_lshlrev_b64_e32 v[16:17], 3, v[12:13]
	s_delay_alu instid0(VALU_DEP_1) | instskip(NEXT) | instid1(VALU_DEP_1)
	v_lshl_add_u64 v[14:15], v[14:15], 3, v[16:17]
	v_mad_nc_u64_u32 v[16:17], s42, v14, v[18:19]
	s_delay_alu instid0(VALU_DEP_1) | instskip(NEXT) | instid1(VALU_DEP_1)
	v_mad_u32 v14, s43, v14, v17
	v_mad_u32 v17, s42, v15, v14
	v_lshlrev_b64_e32 v[14:15], 3, v[4:5]
	s_delay_alu instid0(VALU_DEP_1) | instskip(SKIP_1) | instid1(VALU_DEP_2)
	v_sub_nc_u64_e32 v[14:15], v[16:17], v[14:15]
	v_dual_mov_b32 v16, v9 :: v_dual_ashrrev_i32 v17, 31, v9
	v_add_nc_u64_e32 v[14:15], s[4:5], v[14:15]
.LBB0_31:                               ; =>This Inner Loop Header: Depth=1
	v_add_nc_u64_e32 v[12:13], 1, v[12:13]
	s_wait_loadcnt 0x0
	global_store_b64 v[14:15], v[10:11], off
	s_wait_xcnt 0x0
	v_add_nc_u64_e32 v[14:15], s[0:1], v[14:15]
	v_cmp_ge_i64_e32 vcc_lo, v[12:13], v[16:17]
	s_or_b32 s3, vcc_lo, s3
	s_delay_alu instid0(SALU_CYCLE_1)
	s_and_not1_b32 exec_lo, exec_lo, s3
	s_cbranch_execnz .LBB0_31
.LBB0_32:
	s_or_b32 exec_lo, exec_lo, s2
.LBB0_33:
	s_mov_b32 s0, 0
.LBB0_34:
	s_delay_alu instid0(SALU_CYCLE_1)
	s_and_not1_b32 vcc_lo, exec_lo, s0
	s_cbranch_vccnz .LBB0_40
; %bb.35:
	s_cmp_lg_u32 s14, 1
	s_cbranch_scc1 .LBB0_40
; %bb.36:
	s_mov_b32 s2, exec_lo
	s_wait_loadcnt 0x0
	v_cmpx_lt_i32_e64 v8, v9
	s_cbranch_execz .LBB0_39
; %bb.37:
	v_lshl_add_u64 v[10:11], v[6:7], 3, s[6:7]
	v_cvt_f64_i32_e32 v[14:15], v32
	v_mul_u64_e32 v[22:23], s[44:45], v[2:3]
	s_lshl_b64 s[0:1], s[42:43], 3
	s_mov_b32 s3, 0
	global_load_b64 v[12:13], v[10:11], off
	s_wait_loadcnt 0x0
	v_div_scale_f64 v[10:11], null, v[14:15], v[14:15], v[12:13]
	v_div_scale_f64 v[20:21], vcc_lo, v[12:13], v[14:15], v[12:13]
	s_delay_alu instid0(VALU_DEP_2) | instskip(SKIP_1) | instid1(TRANS32_DEP_1)
	v_rcp_f64_e32 v[16:17], v[10:11]
	v_nop
	v_fma_f64 v[18:19], -v[10:11], v[16:17], 1.0
	s_delay_alu instid0(VALU_DEP_1) | instskip(NEXT) | instid1(VALU_DEP_1)
	v_fmac_f64_e32 v[16:17], v[16:17], v[18:19]
	v_fma_f64 v[18:19], -v[10:11], v[16:17], 1.0
	s_delay_alu instid0(VALU_DEP_1) | instskip(NEXT) | instid1(VALU_DEP_1)
	v_fmac_f64_e32 v[16:17], v[16:17], v[18:19]
	v_mul_f64_e32 v[18:19], v[20:21], v[16:17]
	s_delay_alu instid0(VALU_DEP_1) | instskip(SKIP_1) | instid1(VALU_DEP_2)
	v_dual_fma_f64 v[20:21], -v[10:11], v[18:19], v[20:21] :: v_dual_ashrrev_i32 v11, 31, v8
	v_mov_b32_e32 v10, v8
	v_div_fmas_f64 v[16:17], v[20:21], v[16:17], v[18:19]
	v_lshlrev_b64_e32 v[20:21], 3, v[0:1]
	s_delay_alu instid0(VALU_DEP_2) | instskip(SKIP_4) | instid1(VALU_DEP_3)
	v_div_fixup_f64 v[12:13], v[16:17], v[14:15], v[12:13]
	v_ashrrev_i32_e32 v17, 31, v9
	v_lshlrev_b64_e32 v[18:19], 3, v[10:11]
	v_lshlrev_b64_e32 v[14:15], 3, v[4:5]
	v_mov_b32_e32 v16, v9
	v_lshl_add_u64 v[18:19], v[22:23], 3, v[18:19]
	s_delay_alu instid0(VALU_DEP_1) | instskip(NEXT) | instid1(VALU_DEP_1)
	v_mad_nc_u64_u32 v[20:21], s42, v18, v[20:21]
	v_mad_u32 v18, s43, v18, v21
	s_delay_alu instid0(VALU_DEP_1) | instskip(NEXT) | instid1(VALU_DEP_1)
	v_mad_u32 v21, s42, v19, v18
	v_sub_nc_u64_e32 v[14:15], v[20:21], v[14:15]
	s_delay_alu instid0(VALU_DEP_1)
	v_add_nc_u64_e32 v[14:15], s[4:5], v[14:15]
.LBB0_38:                               ; =>This Inner Loop Header: Depth=1
	v_add_nc_u64_e32 v[10:11], 1, v[10:11]
	global_store_b64 v[14:15], v[12:13], off
	s_wait_xcnt 0x0
	v_add_nc_u64_e32 v[14:15], s[0:1], v[14:15]
	v_cmp_ge_i64_e32 vcc_lo, v[10:11], v[16:17]
	s_or_b32 s3, vcc_lo, s3
	s_delay_alu instid0(SALU_CYCLE_1)
	s_and_not1_b32 exec_lo, exec_lo, s3
	s_cbranch_execnz .LBB0_38
.LBB0_39:
	s_or_b32 exec_lo, exec_lo, s2
.LBB0_40:
	s_branch .LBB0_54
.LBB0_41:
	v_mov_b64_e32 v[14:15], 0
	s_wait_loadcnt 0x0
	v_dual_mov_b32 v10, v8 :: v_dual_ashrrev_i32 v11, 31, v8
	v_dual_mov_b32 v12, v9 :: v_dual_ashrrev_i32 v13, 31, v9
	s_mov_b32 s1, exec_lo
	v_cmp_ge_i32_e32 vcc_lo, v8, v9
	s_wait_xcnt 0x0
	v_cmpx_lt_i32_e64 v8, v9
	s_cbranch_execz .LBB0_49
; %bb.42:
	v_mad_nc_u64_u32 v[8:9], v2, s44, v[10:11]
	v_mov_b64_e32 v[18:19], v[10:11]
	s_lshl_b64 s[2:3], s[42:43], 3
	s_delay_alu instid0(VALU_DEP_2) | instskip(NEXT) | instid1(VALU_DEP_3)
	v_mad_u32 v9, v3, s44, v9
	v_mad_nc_u64_u32 v[14:15], s42, v8, v[0:1]
	s_delay_alu instid0(VALU_DEP_2) | instskip(NEXT) | instid1(VALU_DEP_2)
	v_mad_u32 v9, v2, s45, v9
	v_mad_u32 v8, s43, v8, v15
	s_delay_alu instid0(VALU_DEP_1) | instskip(SKIP_1) | instid1(VALU_DEP_1)
	v_mad_u32 v15, s42, v9, v8
	v_lshlrev_b64_e32 v[8:9], 3, v[6:7]
	v_add_nc_u64_e32 v[6:7], s[8:9], v[8:9]
	v_add_nc_u64_e32 v[8:9], s[6:7], v[8:9]
	s_mov_b32 s6, 0
	s_delay_alu instid0(VALU_DEP_4) | instskip(NEXT) | instid1(VALU_DEP_1)
	v_sub_nc_u64_e32 v[14:15], v[14:15], v[4:5]
	v_lshlrev_b64_e32 v[16:17], 3, v[14:15]
	v_mov_b64_e32 v[14:15], 0
	s_branch .LBB0_44
.LBB0_43:                               ;   in Loop: Header=BB0_44 Depth=1
	s_wait_xcnt 0x0
	s_or_b32 exec_lo, exec_lo, s0
	v_add_nc_u64_e32 v[18:19], 1, v[18:19]
	v_add_nc_u64_e32 v[16:17], s[2:3], v[16:17]
	s_delay_alu instid0(VALU_DEP_2) | instskip(SKIP_1) | instid1(SALU_CYCLE_1)
	v_cmp_ge_i64_e64 s0, v[18:19], v[12:13]
	s_or_b32 s6, s0, s6
	s_and_not1_b32 exec_lo, exec_lo, s6
	s_cbranch_execz .LBB0_48
.LBB0_44:                               ; =>This Inner Loop Header: Depth=1
	s_delay_alu instid0(VALU_DEP_2)
	v_add_nc_u64_e32 v[20:21], s[10:11], v[16:17]
	s_mov_b32 s8, exec_lo
	global_load_b64 v[20:21], v[20:21], off
	s_wait_loadcnt 0x0
	v_cmp_u_f64_e64 s7, v[20:21], v[20:21]
	s_wait_xcnt 0x0
	v_cmpx_o_f64_e32 v[20:21], v[20:21]
	s_cbranch_execz .LBB0_46
; %bb.45:                               ;   in Loop: Header=BB0_44 Depth=1
	global_load_b64 v[22:23], v[6:7], off
	s_and_not1_b32 s7, s7, exec_lo
	s_wait_loadcnt 0x0
	v_cmp_eq_f64_e64 s0, v[20:21], v[22:23]
	s_and_b32 s0, s0, exec_lo
	s_delay_alu instid0(SALU_CYCLE_1)
	s_or_b32 s7, s7, s0
.LBB0_46:                               ;   in Loop: Header=BB0_44 Depth=1
	s_wait_xcnt 0x0
	s_or_b32 exec_lo, exec_lo, s8
	s_and_saveexec_b32 s0, s7
	s_cbranch_execz .LBB0_43
; %bb.47:                               ;   in Loop: Header=BB0_44 Depth=1
	global_load_b64 v[20:21], v[8:9], off
	v_add_nc_u64_e32 v[22:23], s[4:5], v[16:17]
	v_add_nc_u64_e32 v[14:15], 1, v[14:15]
	s_wait_loadcnt 0x0
	global_store_b64 v[22:23], v[20:21], off
	s_branch .LBB0_43
.LBB0_48:
	s_or_b32 exec_lo, exec_lo, s6
.LBB0_49:
	s_delay_alu instid0(SALU_CYCLE_1) | instskip(SKIP_2) | instid1(SALU_CYCLE_1)
	s_or_b32 exec_lo, exec_lo, s1
	v_cmp_lt_i64_e64 s0, 1, v[14:15]
	s_xor_b32 s1, vcc_lo, -1
	s_and_b32 s0, s0, s1
	s_delay_alu instid0(SALU_CYCLE_1)
	s_and_b32 exec_lo, exec_lo, s0
	s_cbranch_execz .LBB0_54
; %bb.50:
	v_cvt_f64_u32_e32 v[6:7], v15
	v_mul_u64_e32 v[2:3], s[44:45], v[2:3]
	v_cvt_f64_u32_e32 v[8:9], v14
	v_lshlrev_b64_e32 v[14:15], 3, v[10:11]
	v_lshlrev_b64_e32 v[0:1], 3, v[0:1]
	s_lshl_b64 s[0:1], s[42:43], 3
	s_mov_b32 s2, 0
	v_ldexp_f64 v[6:7], v[6:7], 32
	s_delay_alu instid0(VALU_DEP_3) | instskip(NEXT) | instid1(VALU_DEP_1)
	v_lshl_add_u64 v[2:3], v[2:3], 3, v[14:15]
	v_mad_nc_u64_u32 v[14:15], s42, v2, v[0:1]
	s_delay_alu instid0(VALU_DEP_1) | instskip(NEXT) | instid1(VALU_DEP_1)
	v_mad_u32 v2, s43, v2, v15
	v_mad_u32 v15, s42, v3, v2
	v_lshlrev_b64_e32 v[2:3], 3, v[4:5]
	v_add_f64_e32 v[0:1], v[6:7], v[8:9]
	s_delay_alu instid0(VALU_DEP_2) | instskip(NEXT) | instid1(VALU_DEP_1)
	v_sub_nc_u64_e32 v[2:3], v[14:15], v[2:3]
	v_add_nc_u64_e32 v[2:3], s[4:5], v[2:3]
	s_branch .LBB0_52
.LBB0_51:                               ;   in Loop: Header=BB0_52 Depth=1
	s_wait_xcnt 0x0
	s_or_b32 exec_lo, exec_lo, s3
	v_add_nc_u64_e32 v[10:11], 1, v[10:11]
	v_add_nc_u64_e32 v[2:3], s[0:1], v[2:3]
	s_delay_alu instid0(VALU_DEP_2) | instskip(SKIP_1) | instid1(SALU_CYCLE_1)
	v_cmp_ge_i64_e32 vcc_lo, v[10:11], v[12:13]
	s_or_b32 s2, vcc_lo, s2
	s_and_not1_b32 exec_lo, exec_lo, s2
	s_cbranch_execz .LBB0_54
.LBB0_52:                               ; =>This Inner Loop Header: Depth=1
	global_load_b64 v[4:5], v[2:3], off
	s_mov_b32 s3, exec_lo
	s_wait_loadcnt 0x0
	v_cmpx_lt_f64_e32 0, v[4:5]
	s_cbranch_execz .LBB0_51
; %bb.53:                               ;   in Loop: Header=BB0_52 Depth=1
	v_div_scale_f64 v[6:7], null, v[0:1], v[0:1], v[4:5]
	s_delay_alu instid0(VALU_DEP_1) | instskip(SKIP_1) | instid1(TRANS32_DEP_1)
	v_rcp_f64_e32 v[8:9], v[6:7]
	v_nop
	v_fma_f64 v[14:15], -v[6:7], v[8:9], 1.0
	s_delay_alu instid0(VALU_DEP_1) | instskip(NEXT) | instid1(VALU_DEP_1)
	v_fmac_f64_e32 v[8:9], v[8:9], v[14:15]
	v_fma_f64 v[14:15], -v[6:7], v[8:9], 1.0
	s_delay_alu instid0(VALU_DEP_1) | instskip(SKIP_1) | instid1(VALU_DEP_1)
	v_fmac_f64_e32 v[8:9], v[8:9], v[14:15]
	v_div_scale_f64 v[14:15], vcc_lo, v[4:5], v[0:1], v[4:5]
	v_mul_f64_e32 v[16:17], v[14:15], v[8:9]
	s_delay_alu instid0(VALU_DEP_1) | instskip(NEXT) | instid1(VALU_DEP_1)
	v_fma_f64 v[6:7], -v[6:7], v[16:17], v[14:15]
	v_div_fmas_f64 v[6:7], v[6:7], v[8:9], v[16:17]
	s_delay_alu instid0(VALU_DEP_1)
	v_div_fixup_f64 v[4:5], v[6:7], v[0:1], v[4:5]
	global_store_b64 v[2:3], v[4:5], off
	s_branch .LBB0_51
.LBB0_54:
	s_endpgm
	.section	.rodata,"a",@progbits
	.p2align	6, 0x0
	.amdhsa_kernel _ZN2at6native12_GLOBAL__N_130segment_reduce_backward_kernelIdiEEvNS0_13ReductionTypeEPT_PKS4_S7_S7_PKT0_SA_llS4_lllllll
		.amdhsa_group_segment_fixed_size 0
		.amdhsa_private_segment_fixed_size 0
		.amdhsa_kernarg_size 392
		.amdhsa_user_sgpr_count 2
		.amdhsa_user_sgpr_dispatch_ptr 0
		.amdhsa_user_sgpr_queue_ptr 0
		.amdhsa_user_sgpr_kernarg_segment_ptr 1
		.amdhsa_user_sgpr_dispatch_id 0
		.amdhsa_user_sgpr_kernarg_preload_length 0
		.amdhsa_user_sgpr_kernarg_preload_offset 0
		.amdhsa_user_sgpr_private_segment_size 0
		.amdhsa_wavefront_size32 1
		.amdhsa_uses_dynamic_stack 0
		.amdhsa_enable_private_segment 0
		.amdhsa_system_sgpr_workgroup_id_x 1
		.amdhsa_system_sgpr_workgroup_id_y 0
		.amdhsa_system_sgpr_workgroup_id_z 0
		.amdhsa_system_sgpr_workgroup_info 0
		.amdhsa_system_vgpr_workitem_id 0
		.amdhsa_next_free_vgpr 38
		.amdhsa_next_free_sgpr 52
		.amdhsa_named_barrier_count 0
		.amdhsa_reserve_vcc 1
		.amdhsa_float_round_mode_32 0
		.amdhsa_float_round_mode_16_64 0
		.amdhsa_float_denorm_mode_32 3
		.amdhsa_float_denorm_mode_16_64 3
		.amdhsa_fp16_overflow 0
		.amdhsa_memory_ordered 1
		.amdhsa_forward_progress 1
		.amdhsa_inst_pref_size 29
		.amdhsa_round_robin_scheduling 0
		.amdhsa_exception_fp_ieee_invalid_op 0
		.amdhsa_exception_fp_denorm_src 0
		.amdhsa_exception_fp_ieee_div_zero 0
		.amdhsa_exception_fp_ieee_overflow 0
		.amdhsa_exception_fp_ieee_underflow 0
		.amdhsa_exception_fp_ieee_inexact 0
		.amdhsa_exception_int_div_zero 0
	.end_amdhsa_kernel
	.section	.text._ZN2at6native12_GLOBAL__N_130segment_reduce_backward_kernelIdiEEvNS0_13ReductionTypeEPT_PKS4_S7_S7_PKT0_SA_llS4_lllllll,"axG",@progbits,_ZN2at6native12_GLOBAL__N_130segment_reduce_backward_kernelIdiEEvNS0_13ReductionTypeEPT_PKS4_S7_S7_PKT0_SA_llS4_lllllll,comdat
.Lfunc_end0:
	.size	_ZN2at6native12_GLOBAL__N_130segment_reduce_backward_kernelIdiEEvNS0_13ReductionTypeEPT_PKS4_S7_S7_PKT0_SA_llS4_lllllll, .Lfunc_end0-_ZN2at6native12_GLOBAL__N_130segment_reduce_backward_kernelIdiEEvNS0_13ReductionTypeEPT_PKS4_S7_S7_PKT0_SA_llS4_lllllll
                                        ; -- End function
	.set _ZN2at6native12_GLOBAL__N_130segment_reduce_backward_kernelIdiEEvNS0_13ReductionTypeEPT_PKS4_S7_S7_PKT0_SA_llS4_lllllll.num_vgpr, 38
	.set _ZN2at6native12_GLOBAL__N_130segment_reduce_backward_kernelIdiEEvNS0_13ReductionTypeEPT_PKS4_S7_S7_PKT0_SA_llS4_lllllll.num_agpr, 0
	.set _ZN2at6native12_GLOBAL__N_130segment_reduce_backward_kernelIdiEEvNS0_13ReductionTypeEPT_PKS4_S7_S7_PKT0_SA_llS4_lllllll.numbered_sgpr, 52
	.set _ZN2at6native12_GLOBAL__N_130segment_reduce_backward_kernelIdiEEvNS0_13ReductionTypeEPT_PKS4_S7_S7_PKT0_SA_llS4_lllllll.num_named_barrier, 0
	.set _ZN2at6native12_GLOBAL__N_130segment_reduce_backward_kernelIdiEEvNS0_13ReductionTypeEPT_PKS4_S7_S7_PKT0_SA_llS4_lllllll.private_seg_size, 0
	.set _ZN2at6native12_GLOBAL__N_130segment_reduce_backward_kernelIdiEEvNS0_13ReductionTypeEPT_PKS4_S7_S7_PKT0_SA_llS4_lllllll.uses_vcc, 1
	.set _ZN2at6native12_GLOBAL__N_130segment_reduce_backward_kernelIdiEEvNS0_13ReductionTypeEPT_PKS4_S7_S7_PKT0_SA_llS4_lllllll.uses_flat_scratch, 0
	.set _ZN2at6native12_GLOBAL__N_130segment_reduce_backward_kernelIdiEEvNS0_13ReductionTypeEPT_PKS4_S7_S7_PKT0_SA_llS4_lllllll.has_dyn_sized_stack, 0
	.set _ZN2at6native12_GLOBAL__N_130segment_reduce_backward_kernelIdiEEvNS0_13ReductionTypeEPT_PKS4_S7_S7_PKT0_SA_llS4_lllllll.has_recursion, 0
	.set _ZN2at6native12_GLOBAL__N_130segment_reduce_backward_kernelIdiEEvNS0_13ReductionTypeEPT_PKS4_S7_S7_PKT0_SA_llS4_lllllll.has_indirect_call, 0
	.section	.AMDGPU.csdata,"",@progbits
; Kernel info:
; codeLenInByte = 3596
; TotalNumSgprs: 54
; NumVgprs: 38
; ScratchSize: 0
; MemoryBound: 1
; FloatMode: 240
; IeeeMode: 1
; LDSByteSize: 0 bytes/workgroup (compile time only)
; SGPRBlocks: 0
; VGPRBlocks: 2
; NumSGPRsForWavesPerEU: 54
; NumVGPRsForWavesPerEU: 38
; NamedBarCnt: 0
; Occupancy: 16
; WaveLimiterHint : 0
; COMPUTE_PGM_RSRC2:SCRATCH_EN: 0
; COMPUTE_PGM_RSRC2:USER_SGPR: 2
; COMPUTE_PGM_RSRC2:TRAP_HANDLER: 0
; COMPUTE_PGM_RSRC2:TGID_X_EN: 1
; COMPUTE_PGM_RSRC2:TGID_Y_EN: 0
; COMPUTE_PGM_RSRC2:TGID_Z_EN: 0
; COMPUTE_PGM_RSRC2:TIDIG_COMP_CNT: 0
	.section	.text._ZN2at6native12_GLOBAL__N_130segment_reduce_backward_kernelIfiEEvNS0_13ReductionTypeEPT_PKS4_S7_S7_PKT0_SA_llS4_lllllll,"axG",@progbits,_ZN2at6native12_GLOBAL__N_130segment_reduce_backward_kernelIfiEEvNS0_13ReductionTypeEPT_PKS4_S7_S7_PKT0_SA_llS4_lllllll,comdat
	.globl	_ZN2at6native12_GLOBAL__N_130segment_reduce_backward_kernelIfiEEvNS0_13ReductionTypeEPT_PKS4_S7_S7_PKT0_SA_llS4_lllllll ; -- Begin function _ZN2at6native12_GLOBAL__N_130segment_reduce_backward_kernelIfiEEvNS0_13ReductionTypeEPT_PKS4_S7_S7_PKT0_SA_llS4_lllllll
	.p2align	8
	.type	_ZN2at6native12_GLOBAL__N_130segment_reduce_backward_kernelIfiEEvNS0_13ReductionTypeEPT_PKS4_S7_S7_PKT0_SA_llS4_lllllll,@function
_ZN2at6native12_GLOBAL__N_130segment_reduce_backward_kernelIfiEEvNS0_13ReductionTypeEPT_PKS4_S7_S7_PKT0_SA_llS4_lllllll: ; @_ZN2at6native12_GLOBAL__N_130segment_reduce_backward_kernelIfiEEvNS0_13ReductionTypeEPT_PKS4_S7_S7_PKT0_SA_llS4_lllllll
; %bb.0:
	s_clause 0x2
	s_load_b32 s2, s[0:1], 0x94
	s_load_b512 s[4:19], s[0:1], 0x8
	s_load_b256 s[20:27], s[0:1], 0x50
	s_bfe_u32 s3, ttmp6, 0x4000c
	v_mov_b32_e32 v2, 0
	s_add_co_i32 s3, s3, 1
	s_and_b32 s28, ttmp6, 15
	s_mul_i32 s3, ttmp9, s3
	s_getreg_b32 s29, hwreg(HW_REG_IB_STS2, 6, 4)
	v_mov_b32_e32 v1, v2
	s_add_co_i32 s28, s28, s3
	s_wait_kmcnt 0x0
	s_and_b32 s2, s2, 0xffff
	s_cmp_eq_u32 s29, 0
	s_cselect_b32 s3, ttmp9, s28
	s_delay_alu instid0(SALU_CYCLE_1) | instskip(SKIP_1) | instid1(SALU_CYCLE_1)
	v_mad_nc_u64_u32 v[0:1], s2, s3, v[0:1]
	s_mul_u64 s[2:3], s[20:21], s[16:17]
	s_mul_u64 s[2:3], s[2:3], s[22:23]
	s_delay_alu instid0(VALU_DEP_1) | instid1(SALU_CYCLE_1)
	v_cmp_gt_i64_e32 vcc_lo, s[2:3], v[0:1]
	s_and_saveexec_b32 s2, vcc_lo
	s_cbranch_execz .LBB1_75
; %bb.1:
	v_or_b32_e32 v3, s23, v1
	s_delay_alu instid0(VALU_DEP_1) | instskip(SKIP_1) | instid1(SALU_CYCLE_1)
	v_cmp_ne_u64_e32 vcc_lo, 0, v[2:3]
                                        ; implicit-def: $vgpr2_vgpr3
	s_and_saveexec_b32 s2, vcc_lo
	s_xor_b32 s3, exec_lo, s2
	s_cbranch_execz .LBB1_3
; %bb.2:
	s_ashr_i32 s20, s23, 31
	s_mov_b32 s39, 0
	s_mov_b32 s21, s20
	v_dual_mov_b32 v7, 0 :: v_dual_ashrrev_i32 v2, 31, v1
	s_add_nc_u64 s[28:29], s[22:23], s[20:21]
	s_delay_alu instid0(SALU_CYCLE_1) | instskip(NEXT) | instid1(VALU_DEP_1)
	s_xor_b64 s[28:29], s[28:29], s[20:21]
	v_mov_b32_e32 v3, v2
	s_cvt_f32_u32 s2, s28
	s_cvt_f32_u32 s21, s29
	s_sub_nc_u64 s[34:35], 0, s[28:29]
	s_delay_alu instid0(VALU_DEP_1) | instskip(NEXT) | instid1(SALU_CYCLE_1)
	v_add_nc_u64_e32 v[4:5], v[0:1], v[2:3]
	s_fmamk_f32 s2, s21, 0x4f800000, s2
	v_mov_b32_e32 v9, v7
	s_delay_alu instid0(SALU_CYCLE_2) | instskip(NEXT) | instid1(VALU_DEP_2)
	v_s_rcp_f32 s2, s2
	v_xor_b32_e32 v6, v4, v2
	s_delay_alu instid0(VALU_DEP_3) | instskip(SKIP_1) | instid1(TRANS32_DEP_1)
	v_dual_mov_b32 v15, v7 :: v_dual_bitop2_b32 v8, v5, v2 bitop3:0x14
	v_xor_b32_e32 v2, s20, v2
	s_mul_f32 s2, s2, 0x5f7ffffc
	s_delay_alu instid0(SALU_CYCLE_3) | instskip(NEXT) | instid1(SALU_CYCLE_3)
	s_mul_f32 s21, s2, 0x2f800000
	s_trunc_f32 s21, s21
	s_delay_alu instid0(SALU_CYCLE_3) | instskip(SKIP_1) | instid1(SALU_CYCLE_2)
	s_fmamk_f32 s2, s21, 0xcf800000, s2
	s_cvt_u32_f32 s31, s21
	s_cvt_u32_f32 s30, s2
	s_delay_alu instid0(SALU_CYCLE_3) | instskip(NEXT) | instid1(SALU_CYCLE_1)
	s_mul_u64 s[36:37], s[34:35], s[30:31]
	s_mul_hi_u32 s41, s30, s37
	s_mul_i32 s40, s30, s37
	s_mul_hi_u32 s38, s30, s36
	s_mul_i32 s21, s31, s36
	s_add_nc_u64 s[40:41], s[38:39], s[40:41]
	s_mul_hi_u32 s2, s31, s36
	s_mul_hi_u32 s33, s31, s37
	s_add_co_u32 s21, s40, s21
	s_add_co_ci_u32 s38, s41, s2
	s_mul_i32 s36, s31, s37
	s_add_co_ci_u32 s37, s33, 0
	s_delay_alu instid0(SALU_CYCLE_1) | instskip(NEXT) | instid1(SALU_CYCLE_1)
	s_add_nc_u64 s[36:37], s[38:39], s[36:37]
	s_add_co_u32 s30, s30, s36
	s_cselect_b32 s2, -1, 0
	s_delay_alu instid0(SALU_CYCLE_1) | instskip(SKIP_1) | instid1(SALU_CYCLE_1)
	s_cmp_lg_u32 s2, 0
	s_add_co_ci_u32 s31, s31, s37
	s_mul_u64 s[34:35], s[34:35], s[30:31]
	s_delay_alu instid0(SALU_CYCLE_1)
	s_mul_hi_u32 s37, s30, s35
	s_mul_i32 s36, s30, s35
	s_mul_hi_u32 s38, s30, s34
	s_mul_i32 s21, s31, s34
	s_add_nc_u64 s[36:37], s[38:39], s[36:37]
	s_mul_hi_u32 s2, s31, s34
	s_mul_hi_u32 s33, s31, s35
	s_add_co_u32 s21, s36, s21
	s_add_co_ci_u32 s38, s37, s2
	s_mul_i32 s34, s31, s35
	s_add_co_ci_u32 s35, s33, 0
	s_delay_alu instid0(SALU_CYCLE_1) | instskip(NEXT) | instid1(SALU_CYCLE_1)
	s_add_nc_u64 s[34:35], s[38:39], s[34:35]
	s_add_co_u32 s2, s30, s34
	s_cselect_b32 s21, -1, 0
	v_mul_hi_u32 v14, v6, s2
	s_cmp_lg_u32 s21, 0
	s_add_co_ci_u32 s38, s31, s35
	s_mov_b64 s[30:31], 0xffffffff
	v_mul_u64_e32 v[10:11], s[38:39], v[6:7]
	s_and_b64 s[30:31], s[2:3], s[30:31]
	v_mul_u64_e32 v[12:13], s[38:39], v[8:9]
	v_mul_u64_e32 v[4:5], s[30:31], v[8:9]
	s_delay_alu instid0(VALU_DEP_3) | instskip(NEXT) | instid1(VALU_DEP_1)
	v_add_nc_u64_e32 v[10:11], v[14:15], v[10:11]
	v_add_co_u32 v3, vcc_lo, v10, v4
	s_delay_alu instid0(VALU_DEP_2) | instskip(SKIP_1) | instid1(VALU_DEP_1)
	v_add_co_ci_u32_e32 v14, vcc_lo, v11, v5, vcc_lo
	v_add_co_ci_u32_e32 v13, vcc_lo, 0, v13, vcc_lo
	v_add_nc_u64_e32 v[4:5], v[14:15], v[12:13]
	s_delay_alu instid0(VALU_DEP_1) | instskip(NEXT) | instid1(VALU_DEP_1)
	v_mul_u64_e32 v[10:11], s[28:29], v[4:5]
	v_sub_nc_u32_e32 v3, v8, v11
	s_delay_alu instid0(VALU_DEP_2) | instskip(NEXT) | instid1(VALU_DEP_1)
	v_sub_co_u32 v6, vcc_lo, v6, v10
	v_sub_co_ci_u32_e64 v10, null, v8, v11, vcc_lo
	s_delay_alu instid0(VALU_DEP_3) | instskip(NEXT) | instid1(VALU_DEP_3)
	v_subrev_co_ci_u32_e64 v3, null, s29, v3, vcc_lo
	v_sub_co_u32 v7, s2, v6, s28
	s_delay_alu instid0(VALU_DEP_1) | instskip(NEXT) | instid1(VALU_DEP_2)
	v_subrev_co_ci_u32_e64 v3, null, 0, v3, s2
	v_cmp_le_u32_e32 vcc_lo, s28, v7
	v_cndmask_b32_e64 v7, 0, -1, vcc_lo
	s_delay_alu instid0(VALU_DEP_3)
	v_cmp_le_u32_e32 vcc_lo, s29, v3
	v_cndmask_b32_e64 v8, 0, -1, vcc_lo
	v_cmp_le_u32_e32 vcc_lo, s28, v6
	v_cndmask_b32_e64 v11, 0, -1, vcc_lo
	;; [unrolled: 2-line block ×3, first 2 shown]
	v_cmp_eq_u32_e32 vcc_lo, s29, v3
	v_cndmask_b32_e32 v3, v8, v7, vcc_lo
	v_cmp_eq_u32_e32 vcc_lo, s29, v10
	v_add_nc_u64_e32 v[6:7], 2, v[4:5]
	v_add_nc_u64_e32 v[8:9], 1, v[4:5]
	v_cndmask_b32_e32 v10, v12, v11, vcc_lo
	v_cmp_ne_u32_e32 vcc_lo, 0, v3
	s_delay_alu instid0(VALU_DEP_2) | instskip(NEXT) | instid1(VALU_DEP_4)
	v_cmp_ne_u32_e64 s2, 0, v10
	v_dual_cndmask_b32 v6, v8, v6 :: v_dual_cndmask_b32 v3, v9, v7
	s_delay_alu instid0(VALU_DEP_1) | instskip(NEXT) | instid1(VALU_DEP_1)
	v_dual_cndmask_b32 v4, v4, v6, s2 :: v_dual_cndmask_b32 v5, v5, v3, s2
	v_dual_mov_b32 v3, v2 :: v_dual_bitop2_b32 v4, v4, v2 bitop3:0x14
	s_delay_alu instid0(VALU_DEP_2) | instskip(NEXT) | instid1(VALU_DEP_1)
	v_xor_b32_e32 v5, v5, v2
	v_sub_nc_u64_e32 v[2:3], v[4:5], v[2:3]
.LBB1_3:
	s_and_not1_saveexec_b32 s2, s3
	s_cbranch_execz .LBB1_5
; %bb.4:
	v_cvt_f32_u32_e32 v2, s22
	s_sub_co_i32 s3, 0, s22
	s_delay_alu instid0(VALU_DEP_1) | instskip(SKIP_1) | instid1(TRANS32_DEP_1)
	v_rcp_iflag_f32_e32 v2, v2
	v_nop
	v_mul_f32_e32 v2, 0x4f7ffffe, v2
	s_delay_alu instid0(VALU_DEP_1) | instskip(NEXT) | instid1(VALU_DEP_1)
	v_cvt_u32_f32_e32 v2, v2
	v_mul_lo_u32 v3, s3, v2
	s_delay_alu instid0(VALU_DEP_1) | instskip(NEXT) | instid1(VALU_DEP_1)
	v_mul_hi_u32 v3, v2, v3
	v_add_nc_u32_e32 v2, v2, v3
	s_delay_alu instid0(VALU_DEP_1) | instskip(NEXT) | instid1(VALU_DEP_1)
	v_mul_hi_u32 v2, v0, v2
	v_mul_lo_u32 v3, v2, s22
	s_delay_alu instid0(VALU_DEP_1) | instskip(NEXT) | instid1(VALU_DEP_1)
	v_dual_add_nc_u32 v4, 1, v2 :: v_dual_sub_nc_u32 v3, v0, v3
	v_subrev_nc_u32_e32 v5, s22, v3
	v_cmp_le_u32_e32 vcc_lo, s22, v3
	s_delay_alu instid0(VALU_DEP_2) | instskip(NEXT) | instid1(VALU_DEP_1)
	v_dual_cndmask_b32 v3, v3, v5 :: v_dual_cndmask_b32 v2, v2, v4
	v_cmp_le_u32_e32 vcc_lo, s22, v3
	s_delay_alu instid0(VALU_DEP_2) | instskip(NEXT) | instid1(VALU_DEP_1)
	v_dual_mov_b32 v3, 0 :: v_dual_add_nc_u32 v4, 1, v2
	v_cndmask_b32_e32 v2, v2, v4, vcc_lo
.LBB1_5:
	s_or_b32 exec_lo, exec_lo, s2
	s_delay_alu instid0(VALU_DEP_1) | instskip(SKIP_1) | instid1(VALU_DEP_1)
	v_dual_mov_b32 v6, 0 :: v_dual_bitop2_b32 v7, s17, v3 bitop3:0x54
                                        ; implicit-def: $vgpr4_vgpr5
	s_mov_b32 s2, exec_lo
	v_cmpx_ne_u64_e32 0, v[6:7]
	s_xor_b32 s3, exec_lo, s2
	s_cbranch_execz .LBB1_7
; %bb.6:
	s_ashr_i32 s20, s17, 31
	s_mov_b32 s39, 0
	s_mov_b32 s21, s20
	v_dual_mov_b32 v11, v6 :: v_dual_ashrrev_i32 v4, 31, v3
	s_add_nc_u64 s[28:29], s[16:17], s[20:21]
	v_mov_b32_e32 v13, v6
	s_xor_b64 s[28:29], s[28:29], s[20:21]
	s_delay_alu instid0(VALU_DEP_2)
	v_mov_b32_e32 v5, v4
	s_cvt_f32_u32 s2, s28
	s_cvt_f32_u32 s21, s29
	s_sub_nc_u64 s[34:35], 0, s[28:29]
	v_mov_b32_e32 v19, v6
	v_add_nc_u64_e32 v[8:9], v[2:3], v[4:5]
	s_fmamk_f32 s2, s21, 0x4f800000, s2
	v_mov_b32_e32 v7, v6
	s_delay_alu instid0(SALU_CYCLE_2) | instskip(NEXT) | instid1(VALU_DEP_2)
	v_s_rcp_f32 s2, s2
	v_xor_b32_e32 v10, v8, v4
	s_delay_alu instid0(VALU_DEP_3) | instskip(SKIP_1) | instid1(TRANS32_DEP_1)
	v_xor_b32_e32 v12, v9, v4
	v_xor_b32_e32 v4, s20, v4
	s_mul_f32 s2, s2, 0x5f7ffffc
	s_delay_alu instid0(SALU_CYCLE_3) | instskip(NEXT) | instid1(SALU_CYCLE_3)
	s_mul_f32 s21, s2, 0x2f800000
	s_trunc_f32 s21, s21
	s_delay_alu instid0(SALU_CYCLE_3) | instskip(SKIP_1) | instid1(SALU_CYCLE_2)
	s_fmamk_f32 s2, s21, 0xcf800000, s2
	s_cvt_u32_f32 s31, s21
	s_cvt_u32_f32 s30, s2
	s_delay_alu instid0(SALU_CYCLE_3) | instskip(NEXT) | instid1(SALU_CYCLE_1)
	s_mul_u64 s[36:37], s[34:35], s[30:31]
	s_mul_hi_u32 s41, s30, s37
	s_mul_i32 s40, s30, s37
	s_mul_hi_u32 s38, s30, s36
	s_mul_i32 s21, s31, s36
	s_add_nc_u64 s[40:41], s[38:39], s[40:41]
	s_mul_hi_u32 s2, s31, s36
	s_mul_hi_u32 s33, s31, s37
	s_add_co_u32 s21, s40, s21
	s_add_co_ci_u32 s38, s41, s2
	s_mul_i32 s36, s31, s37
	s_add_co_ci_u32 s37, s33, 0
	s_delay_alu instid0(SALU_CYCLE_1) | instskip(NEXT) | instid1(SALU_CYCLE_1)
	s_add_nc_u64 s[36:37], s[38:39], s[36:37]
	s_add_co_u32 s30, s30, s36
	s_cselect_b32 s2, -1, 0
	s_delay_alu instid0(SALU_CYCLE_1) | instskip(SKIP_1) | instid1(SALU_CYCLE_1)
	s_cmp_lg_u32 s2, 0
	s_add_co_ci_u32 s31, s31, s37
	s_mul_u64 s[34:35], s[34:35], s[30:31]
	s_delay_alu instid0(SALU_CYCLE_1)
	s_mul_hi_u32 s37, s30, s35
	s_mul_i32 s36, s30, s35
	s_mul_hi_u32 s38, s30, s34
	s_mul_i32 s21, s31, s34
	s_add_nc_u64 s[36:37], s[38:39], s[36:37]
	s_mul_hi_u32 s2, s31, s34
	s_mul_hi_u32 s33, s31, s35
	s_add_co_u32 s21, s36, s21
	s_add_co_ci_u32 s38, s37, s2
	s_mul_i32 s34, s31, s35
	s_add_co_ci_u32 s35, s33, 0
	s_delay_alu instid0(SALU_CYCLE_1) | instskip(NEXT) | instid1(SALU_CYCLE_1)
	s_add_nc_u64 s[34:35], s[38:39], s[34:35]
	s_add_co_u32 s2, s30, s34
	s_cselect_b32 s21, -1, 0
	v_mul_hi_u32 v18, v10, s2
	s_cmp_lg_u32 s21, 0
	s_add_co_ci_u32 s38, s31, s35
	s_mov_b64 s[30:31], 0xffffffff
	v_mul_u64_e32 v[14:15], s[38:39], v[10:11]
	s_and_b64 s[30:31], s[2:3], s[30:31]
	v_mul_u64_e32 v[16:17], s[38:39], v[12:13]
	v_mul_u64_e32 v[8:9], s[30:31], v[12:13]
	s_delay_alu instid0(VALU_DEP_3) | instskip(NEXT) | instid1(VALU_DEP_1)
	v_add_nc_u64_e32 v[14:15], v[18:19], v[14:15]
	v_add_co_u32 v5, vcc_lo, v14, v8
	s_delay_alu instid0(VALU_DEP_2) | instskip(SKIP_1) | instid1(VALU_DEP_1)
	v_add_co_ci_u32_e32 v6, vcc_lo, v15, v9, vcc_lo
	v_add_co_ci_u32_e32 v17, vcc_lo, 0, v17, vcc_lo
	v_add_nc_u64_e32 v[6:7], v[6:7], v[16:17]
	s_delay_alu instid0(VALU_DEP_1) | instskip(NEXT) | instid1(VALU_DEP_1)
	v_mul_u64_e32 v[8:9], s[28:29], v[6:7]
	v_sub_nc_u32_e32 v5, v12, v9
	s_delay_alu instid0(VALU_DEP_2) | instskip(NEXT) | instid1(VALU_DEP_1)
	v_sub_co_u32 v8, vcc_lo, v10, v8
	v_sub_co_ci_u32_e64 v12, null, v12, v9, vcc_lo
	s_delay_alu instid0(VALU_DEP_3) | instskip(NEXT) | instid1(VALU_DEP_3)
	v_subrev_co_ci_u32_e64 v5, null, s29, v5, vcc_lo
	v_sub_co_u32 v10, s2, v8, s28
	s_delay_alu instid0(VALU_DEP_1) | instskip(NEXT) | instid1(VALU_DEP_2)
	v_subrev_co_ci_u32_e64 v5, null, 0, v5, s2
	v_cmp_le_u32_e32 vcc_lo, s28, v10
	v_cndmask_b32_e64 v9, 0, -1, vcc_lo
	s_delay_alu instid0(VALU_DEP_3)
	v_cmp_le_u32_e32 vcc_lo, s29, v5
	v_cndmask_b32_e64 v10, 0, -1, vcc_lo
	v_cmp_le_u32_e32 vcc_lo, s28, v8
	v_cndmask_b32_e64 v13, 0, -1, vcc_lo
	;; [unrolled: 2-line block ×3, first 2 shown]
	v_cmp_eq_u32_e32 vcc_lo, s29, v5
	v_cndmask_b32_e32 v5, v10, v9, vcc_lo
	v_cmp_eq_u32_e32 vcc_lo, s29, v12
	v_add_nc_u64_e32 v[8:9], 2, v[6:7]
	v_add_nc_u64_e32 v[10:11], 1, v[6:7]
	v_cndmask_b32_e32 v12, v14, v13, vcc_lo
	v_cmp_ne_u32_e32 vcc_lo, 0, v5
	s_delay_alu instid0(VALU_DEP_2) | instskip(NEXT) | instid1(VALU_DEP_4)
	v_cmp_ne_u32_e64 s2, 0, v12
	v_dual_cndmask_b32 v8, v10, v8 :: v_dual_cndmask_b32 v5, v11, v9
	s_delay_alu instid0(VALU_DEP_1) | instskip(NEXT) | instid1(VALU_DEP_1)
	v_dual_cndmask_b32 v6, v6, v8, s2 :: v_dual_cndmask_b32 v7, v7, v5, s2
	v_dual_mov_b32 v5, v4 :: v_dual_bitop2_b32 v6, v6, v4 bitop3:0x14
	s_delay_alu instid0(VALU_DEP_2) | instskip(NEXT) | instid1(VALU_DEP_1)
	v_xor_b32_e32 v7, v7, v4
	v_sub_nc_u64_e32 v[4:5], v[6:7], v[4:5]
.LBB1_7:
	s_and_not1_saveexec_b32 s2, s3
	s_cbranch_execz .LBB1_9
; %bb.8:
	v_cvt_f32_u32_e32 v4, s16
	s_sub_co_i32 s3, 0, s16
	s_delay_alu instid0(VALU_DEP_1) | instskip(SKIP_1) | instid1(TRANS32_DEP_1)
	v_rcp_iflag_f32_e32 v4, v4
	v_nop
	v_mul_f32_e32 v4, 0x4f7ffffe, v4
	s_delay_alu instid0(VALU_DEP_1) | instskip(NEXT) | instid1(VALU_DEP_1)
	v_cvt_u32_f32_e32 v4, v4
	v_mul_lo_u32 v5, s3, v4
	s_delay_alu instid0(VALU_DEP_1) | instskip(NEXT) | instid1(VALU_DEP_1)
	v_mul_hi_u32 v5, v4, v5
	v_add_nc_u32_e32 v4, v4, v5
	s_delay_alu instid0(VALU_DEP_1) | instskip(NEXT) | instid1(VALU_DEP_1)
	v_mul_hi_u32 v4, v2, v4
	v_mul_lo_u32 v5, v4, s16
	s_delay_alu instid0(VALU_DEP_1) | instskip(NEXT) | instid1(VALU_DEP_1)
	v_dual_add_nc_u32 v6, 1, v4 :: v_dual_sub_nc_u32 v5, v2, v5
	v_subrev_nc_u32_e32 v7, s16, v5
	v_cmp_le_u32_e32 vcc_lo, s16, v5
	s_delay_alu instid0(VALU_DEP_2) | instskip(NEXT) | instid1(VALU_DEP_1)
	v_dual_cndmask_b32 v5, v5, v7 :: v_dual_cndmask_b32 v4, v4, v6
	v_cmp_le_u32_e32 vcc_lo, s16, v5
	s_delay_alu instid0(VALU_DEP_2) | instskip(NEXT) | instid1(VALU_DEP_1)
	v_dual_mov_b32 v5, 0 :: v_dual_add_nc_u32 v6, 1, v4
	v_cndmask_b32_e32 v4, v4, v6, vcc_lo
.LBB1_9:
	s_or_b32 exec_lo, exec_lo, s2
	s_delay_alu instid0(VALU_DEP_1) | instskip(NEXT) | instid1(VALU_DEP_1)
	v_mul_u64_e32 v[6:7], s[16:17], v[4:5]
	v_mul_u64_e32 v[8:9], s[18:19], v[6:7]
	v_sub_nc_u64_e32 v[6:7], v[2:3], v[6:7]
	s_delay_alu instid0(VALU_DEP_2) | instskip(NEXT) | instid1(VALU_DEP_1)
	v_lshl_add_u64 v[8:9], v[8:9], 2, s[12:13]
	v_lshl_add_u64 v[8:9], v[6:7], 2, v[8:9]
	global_load_b32 v30, v[8:9], off
	s_wait_loadcnt 0x0
	v_cmp_ne_u32_e32 vcc_lo, 0, v30
	s_and_b32 exec_lo, exec_lo, vcc_lo
	s_cbranch_execz .LBB1_75
; %bb.10:
	s_load_b256 s[36:43], s[0:1], 0x70
	s_add_nc_u64 s[2:3], s[16:17], 1
	v_mul_u64_e32 v[2:3], s[22:23], v[2:3]
	s_wait_kmcnt 0x0
	s_mul_u64 s[2:3], s[40:41], s[2:3]
	v_mad_nc_u64_u32 v[12:13], v4, s38, v[6:7]
	v_mul_u64_e32 v[8:9], s[2:3], v[4:5]
	s_delay_alu instid0(VALU_DEP_1) | instskip(SKIP_1) | instid1(VALU_DEP_1)
	v_lshl_add_u64 v[8:9], v[8:9], 2, s[14:15]
	s_load_b32 s14, s[0:1], 0x0
	v_lshl_add_u64 v[8:9], v[6:7], 2, v[8:9]
	v_sub_nc_u64_e32 v[6:7], v[0:1], v[2:3]
	global_load_b64 v[10:11], v[8:9], off
	s_wait_xcnt 0x0
	v_mad_u32 v8, v5, s38, v13
	s_wait_kmcnt 0x0
	s_and_b32 s2, s14, -3
	s_delay_alu instid0(VALU_DEP_1) | instskip(SKIP_2) | instid1(VALU_DEP_1)
	v_mad_u32 v13, v4, s39, v8
	v_mad_nc_u64_u32 v[8:9], v12, s36, v[6:7]
	s_cmp_lg_u32 s2, 0
	v_mad_u32 v9, v13, s36, v9
	s_delay_alu instid0(VALU_DEP_1)
	v_mad_u32 v9, v12, s37, v9
	s_cbranch_scc0 .LBB1_25
; %bb.11:
	s_cmp_lt_i32 s14, 3
	s_mov_b32 s2, -1
	s_cbranch_scc1 .LBB1_39
; %bb.12:
	s_cmp_lt_i32 s14, 4
	s_cbranch_scc1 .LBB1_28
; %bb.13:
	s_cmp_eq_u32 s14, 4
	s_cbranch_scc0 .LBB1_27
; %bb.14:
	s_mov_b32 s15, exec_lo
	s_wait_loadcnt 0x0
	v_cmpx_lt_i32_e64 v10, v11
	s_cbranch_execz .LBB1_26
; %bb.15:
	v_lshlrev_b64_e32 v[14:15], 2, v[8:9]
	v_mul_u64_e32 v[18:19], s[26:27], v[4:5]
	v_lshlrev_b64_e32 v[20:21], 2, v[0:1]
	s_load_b32 s16, s[0:1], 0x48
	s_wait_xcnt 0x0
	s_lshl_b64 s[0:1], s[24:25], 2
	s_mov_b64 s[2:3], 0
	s_mov_b32 s17, 0
	v_add_nc_u64_e32 v[12:13], s[6:7], v[14:15]
	v_add_nc_u64_e32 v[14:15], s[8:9], v[14:15]
	global_load_b32 v24, v[12:13], off
	global_load_b32 v25, v[14:15], off
	s_wait_xcnt 0x0
	v_dual_mov_b32 v14, v10 :: v_dual_ashrrev_i32 v15, 31, v10
	s_delay_alu instid0(VALU_DEP_1) | instskip(NEXT) | instid1(VALU_DEP_1)
	v_lshlrev_b64_e32 v[16:17], 2, v[14:15]
	v_lshl_add_u64 v[22:23], v[18:19], 2, v[16:17]
	v_mad_nc_u64_u32 v[16:17], v18, s24, v[6:7]
	s_delay_alu instid0(VALU_DEP_2) | instskip(NEXT) | instid1(VALU_DEP_2)
	v_mad_nc_u64_u32 v[20:21], s24, v22, v[20:21]
	v_mad_u32 v17, v19, s24, v17
	v_ashrrev_i32_e32 v19, 31, v11
	s_delay_alu instid0(VALU_DEP_3) | instskip(NEXT) | instid1(VALU_DEP_3)
	v_mad_u32 v21, s25, v22, v21
	v_mad_u32 v17, v18, s25, v17
	v_mov_b32_e32 v18, v11
	s_delay_alu instid0(VALU_DEP_3) | instskip(SKIP_1) | instid1(VALU_DEP_1)
	v_mad_u32 v21, s24, v23, v21
	v_lshlrev_b64_e32 v[22:23], 2, v[2:3]
	v_sub_nc_u64_e32 v[20:21], v[20:21], v[22:23]
	v_mov_b64_e32 v[22:23], v[14:15]
	s_delay_alu instid0(VALU_DEP_2)
	v_add_nc_u64_e32 v[20:21], s[10:11], v[20:21]
	s_wait_loadcnt 0x0
	v_mul_f32_e32 v31, v24, v25
	s_branch .LBB1_18
.LBB1_16:                               ;   in Loop: Header=BB1_18 Depth=1
	s_or_b32 exec_lo, exec_lo, s19
	global_load_b32 v26, v[12:13], off
	s_wait_loadcnt 0x0
	v_mul_f32_e32 v26, v32, v26
.LBB1_17:                               ;   in Loop: Header=BB1_18 Depth=1
	s_wait_xcnt 0x0
	s_or_b32 exec_lo, exec_lo, s18
	v_add_nc_u64_e32 v[22:23], 1, v[22:23]
	v_lshl_add_u64 v[24:25], v[24:25], 2, s[4:5]
	s_add_nc_u64 s[2:3], s[2:3], 1
	global_store_b32 v[24:25], v26, off
	v_cmp_ge_i64_e32 vcc_lo, v[22:23], v[18:19]
	s_or_b32 s17, vcc_lo, s17
	s_wait_xcnt 0x0
	s_and_not1_b32 exec_lo, exec_lo, s17
	s_cbranch_execz .LBB1_26
.LBB1_18:                               ; =>This Loop Header: Depth=1
                                        ;     Child Loop BB1_23 Depth 2
	s_delay_alu instid0(VALU_DEP_3) | instskip(SKIP_1) | instid1(VALU_DEP_1)
	v_mad_nc_u64_u32 v[24:25], v22, s24, v[16:17]
	s_mov_b32 s12, exec_lo
	v_mad_u32 v25, v23, s24, v25
	s_delay_alu instid0(VALU_DEP_1) | instskip(NEXT) | instid1(VALU_DEP_1)
	v_mad_u32 v25, v22, s25, v25
	v_lshl_add_u64 v[26:27], v[24:25], 2, s[10:11]
	global_load_b32 v27, v[26:27], off
                                        ; implicit-def: $vgpr26
	s_wait_loadcnt 0x0
	s_wait_xcnt 0x0
	v_cmpx_lg_f32_e32 0, v27
	s_xor_b32 s12, exec_lo, s12
	s_cbranch_execz .LBB1_20
; %bb.19:                               ;   in Loop: Header=BB1_18 Depth=1
	v_div_scale_f32 v26, null, v27, v27, v31
	s_delay_alu instid0(VALU_DEP_1) | instskip(SKIP_1) | instid1(TRANS32_DEP_1)
	v_rcp_f32_e32 v28, v26
	v_nop
	v_fma_f32 v29, -v26, v28, 1.0
	s_delay_alu instid0(VALU_DEP_1) | instskip(SKIP_1) | instid1(VALU_DEP_1)
	v_fmac_f32_e32 v28, v29, v28
	v_div_scale_f32 v29, vcc_lo, v31, v27, v31
	v_mul_f32_e32 v32, v29, v28
	s_delay_alu instid0(VALU_DEP_1) | instskip(NEXT) | instid1(VALU_DEP_1)
	v_fma_f32 v33, -v26, v32, v29
	v_fmac_f32_e32 v32, v33, v28
	s_delay_alu instid0(VALU_DEP_1) | instskip(NEXT) | instid1(VALU_DEP_1)
	v_fma_f32 v26, -v26, v32, v29
	v_div_fmas_f32 v26, v26, v28, v32
	s_delay_alu instid0(VALU_DEP_1)
	v_div_fixup_f32 v26, v26, v27, v31
.LBB1_20:                               ;   in Loop: Header=BB1_18 Depth=1
	s_and_not1_saveexec_b32 s18, s12
	s_cbranch_execz .LBB1_17
; %bb.21:                               ;   in Loop: Header=BB1_18 Depth=1
	v_mov_b64_e32 v[26:27], v[20:21]
	v_mov_b64_e32 v[28:29], v[14:15]
	s_wait_kmcnt 0x0
	v_mov_b32_e32 v32, s16
	s_mov_b32 s19, 0
	s_mov_b64 s[12:13], s[2:3]
	s_branch .LBB1_23
.LBB1_22:                               ;   in Loop: Header=BB1_23 Depth=2
	v_add_nc_u64_e32 v[28:29], 1, v[28:29]
	s_wait_xcnt 0x0
	v_add_nc_u64_e32 v[26:27], s[0:1], v[26:27]
	s_add_nc_u64 s[12:13], s[12:13], -1
	s_delay_alu instid0(VALU_DEP_2) | instskip(SKIP_1) | instid1(SALU_CYCLE_1)
	v_cmp_ge_i64_e32 vcc_lo, v[28:29], v[18:19]
	s_or_b32 s19, vcc_lo, s19
	s_and_not1_b32 exec_lo, exec_lo, s19
	s_cbranch_execz .LBB1_16
.LBB1_23:                               ;   Parent Loop BB1_18 Depth=1
                                        ; =>  This Inner Loop Header: Depth=2
	s_cmp_eq_u64 s[12:13], 0
	s_cbranch_scc1 .LBB1_22
; %bb.24:                               ;   in Loop: Header=BB1_23 Depth=2
	global_load_b32 v33, v[26:27], off
	s_wait_loadcnt 0x0
	v_mul_f32_e32 v32, v32, v33
	s_branch .LBB1_22
.LBB1_25:
	s_cbranch_execnz .LBB1_51
	s_branch .LBB1_75
.LBB1_26:
	s_or_b32 exec_lo, exec_lo, s15
.LBB1_27:
	s_mov_b32 s2, 0
.LBB1_28:
	s_delay_alu instid0(SALU_CYCLE_1)
	s_and_not1_b32 vcc_lo, exec_lo, s2
	s_cbranch_vccnz .LBB1_38
; %bb.29:
	s_mov_b32 s2, exec_lo
	s_wait_loadcnt 0x0
	v_cmpx_lt_i32_e64 v10, v11
	s_cbranch_execz .LBB1_37
; %bb.30:
	v_lshl_add_u64 v[12:13], v[8:9], 2, s[6:7]
	v_mul_u64_e32 v[18:19], s[26:27], v[4:5]
	v_dual_mov_b32 v14, v11 :: v_dual_ashrrev_i32 v15, 31, v11
	v_dual_mov_b32 v16, v10 :: v_dual_ashrrev_i32 v17, 31, v10
	global_load_b32 v12, v[12:13], off
	s_cmp_eq_u64 s[24:25], 1
	s_mov_b32 s1, -1
	s_cselect_b32 s0, -1, 0
	v_sub_nc_u64_e32 v[20:21], v[14:15], v[16:17]
	s_delay_alu instid0(VALU_DEP_1)
	v_cmp_lt_u64_e32 vcc_lo, 1, v[20:21]
	s_and_b32 s3, vcc_lo, s0
	s_wait_xcnt 0x0
	s_and_saveexec_b32 s0, s3
	s_cbranch_execz .LBB1_34
; %bb.31:
	v_mul_u64_e32 v[22:23], s[24:25], v[18:19]
	s_wait_loadcnt 0x0
	v_mov_b32_e32 v13, v12
	s_mov_b32 s1, 0
	s_delay_alu instid0(VALU_DEP_2) | instskip(SKIP_1) | instid1(VALU_DEP_2)
	v_lshl_add_u64 v[24:25], v[22:23], 2, s[4:5]
	v_dual_mov_b32 v23, v21 :: v_dual_bitop2_b32 v22, -2, v20 bitop3:0x40
	v_lshl_add_u64 v[24:25], v[6:7], 2, v[24:25]
	s_delay_alu instid0(VALU_DEP_2) | instskip(NEXT) | instid1(VALU_DEP_2)
	v_mov_b64_e32 v[26:27], v[22:23]
	v_lshl_add_u64 v[24:25], v[16:17], 2, v[24:25]
.LBB1_32:                               ; =>This Inner Loop Header: Depth=1
	s_delay_alu instid0(VALU_DEP_2)
	v_add_nc_u64_e32 v[26:27], -2, v[26:27]
	global_store_b64 v[24:25], v[12:13], off
	s_wait_xcnt 0x0
	v_add_nc_u64_e32 v[24:25], 8, v[24:25]
	v_cmp_eq_u64_e32 vcc_lo, 0, v[26:27]
	s_or_b32 s1, vcc_lo, s1
	s_delay_alu instid0(SALU_CYCLE_1)
	s_and_not1_b32 exec_lo, exec_lo, s1
	s_cbranch_execnz .LBB1_32
; %bb.33:
	s_or_b32 exec_lo, exec_lo, s1
	v_cmp_ne_u64_e32 vcc_lo, v[20:21], v[22:23]
	v_add_nc_u64_e32 v[16:17], v[22:23], v[16:17]
	s_or_not1_b32 s1, vcc_lo, exec_lo
.LBB1_34:
	s_or_b32 exec_lo, exec_lo, s0
	s_delay_alu instid0(SALU_CYCLE_1)
	s_and_b32 exec_lo, exec_lo, s1
	s_cbranch_execz .LBB1_37
; %bb.35:
	s_delay_alu instid0(VALU_DEP_1) | instskip(SKIP_3) | instid1(VALU_DEP_2)
	v_lshlrev_b64_e32 v[20:21], 2, v[16:17]
	v_lshlrev_b64_e32 v[22:23], 2, v[0:1]
	s_lshl_b64 s[0:1], s[24:25], 2
	s_mov_b32 s3, 0
	v_lshl_add_u64 v[18:19], v[18:19], 2, v[20:21]
	s_delay_alu instid0(VALU_DEP_1) | instskip(NEXT) | instid1(VALU_DEP_1)
	v_mad_nc_u64_u32 v[20:21], s24, v18, v[22:23]
	v_mad_u32 v13, s25, v18, v21
	s_delay_alu instid0(VALU_DEP_1) | instskip(SKIP_1) | instid1(VALU_DEP_1)
	v_mad_u32 v21, s24, v19, v13
	v_lshlrev_b64_e32 v[18:19], 2, v[2:3]
	v_sub_nc_u64_e32 v[18:19], v[20:21], v[18:19]
	s_delay_alu instid0(VALU_DEP_1)
	v_add_nc_u64_e32 v[18:19], s[4:5], v[18:19]
.LBB1_36:                               ; =>This Inner Loop Header: Depth=1
	v_add_nc_u64_e32 v[16:17], 1, v[16:17]
	s_wait_loadcnt 0x0
	global_store_b32 v[18:19], v12, off
	s_wait_xcnt 0x0
	v_add_nc_u64_e32 v[18:19], s[0:1], v[18:19]
	v_cmp_ge_i64_e32 vcc_lo, v[16:17], v[14:15]
	s_or_b32 s3, vcc_lo, s3
	s_delay_alu instid0(SALU_CYCLE_1)
	s_and_not1_b32 exec_lo, exec_lo, s3
	s_cbranch_execnz .LBB1_36
.LBB1_37:
	s_or_b32 exec_lo, exec_lo, s2
.LBB1_38:
	s_mov_b32 s2, 0
.LBB1_39:
	s_delay_alu instid0(SALU_CYCLE_1)
	s_and_not1_b32 vcc_lo, exec_lo, s2
	s_cbranch_vccnz .LBB1_50
; %bb.40:
	s_cmp_lg_u32 s14, 1
	s_cbranch_scc1 .LBB1_50
; %bb.41:
	s_mov_b32 s2, exec_lo
	s_wait_loadcnt 0x0
	v_cmpx_lt_i32_e64 v10, v11
	s_cbranch_execz .LBB1_49
; %bb.42:
	v_lshl_add_u64 v[12:13], v[8:9], 2, s[6:7]
	v_cvt_f32_i32_e32 v17, v30
	v_mul_u64_e32 v[18:19], s[26:27], v[4:5]
	s_cmp_eq_u64 s[24:25], 1
	s_mov_b32 s1, -1
	global_load_b32 v16, v[12:13], off
	s_wait_xcnt 0x0
	v_dual_ashrrev_i32 v13, 31, v11 :: v_dual_ashrrev_i32 v15, 31, v10
	s_cselect_b32 s0, -1, 0
	s_wait_loadcnt 0x0
	v_div_scale_f32 v22, null, v17, v17, v16
	v_div_scale_f32 v24, vcc_lo, v16, v17, v16
	s_delay_alu instid0(VALU_DEP_2) | instskip(SKIP_1) | instid1(TRANS32_DEP_1)
	v_rcp_f32_e32 v23, v22
	v_nop
	v_fma_f32 v12, -v22, v23, 1.0
	s_delay_alu instid0(VALU_DEP_1) | instskip(NEXT) | instid1(VALU_DEP_1)
	v_dual_fmac_f32 v23, v12, v23 :: v_dual_mov_b32 v12, v11
	v_mul_f32_e32 v25, v24, v23
	s_delay_alu instid0(VALU_DEP_1) | instskip(NEXT) | instid1(VALU_DEP_1)
	v_fma_f32 v20, -v22, v25, v24
	v_dual_mov_b32 v14, v10 :: v_dual_fmac_f32 v25, v20, v23
	s_delay_alu instid0(VALU_DEP_1) | instskip(NEXT) | instid1(VALU_DEP_2)
	v_sub_nc_u64_e32 v[20:21], v[12:13], v[14:15]
	v_fma_f32 v22, -v22, v25, v24
	s_delay_alu instid0(VALU_DEP_1) | instskip(NEXT) | instid1(VALU_DEP_3)
	v_div_fmas_f32 v22, v22, v23, v25
	v_cmp_lt_u64_e32 vcc_lo, 1, v[20:21]
	s_delay_alu instid0(VALU_DEP_2) | instskip(SKIP_1) | instid1(SALU_CYCLE_1)
	v_div_fixup_f32 v16, v22, v17, v16
	s_and_b32 s3, vcc_lo, s0
	s_and_saveexec_b32 s0, s3
	s_cbranch_execz .LBB1_46
; %bb.43:
	v_mul_u64_e32 v[22:23], s[24:25], v[18:19]
	v_mov_b32_e32 v17, v16
	s_mov_b32 s1, 0
	s_delay_alu instid0(VALU_DEP_2) | instskip(SKIP_1) | instid1(VALU_DEP_2)
	v_lshl_add_u64 v[24:25], v[22:23], 2, s[4:5]
	v_dual_mov_b32 v23, v21 :: v_dual_bitop2_b32 v22, -2, v20 bitop3:0x40
	v_lshl_add_u64 v[24:25], v[6:7], 2, v[24:25]
	s_delay_alu instid0(VALU_DEP_2) | instskip(NEXT) | instid1(VALU_DEP_2)
	v_mov_b64_e32 v[26:27], v[22:23]
	v_lshl_add_u64 v[24:25], v[14:15], 2, v[24:25]
.LBB1_44:                               ; =>This Inner Loop Header: Depth=1
	s_delay_alu instid0(VALU_DEP_2)
	v_add_nc_u64_e32 v[26:27], -2, v[26:27]
	global_store_b64 v[24:25], v[16:17], off
	s_wait_xcnt 0x0
	v_add_nc_u64_e32 v[24:25], 8, v[24:25]
	v_cmp_eq_u64_e32 vcc_lo, 0, v[26:27]
	s_or_b32 s1, vcc_lo, s1
	s_delay_alu instid0(SALU_CYCLE_1)
	s_and_not1_b32 exec_lo, exec_lo, s1
	s_cbranch_execnz .LBB1_44
; %bb.45:
	s_or_b32 exec_lo, exec_lo, s1
	v_cmp_ne_u64_e32 vcc_lo, v[20:21], v[22:23]
	v_add_nc_u64_e32 v[14:15], v[22:23], v[14:15]
	s_or_not1_b32 s1, vcc_lo, exec_lo
.LBB1_46:
	s_or_b32 exec_lo, exec_lo, s0
	s_delay_alu instid0(SALU_CYCLE_1)
	s_and_b32 exec_lo, exec_lo, s1
	s_cbranch_execz .LBB1_49
; %bb.47:
	s_delay_alu instid0(VALU_DEP_1) | instskip(SKIP_3) | instid1(VALU_DEP_2)
	v_lshlrev_b64_e32 v[20:21], 2, v[14:15]
	v_lshlrev_b64_e32 v[22:23], 2, v[0:1]
	s_lshl_b64 s[0:1], s[24:25], 2
	s_mov_b32 s3, 0
	v_lshl_add_u64 v[18:19], v[18:19], 2, v[20:21]
	s_delay_alu instid0(VALU_DEP_1) | instskip(NEXT) | instid1(VALU_DEP_1)
	v_mad_nc_u64_u32 v[20:21], s24, v18, v[22:23]
	v_mad_u32 v17, s25, v18, v21
	s_delay_alu instid0(VALU_DEP_1) | instskip(SKIP_1) | instid1(VALU_DEP_1)
	v_mad_u32 v21, s24, v19, v17
	v_lshlrev_b64_e32 v[18:19], 2, v[2:3]
	v_sub_nc_u64_e32 v[18:19], v[20:21], v[18:19]
	s_delay_alu instid0(VALU_DEP_1)
	v_add_nc_u64_e32 v[18:19], s[4:5], v[18:19]
.LBB1_48:                               ; =>This Inner Loop Header: Depth=1
	v_add_nc_u64_e32 v[14:15], 1, v[14:15]
	global_store_b32 v[18:19], v16, off
	s_wait_xcnt 0x0
	v_add_nc_u64_e32 v[18:19], s[0:1], v[18:19]
	v_cmp_ge_i64_e32 vcc_lo, v[14:15], v[12:13]
	s_or_b32 s3, vcc_lo, s3
	s_delay_alu instid0(SALU_CYCLE_1)
	s_and_not1_b32 exec_lo, exec_lo, s3
	s_cbranch_execnz .LBB1_48
.LBB1_49:
	s_or_b32 exec_lo, exec_lo, s2
.LBB1_50:
	s_branch .LBB1_75
.LBB1_51:
	v_mov_b64_e32 v[16:17], 0
	s_wait_loadcnt 0x0
	v_dual_mov_b32 v12, v10 :: v_dual_ashrrev_i32 v13, 31, v10
	v_dual_mov_b32 v14, v11 :: v_dual_ashrrev_i32 v15, 31, v11
	s_mov_b32 s1, exec_lo
	v_cmp_ge_i32_e32 vcc_lo, v10, v11
	v_cmpx_lt_i32_e64 v10, v11
	s_cbranch_execz .LBB1_59
; %bb.52:
	v_mad_nc_u64_u32 v[10:11], v4, s26, v[12:13]
	v_mov_b64_e32 v[20:21], v[12:13]
	s_lshl_b64 s[2:3], s[24:25], 2
	s_delay_alu instid0(VALU_DEP_2) | instskip(NEXT) | instid1(VALU_DEP_3)
	v_mad_u32 v11, v5, s26, v11
	v_mad_nc_u64_u32 v[16:17], s24, v10, v[0:1]
	s_delay_alu instid0(VALU_DEP_2) | instskip(NEXT) | instid1(VALU_DEP_2)
	v_mad_u32 v11, v4, s27, v11
	v_mad_u32 v10, s25, v10, v17
	s_delay_alu instid0(VALU_DEP_1) | instskip(SKIP_1) | instid1(VALU_DEP_1)
	v_mad_u32 v17, s24, v11, v10
	v_lshlrev_b64_e32 v[10:11], 2, v[8:9]
	v_add_nc_u64_e32 v[8:9], s[8:9], v[10:11]
	v_add_nc_u64_e32 v[10:11], s[6:7], v[10:11]
	s_mov_b32 s6, 0
	s_delay_alu instid0(VALU_DEP_4) | instskip(NEXT) | instid1(VALU_DEP_1)
	v_sub_nc_u64_e32 v[16:17], v[16:17], v[2:3]
	v_lshlrev_b64_e32 v[18:19], 2, v[16:17]
	v_mov_b64_e32 v[16:17], 0
	s_branch .LBB1_54
.LBB1_53:                               ;   in Loop: Header=BB1_54 Depth=1
	s_wait_xcnt 0x0
	s_or_b32 exec_lo, exec_lo, s0
	v_add_nc_u64_e32 v[20:21], 1, v[20:21]
	v_add_nc_u64_e32 v[18:19], s[2:3], v[18:19]
	s_delay_alu instid0(VALU_DEP_2) | instskip(SKIP_1) | instid1(SALU_CYCLE_1)
	v_cmp_ge_i64_e64 s0, v[20:21], v[14:15]
	s_or_b32 s6, s0, s6
	s_and_not1_b32 exec_lo, exec_lo, s6
	s_cbranch_execz .LBB1_58
.LBB1_54:                               ; =>This Inner Loop Header: Depth=1
	s_delay_alu instid0(VALU_DEP_2)
	v_add_nc_u64_e32 v[22:23], s[10:11], v[18:19]
	s_mov_b32 s8, exec_lo
	global_load_b32 v22, v[22:23], off
	s_wait_loadcnt 0x0
	v_cmp_u_f32_e64 s7, v22, v22
	s_wait_xcnt 0x0
	v_cmpx_o_f32_e32 v22, v22
	s_cbranch_execz .LBB1_56
; %bb.55:                               ;   in Loop: Header=BB1_54 Depth=1
	global_load_b32 v23, v[8:9], off
	s_and_not1_b32 s7, s7, exec_lo
	s_wait_loadcnt 0x0
	v_cmp_eq_f32_e64 s0, v22, v23
	s_and_b32 s0, s0, exec_lo
	s_delay_alu instid0(SALU_CYCLE_1)
	s_or_b32 s7, s7, s0
.LBB1_56:                               ;   in Loop: Header=BB1_54 Depth=1
	s_wait_xcnt 0x0
	s_or_b32 exec_lo, exec_lo, s8
	s_and_saveexec_b32 s0, s7
	s_cbranch_execz .LBB1_53
; %bb.57:                               ;   in Loop: Header=BB1_54 Depth=1
	global_load_b32 v24, v[10:11], off
	v_add_nc_u64_e32 v[22:23], s[4:5], v[18:19]
	v_add_nc_u64_e32 v[16:17], 1, v[16:17]
	s_wait_loadcnt 0x0
	global_store_b32 v[22:23], v24, off
	s_branch .LBB1_53
.LBB1_58:
	s_or_b32 exec_lo, exec_lo, s6
.LBB1_59:
	s_delay_alu instid0(SALU_CYCLE_1) | instskip(SKIP_2) | instid1(SALU_CYCLE_1)
	s_or_b32 exec_lo, exec_lo, s1
	v_cmp_lt_i64_e64 s0, 1, v[16:17]
	s_xor_b32 s1, vcc_lo, -1
	s_and_b32 s0, s0, s1
	s_delay_alu instid0(SALU_CYCLE_1)
	s_and_b32 exec_lo, exec_lo, s0
	s_cbranch_execz .LBB1_75
; %bb.60:
	v_clz_i32_u32_e32 v8, v17
	v_mul_u64_e32 v[4:5], s[26:27], v[4:5]
	s_mov_b32 s2, exec_lo
	s_delay_alu instid0(VALU_DEP_2) | instskip(NEXT) | instid1(VALU_DEP_1)
	v_min_u32_e32 v10, 32, v8
	v_lshlrev_b64_e32 v[8:9], v10, v[16:17]
	v_sub_nc_u32_e32 v10, 32, v10
	s_delay_alu instid0(VALU_DEP_2) | instskip(NEXT) | instid1(VALU_DEP_1)
	v_min_u32_e32 v8, 1, v8
	v_or_b32_e32 v11, v9, v8
	v_sub_nc_u64_e32 v[8:9], v[14:15], v[12:13]
	s_delay_alu instid0(VALU_DEP_2) | instskip(NEXT) | instid1(VALU_DEP_2)
	v_cvt_f32_u32_e32 v11, v11
	v_cmp_gt_u64_e64 s1, 16, v[8:9]
	s_delay_alu instid0(VALU_DEP_2)
	v_ldexp_f32 v20, v11, v10
	v_cmpx_lt_u64_e32 15, v[8:9]
	s_cbranch_execz .LBB1_70
; %bb.61:
	v_add_nc_u64_e32 v[6:7], v[4:5], v[6:7]
	v_not_b32_e32 v11, v13
	v_not_b32_e32 v10, v12
	s_cmp_eq_u64 s[24:25], 1
	s_cselect_b32 s3, -1, 0
	s_delay_alu instid0(VALU_DEP_1) | instskip(NEXT) | instid1(VALU_DEP_4)
	v_add_nc_u64_e32 v[10:11], v[10:11], v[14:15]
	v_add_nc_u64_e32 v[6:7], v[6:7], v[12:13]
	s_delay_alu instid0(VALU_DEP_2) | instskip(NEXT) | instid1(VALU_DEP_2)
	v_cmp_gt_u64_e32 vcc_lo, 2.0, v[10:11]
	v_lshl_add_u64 v[6:7], v[6:7], 2, s[4:5]
	s_delay_alu instid0(VALU_DEP_1) | instskip(NEXT) | instid1(VALU_DEP_1)
	v_lshl_add_u64 v[16:17], v[10:11], 2, v[6:7]
	v_cmp_ge_u64_e64 s0, v[16:17], v[6:7]
	s_and_b32 s0, s0, vcc_lo
	s_delay_alu instid0(SALU_CYCLE_1)
	s_and_b32 s6, s3, s0
	s_mov_b32 s0, -1
	s_and_saveexec_b32 s3, s6
	s_cbranch_execz .LBB1_69
; %bb.62:
	v_lshlrev_b64_e32 v[6:7], 2, v[0:1]
	v_lshlrev_b64_e32 v[10:11], 2, v[2:3]
	s_mov_b32 s6, 0
	s_delay_alu instid0(VALU_DEP_2) | instskip(NEXT) | instid1(VALU_DEP_1)
	v_lshl_add_u64 v[6:7], v[4:5], 2, v[6:7]
	v_lshl_add_u64 v[6:7], v[12:13], 2, v[6:7]
	s_delay_alu instid0(VALU_DEP_1) | instskip(NEXT) | instid1(VALU_DEP_1)
	v_sub_nc_u64_e32 v[6:7], v[6:7], v[10:11]
	v_add_nc_u64_e32 v[10:11], s[4:5], v[6:7]
	v_dual_mov_b32 v7, v9 :: v_dual_bitop2_b32 v6, -2, v8 bitop3:0x40
	s_delay_alu instid0(VALU_DEP_1) | instskip(NEXT) | instid1(VALU_DEP_3)
	v_mov_b64_e32 v[16:17], v[6:7]
	v_add_nc_u64_e32 v[10:11], 4, v[10:11]
	s_branch .LBB1_64
.LBB1_63:                               ;   in Loop: Header=BB1_64 Depth=1
	s_wait_xcnt 0x0
	s_or_b32 exec_lo, exec_lo, s7
	v_add_nc_u64_e32 v[16:17], -2, v[16:17]
	v_add_nc_u64_e32 v[10:11], 8, v[10:11]
	s_delay_alu instid0(VALU_DEP_2) | instskip(SKIP_1) | instid1(SALU_CYCLE_1)
	v_cmp_eq_u64_e32 vcc_lo, 0, v[16:17]
	s_or_b32 s6, vcc_lo, s6
	s_and_not1_b32 exec_lo, exec_lo, s6
	s_cbranch_execz .LBB1_68
.LBB1_64:                               ; =>This Inner Loop Header: Depth=1
	global_load_b64 v[18:19], v[10:11], off offset:-4
	s_mov_b32 s7, exec_lo
	s_wait_loadcnt 0x0
	v_cmp_lt_f32_e64 s0, 0, v19
	s_wait_xcnt 0x0
	v_cmpx_lt_f32_e32 0, v18
	s_cbranch_execz .LBB1_66
; %bb.65:                               ;   in Loop: Header=BB1_64 Depth=1
	v_div_scale_f32 v21, null, v20, v20, v18
	s_delay_alu instid0(VALU_DEP_1) | instskip(SKIP_1) | instid1(TRANS32_DEP_1)
	v_rcp_f32_e32 v22, v21
	v_nop
	v_fma_f32 v23, -v21, v22, 1.0
	s_delay_alu instid0(VALU_DEP_1) | instskip(SKIP_1) | instid1(VALU_DEP_1)
	v_fmac_f32_e32 v22, v23, v22
	v_div_scale_f32 v23, vcc_lo, v18, v20, v18
	v_mul_f32_e32 v24, v23, v22
	s_delay_alu instid0(VALU_DEP_1) | instskip(NEXT) | instid1(VALU_DEP_1)
	v_fma_f32 v25, -v21, v24, v23
	v_fmac_f32_e32 v24, v25, v22
	s_delay_alu instid0(VALU_DEP_1) | instskip(NEXT) | instid1(VALU_DEP_1)
	v_fma_f32 v21, -v21, v24, v23
	v_div_fmas_f32 v21, v21, v22, v24
	s_delay_alu instid0(VALU_DEP_1)
	v_div_fixup_f32 v18, v21, v20, v18
	global_store_b32 v[10:11], v18, off offset:-4
.LBB1_66:                               ;   in Loop: Header=BB1_64 Depth=1
	s_wait_xcnt 0x0
	s_or_b32 exec_lo, exec_lo, s7
	s_and_saveexec_b32 s7, s0
	s_cbranch_execz .LBB1_63
; %bb.67:                               ;   in Loop: Header=BB1_64 Depth=1
	v_div_scale_f32 v18, null, v20, v20, v19
	s_delay_alu instid0(VALU_DEP_1) | instskip(SKIP_1) | instid1(TRANS32_DEP_1)
	v_rcp_f32_e32 v21, v18
	v_nop
	v_fma_f32 v22, -v18, v21, 1.0
	s_delay_alu instid0(VALU_DEP_1) | instskip(SKIP_1) | instid1(VALU_DEP_1)
	v_fmac_f32_e32 v21, v22, v21
	v_div_scale_f32 v22, vcc_lo, v19, v20, v19
	v_mul_f32_e32 v23, v22, v21
	s_delay_alu instid0(VALU_DEP_1) | instskip(NEXT) | instid1(VALU_DEP_1)
	v_fma_f32 v24, -v18, v23, v22
	v_fmac_f32_e32 v23, v24, v21
	s_delay_alu instid0(VALU_DEP_1) | instskip(NEXT) | instid1(VALU_DEP_1)
	v_fma_f32 v18, -v18, v23, v22
	v_div_fmas_f32 v18, v18, v21, v23
	s_delay_alu instid0(VALU_DEP_1)
	v_div_fixup_f32 v18, v18, v20, v19
	global_store_b32 v[10:11], v18, off
	s_branch .LBB1_63
.LBB1_68:
	s_or_b32 exec_lo, exec_lo, s6
	v_cmp_ne_u64_e32 vcc_lo, v[8:9], v[6:7]
	v_add_nc_u64_e32 v[12:13], v[6:7], v[12:13]
	s_or_not1_b32 s0, vcc_lo, exec_lo
.LBB1_69:
	s_or_b32 exec_lo, exec_lo, s3
	s_delay_alu instid0(SALU_CYCLE_1) | instskip(SKIP_1) | instid1(SALU_CYCLE_1)
	s_and_not1_b32 s1, s1, exec_lo
	s_and_b32 s0, s0, exec_lo
	s_or_b32 s1, s1, s0
.LBB1_70:
	s_or_b32 exec_lo, exec_lo, s2
	s_delay_alu instid0(SALU_CYCLE_1)
	s_and_b32 exec_lo, exec_lo, s1
	s_cbranch_execz .LBB1_75
; %bb.71:
	v_lshlrev_b64_e32 v[6:7], 2, v[12:13]
	v_lshlrev_b64_e32 v[0:1], 2, v[0:1]
	v_lshlrev_b64_e32 v[2:3], 2, v[2:3]
	s_lshl_b64 s[0:1], s[24:25], 2
	s_mov_b32 s2, 0
	s_delay_alu instid0(VALU_DEP_3) | instskip(NEXT) | instid1(VALU_DEP_1)
	v_lshl_add_u64 v[4:5], v[4:5], 2, v[6:7]
	v_mad_nc_u64_u32 v[0:1], s24, v4, v[0:1]
	s_delay_alu instid0(VALU_DEP_1) | instskip(NEXT) | instid1(VALU_DEP_1)
	v_mad_u32 v1, s25, v4, v1
	v_mad_u32 v1, s24, v5, v1
	s_delay_alu instid0(VALU_DEP_1) | instskip(NEXT) | instid1(VALU_DEP_1)
	v_sub_nc_u64_e32 v[0:1], v[0:1], v[2:3]
	v_add_nc_u64_e32 v[0:1], s[4:5], v[0:1]
	s_branch .LBB1_73
.LBB1_72:                               ;   in Loop: Header=BB1_73 Depth=1
	s_wait_xcnt 0x0
	s_or_b32 exec_lo, exec_lo, s3
	v_add_nc_u64_e32 v[12:13], 1, v[12:13]
	v_add_nc_u64_e32 v[0:1], s[0:1], v[0:1]
	s_delay_alu instid0(VALU_DEP_2) | instskip(SKIP_1) | instid1(SALU_CYCLE_1)
	v_cmp_ge_i64_e32 vcc_lo, v[12:13], v[14:15]
	s_or_b32 s2, vcc_lo, s2
	s_and_not1_b32 exec_lo, exec_lo, s2
	s_cbranch_execz .LBB1_75
.LBB1_73:                               ; =>This Inner Loop Header: Depth=1
	global_load_b32 v2, v[0:1], off
	s_mov_b32 s3, exec_lo
	s_wait_loadcnt 0x0
	v_cmpx_lt_f32_e32 0, v2
	s_cbranch_execz .LBB1_72
; %bb.74:                               ;   in Loop: Header=BB1_73 Depth=1
	v_div_scale_f32 v3, null, v20, v20, v2
	s_delay_alu instid0(VALU_DEP_1) | instskip(SKIP_1) | instid1(TRANS32_DEP_1)
	v_rcp_f32_e32 v4, v3
	v_nop
	v_fma_f32 v5, -v3, v4, 1.0
	s_delay_alu instid0(VALU_DEP_1) | instskip(SKIP_1) | instid1(VALU_DEP_1)
	v_fmac_f32_e32 v4, v5, v4
	v_div_scale_f32 v5, vcc_lo, v2, v20, v2
	v_mul_f32_e32 v6, v5, v4
	s_delay_alu instid0(VALU_DEP_1) | instskip(NEXT) | instid1(VALU_DEP_1)
	v_fma_f32 v7, -v3, v6, v5
	v_fmac_f32_e32 v6, v7, v4
	s_delay_alu instid0(VALU_DEP_1) | instskip(NEXT) | instid1(VALU_DEP_1)
	v_fma_f32 v3, -v3, v6, v5
	v_div_fmas_f32 v3, v3, v4, v6
	s_delay_alu instid0(VALU_DEP_1)
	v_div_fixup_f32 v2, v3, v20, v2
	global_store_b32 v[0:1], v2, off
	s_branch .LBB1_72
.LBB1_75:
	s_endpgm
	.section	.rodata,"a",@progbits
	.p2align	6, 0x0
	.amdhsa_kernel _ZN2at6native12_GLOBAL__N_130segment_reduce_backward_kernelIfiEEvNS0_13ReductionTypeEPT_PKS4_S7_S7_PKT0_SA_llS4_lllllll
		.amdhsa_group_segment_fixed_size 0
		.amdhsa_private_segment_fixed_size 0
		.amdhsa_kernarg_size 392
		.amdhsa_user_sgpr_count 2
		.amdhsa_user_sgpr_dispatch_ptr 0
		.amdhsa_user_sgpr_queue_ptr 0
		.amdhsa_user_sgpr_kernarg_segment_ptr 1
		.amdhsa_user_sgpr_dispatch_id 0
		.amdhsa_user_sgpr_kernarg_preload_length 0
		.amdhsa_user_sgpr_kernarg_preload_offset 0
		.amdhsa_user_sgpr_private_segment_size 0
		.amdhsa_wavefront_size32 1
		.amdhsa_uses_dynamic_stack 0
		.amdhsa_enable_private_segment 0
		.amdhsa_system_sgpr_workgroup_id_x 1
		.amdhsa_system_sgpr_workgroup_id_y 0
		.amdhsa_system_sgpr_workgroup_id_z 0
		.amdhsa_system_sgpr_workgroup_info 0
		.amdhsa_system_vgpr_workitem_id 0
		.amdhsa_next_free_vgpr 34
		.amdhsa_next_free_sgpr 44
		.amdhsa_named_barrier_count 0
		.amdhsa_reserve_vcc 1
		.amdhsa_float_round_mode_32 0
		.amdhsa_float_round_mode_16_64 0
		.amdhsa_float_denorm_mode_32 3
		.amdhsa_float_denorm_mode_16_64 3
		.amdhsa_fp16_overflow 0
		.amdhsa_memory_ordered 1
		.amdhsa_forward_progress 1
		.amdhsa_inst_pref_size 36
		.amdhsa_round_robin_scheduling 0
		.amdhsa_exception_fp_ieee_invalid_op 0
		.amdhsa_exception_fp_denorm_src 0
		.amdhsa_exception_fp_ieee_div_zero 0
		.amdhsa_exception_fp_ieee_overflow 0
		.amdhsa_exception_fp_ieee_underflow 0
		.amdhsa_exception_fp_ieee_inexact 0
		.amdhsa_exception_int_div_zero 0
	.end_amdhsa_kernel
	.section	.text._ZN2at6native12_GLOBAL__N_130segment_reduce_backward_kernelIfiEEvNS0_13ReductionTypeEPT_PKS4_S7_S7_PKT0_SA_llS4_lllllll,"axG",@progbits,_ZN2at6native12_GLOBAL__N_130segment_reduce_backward_kernelIfiEEvNS0_13ReductionTypeEPT_PKS4_S7_S7_PKT0_SA_llS4_lllllll,comdat
.Lfunc_end1:
	.size	_ZN2at6native12_GLOBAL__N_130segment_reduce_backward_kernelIfiEEvNS0_13ReductionTypeEPT_PKS4_S7_S7_PKT0_SA_llS4_lllllll, .Lfunc_end1-_ZN2at6native12_GLOBAL__N_130segment_reduce_backward_kernelIfiEEvNS0_13ReductionTypeEPT_PKS4_S7_S7_PKT0_SA_llS4_lllllll
                                        ; -- End function
	.set _ZN2at6native12_GLOBAL__N_130segment_reduce_backward_kernelIfiEEvNS0_13ReductionTypeEPT_PKS4_S7_S7_PKT0_SA_llS4_lllllll.num_vgpr, 34
	.set _ZN2at6native12_GLOBAL__N_130segment_reduce_backward_kernelIfiEEvNS0_13ReductionTypeEPT_PKS4_S7_S7_PKT0_SA_llS4_lllllll.num_agpr, 0
	.set _ZN2at6native12_GLOBAL__N_130segment_reduce_backward_kernelIfiEEvNS0_13ReductionTypeEPT_PKS4_S7_S7_PKT0_SA_llS4_lllllll.numbered_sgpr, 44
	.set _ZN2at6native12_GLOBAL__N_130segment_reduce_backward_kernelIfiEEvNS0_13ReductionTypeEPT_PKS4_S7_S7_PKT0_SA_llS4_lllllll.num_named_barrier, 0
	.set _ZN2at6native12_GLOBAL__N_130segment_reduce_backward_kernelIfiEEvNS0_13ReductionTypeEPT_PKS4_S7_S7_PKT0_SA_llS4_lllllll.private_seg_size, 0
	.set _ZN2at6native12_GLOBAL__N_130segment_reduce_backward_kernelIfiEEvNS0_13ReductionTypeEPT_PKS4_S7_S7_PKT0_SA_llS4_lllllll.uses_vcc, 1
	.set _ZN2at6native12_GLOBAL__N_130segment_reduce_backward_kernelIfiEEvNS0_13ReductionTypeEPT_PKS4_S7_S7_PKT0_SA_llS4_lllllll.uses_flat_scratch, 0
	.set _ZN2at6native12_GLOBAL__N_130segment_reduce_backward_kernelIfiEEvNS0_13ReductionTypeEPT_PKS4_S7_S7_PKT0_SA_llS4_lllllll.has_dyn_sized_stack, 0
	.set _ZN2at6native12_GLOBAL__N_130segment_reduce_backward_kernelIfiEEvNS0_13ReductionTypeEPT_PKS4_S7_S7_PKT0_SA_llS4_lllllll.has_recursion, 0
	.set _ZN2at6native12_GLOBAL__N_130segment_reduce_backward_kernelIfiEEvNS0_13ReductionTypeEPT_PKS4_S7_S7_PKT0_SA_llS4_lllllll.has_indirect_call, 0
	.section	.AMDGPU.csdata,"",@progbits
; Kernel info:
; codeLenInByte = 4560
; TotalNumSgprs: 46
; NumVgprs: 34
; ScratchSize: 0
; MemoryBound: 0
; FloatMode: 240
; IeeeMode: 1
; LDSByteSize: 0 bytes/workgroup (compile time only)
; SGPRBlocks: 0
; VGPRBlocks: 2
; NumSGPRsForWavesPerEU: 46
; NumVGPRsForWavesPerEU: 34
; NamedBarCnt: 0
; Occupancy: 16
; WaveLimiterHint : 1
; COMPUTE_PGM_RSRC2:SCRATCH_EN: 0
; COMPUTE_PGM_RSRC2:USER_SGPR: 2
; COMPUTE_PGM_RSRC2:TRAP_HANDLER: 0
; COMPUTE_PGM_RSRC2:TGID_X_EN: 1
; COMPUTE_PGM_RSRC2:TGID_Y_EN: 0
; COMPUTE_PGM_RSRC2:TGID_Z_EN: 0
; COMPUTE_PGM_RSRC2:TIDIG_COMP_CNT: 0
	.section	.text._ZN2at6native12_GLOBAL__N_130segment_reduce_backward_kernelIN3c108BFloat16EiEEvNS0_13ReductionTypeEPT_PKS6_S9_S9_PKT0_SC_llS6_lllllll,"axG",@progbits,_ZN2at6native12_GLOBAL__N_130segment_reduce_backward_kernelIN3c108BFloat16EiEEvNS0_13ReductionTypeEPT_PKS6_S9_S9_PKT0_SC_llS6_lllllll,comdat
	.globl	_ZN2at6native12_GLOBAL__N_130segment_reduce_backward_kernelIN3c108BFloat16EiEEvNS0_13ReductionTypeEPT_PKS6_S9_S9_PKT0_SC_llS6_lllllll ; -- Begin function _ZN2at6native12_GLOBAL__N_130segment_reduce_backward_kernelIN3c108BFloat16EiEEvNS0_13ReductionTypeEPT_PKS6_S9_S9_PKT0_SC_llS6_lllllll
	.p2align	8
	.type	_ZN2at6native12_GLOBAL__N_130segment_reduce_backward_kernelIN3c108BFloat16EiEEvNS0_13ReductionTypeEPT_PKS6_S9_S9_PKT0_SC_llS6_lllllll,@function
_ZN2at6native12_GLOBAL__N_130segment_reduce_backward_kernelIN3c108BFloat16EiEEvNS0_13ReductionTypeEPT_PKS6_S9_S9_PKT0_SC_llS6_lllllll: ; @_ZN2at6native12_GLOBAL__N_130segment_reduce_backward_kernelIN3c108BFloat16EiEEvNS0_13ReductionTypeEPT_PKS6_S9_S9_PKT0_SC_llS6_lllllll
; %bb.0:
	s_clause 0x2
	s_load_b32 s2, s[0:1], 0x94
	s_load_b512 s[8:23], s[0:1], 0x8
	s_load_b256 s[24:31], s[0:1], 0x50
	s_bfe_u32 s3, ttmp6, 0x4000c
	v_mov_b32_e32 v2, 0
	s_add_co_i32 s3, s3, 1
	s_and_b32 s4, ttmp6, 15
	s_mul_i32 s3, ttmp9, s3
	s_getreg_b32 s5, hwreg(HW_REG_IB_STS2, 6, 4)
	v_mov_b32_e32 v1, v2
	s_add_co_i32 s4, s4, s3
	s_wait_kmcnt 0x0
	s_and_b32 s2, s2, 0xffff
	s_cmp_eq_u32 s5, 0
	s_cselect_b32 s3, ttmp9, s4
	s_delay_alu instid0(SALU_CYCLE_1) | instskip(SKIP_1) | instid1(SALU_CYCLE_1)
	v_mad_nc_u64_u32 v[8:9], s2, s3, v[0:1]
	s_mul_u64 s[2:3], s[24:25], s[20:21]
	s_mul_u64 s[2:3], s[2:3], s[26:27]
	s_delay_alu instid0(VALU_DEP_1) | instid1(SALU_CYCLE_1)
	v_cmp_gt_i64_e32 vcc_lo, s[2:3], v[8:9]
	s_and_saveexec_b32 s2, vcc_lo
	s_cbranch_execz .LBB2_79
; %bb.1:
	v_or_b32_e32 v3, s27, v9
	s_delay_alu instid0(VALU_DEP_1) | instskip(SKIP_1) | instid1(SALU_CYCLE_1)
	v_cmp_ne_u64_e32 vcc_lo, 0, v[2:3]
                                        ; implicit-def: $vgpr2_vgpr3
	s_and_saveexec_b32 s2, vcc_lo
	s_xor_b32 s3, exec_lo, s2
	s_cbranch_execz .LBB2_3
; %bb.2:
	s_ashr_i32 s4, s27, 31
	s_mov_b32 s39, 0
	s_mov_b32 s5, s4
	v_dual_mov_b32 v5, 0 :: v_dual_ashrrev_i32 v0, 31, v9
	s_add_nc_u64 s[6:7], s[26:27], s[4:5]
	s_delay_alu instid0(SALU_CYCLE_1) | instskip(NEXT) | instid1(VALU_DEP_1)
	s_xor_b64 s[6:7], s[6:7], s[4:5]
	v_mov_b32_e32 v1, v0
	s_cvt_f32_u32 s2, s6
	s_cvt_f32_u32 s5, s7
	s_sub_nc_u64 s[34:35], 0, s[6:7]
	s_delay_alu instid0(VALU_DEP_1) | instskip(NEXT) | instid1(SALU_CYCLE_1)
	v_add_nc_u64_e32 v[2:3], v[8:9], v[0:1]
	s_fmamk_f32 s2, s5, 0x4f800000, s2
	v_mov_b32_e32 v7, v5
	s_delay_alu instid0(SALU_CYCLE_2) | instskip(NEXT) | instid1(VALU_DEP_2)
	v_s_rcp_f32 s2, s2
	v_xor_b32_e32 v4, v2, v0
	s_delay_alu instid0(VALU_DEP_3) | instskip(NEXT) | instid1(TRANS32_DEP_1)
	v_dual_mov_b32 v15, v5 :: v_dual_bitop2_b32 v6, v3, v0 bitop3:0x14
	s_mul_f32 s2, s2, 0x5f7ffffc
	s_delay_alu instid0(SALU_CYCLE_3) | instskip(NEXT) | instid1(SALU_CYCLE_3)
	s_mul_f32 s5, s2, 0x2f800000
	s_trunc_f32 s5, s5
	s_delay_alu instid0(SALU_CYCLE_3) | instskip(SKIP_1) | instid1(SALU_CYCLE_2)
	s_fmamk_f32 s2, s5, 0xcf800000, s2
	s_cvt_u32_f32 s25, s5
	s_cvt_u32_f32 s24, s2
	s_delay_alu instid0(SALU_CYCLE_3) | instskip(NEXT) | instid1(SALU_CYCLE_1)
	s_mul_u64 s[36:37], s[34:35], s[24:25]
	s_mul_hi_u32 s41, s24, s37
	s_mul_i32 s40, s24, s37
	s_mul_hi_u32 s38, s24, s36
	s_mul_i32 s5, s25, s36
	s_add_nc_u64 s[40:41], s[38:39], s[40:41]
	s_mul_hi_u32 s2, s25, s36
	s_mul_hi_u32 s33, s25, s37
	s_add_co_u32 s5, s40, s5
	s_add_co_ci_u32 s38, s41, s2
	s_mul_i32 s36, s25, s37
	s_add_co_ci_u32 s37, s33, 0
	s_delay_alu instid0(SALU_CYCLE_1) | instskip(NEXT) | instid1(SALU_CYCLE_1)
	s_add_nc_u64 s[36:37], s[38:39], s[36:37]
	s_add_co_u32 s24, s24, s36
	s_cselect_b32 s2, -1, 0
	s_delay_alu instid0(SALU_CYCLE_1) | instskip(SKIP_1) | instid1(SALU_CYCLE_1)
	s_cmp_lg_u32 s2, 0
	s_add_co_ci_u32 s25, s25, s37
	s_mul_u64 s[34:35], s[34:35], s[24:25]
	s_delay_alu instid0(SALU_CYCLE_1)
	s_mul_hi_u32 s37, s24, s35
	s_mul_i32 s36, s24, s35
	s_mul_hi_u32 s38, s24, s34
	s_mul_i32 s5, s25, s34
	s_add_nc_u64 s[36:37], s[38:39], s[36:37]
	s_mul_hi_u32 s2, s25, s34
	s_mul_hi_u32 s33, s25, s35
	s_add_co_u32 s5, s36, s5
	s_add_co_ci_u32 s38, s37, s2
	s_mul_i32 s34, s25, s35
	s_add_co_ci_u32 s35, s33, 0
	s_delay_alu instid0(SALU_CYCLE_1) | instskip(NEXT) | instid1(SALU_CYCLE_1)
	s_add_nc_u64 s[34:35], s[38:39], s[34:35]
	s_add_co_u32 s2, s24, s34
	s_cselect_b32 s5, -1, 0
	v_mul_hi_u32 v14, v4, s2
	s_cmp_lg_u32 s5, 0
	s_add_co_ci_u32 s38, s25, s35
	s_mov_b64 s[24:25], 0xffffffff
	v_mul_u64_e32 v[10:11], s[38:39], v[4:5]
	s_and_b64 s[24:25], s[2:3], s[24:25]
	v_mul_u64_e32 v[12:13], s[38:39], v[6:7]
	v_mul_u64_e32 v[2:3], s[24:25], v[6:7]
	s_delay_alu instid0(VALU_DEP_3) | instskip(NEXT) | instid1(VALU_DEP_1)
	v_add_nc_u64_e32 v[10:11], v[14:15], v[10:11]
	v_add_co_u32 v1, vcc_lo, v10, v2
	s_delay_alu instid0(VALU_DEP_2) | instskip(SKIP_1) | instid1(VALU_DEP_1)
	v_add_co_ci_u32_e32 v14, vcc_lo, v11, v3, vcc_lo
	v_add_co_ci_u32_e32 v13, vcc_lo, 0, v13, vcc_lo
	v_add_nc_u64_e32 v[2:3], v[14:15], v[12:13]
	s_delay_alu instid0(VALU_DEP_1) | instskip(NEXT) | instid1(VALU_DEP_1)
	v_mul_u64_e32 v[10:11], s[6:7], v[2:3]
	v_sub_nc_u32_e32 v1, v6, v11
	s_delay_alu instid0(VALU_DEP_2) | instskip(NEXT) | instid1(VALU_DEP_1)
	v_sub_co_u32 v4, vcc_lo, v4, v10
	v_sub_co_ci_u32_e64 v10, null, v6, v11, vcc_lo
	s_delay_alu instid0(VALU_DEP_3) | instskip(NEXT) | instid1(VALU_DEP_3)
	v_subrev_co_ci_u32_e64 v1, null, s7, v1, vcc_lo
	v_sub_co_u32 v5, s2, v4, s6
	s_delay_alu instid0(VALU_DEP_1) | instskip(NEXT) | instid1(VALU_DEP_2)
	v_subrev_co_ci_u32_e64 v1, null, 0, v1, s2
	v_cmp_le_u32_e32 vcc_lo, s6, v5
	v_cndmask_b32_e64 v5, 0, -1, vcc_lo
	s_delay_alu instid0(VALU_DEP_3)
	v_cmp_le_u32_e32 vcc_lo, s7, v1
	v_cndmask_b32_e64 v6, 0, -1, vcc_lo
	v_cmp_le_u32_e32 vcc_lo, s6, v4
	v_cndmask_b32_e64 v11, 0, -1, vcc_lo
	;; [unrolled: 2-line block ×3, first 2 shown]
	v_cmp_eq_u32_e32 vcc_lo, s7, v1
	v_cndmask_b32_e32 v1, v6, v5, vcc_lo
	v_cmp_eq_u32_e32 vcc_lo, s7, v10
	v_add_nc_u64_e32 v[4:5], 2, v[2:3]
	v_add_nc_u64_e32 v[6:7], 1, v[2:3]
	v_cndmask_b32_e32 v10, v12, v11, vcc_lo
	v_cmp_ne_u32_e32 vcc_lo, 0, v1
	s_delay_alu instid0(VALU_DEP_2) | instskip(NEXT) | instid1(VALU_DEP_4)
	v_cmp_ne_u32_e64 s2, 0, v10
	v_dual_cndmask_b32 v1, v7, v5 :: v_dual_cndmask_b32 v4, v6, v4
	s_delay_alu instid0(VALU_DEP_1) | instskip(NEXT) | instid1(VALU_DEP_1)
	v_dual_cndmask_b32 v3, v3, v1, s2 :: v_dual_bitop2_b32 v0, s4, v0 bitop3:0x14
	v_dual_cndmask_b32 v2, v2, v4, s2 :: v_dual_mov_b32 v1, v0
	s_delay_alu instid0(VALU_DEP_2) | instskip(NEXT) | instid1(VALU_DEP_2)
	v_xor_b32_e32 v3, v3, v0
	v_xor_b32_e32 v2, v2, v0
	s_delay_alu instid0(VALU_DEP_1)
	v_sub_nc_u64_e32 v[2:3], v[2:3], v[0:1]
.LBB2_3:
	s_and_not1_saveexec_b32 s2, s3
	s_cbranch_execz .LBB2_5
; %bb.4:
	v_cvt_f32_u32_e32 v0, s26
	s_sub_co_i32 s3, 0, s26
	s_delay_alu instid0(VALU_DEP_1) | instskip(SKIP_1) | instid1(TRANS32_DEP_1)
	v_rcp_iflag_f32_e32 v0, v0
	v_nop
	v_mul_f32_e32 v0, 0x4f7ffffe, v0
	s_delay_alu instid0(VALU_DEP_1) | instskip(NEXT) | instid1(VALU_DEP_1)
	v_cvt_u32_f32_e32 v0, v0
	v_mul_lo_u32 v1, s3, v0
	s_delay_alu instid0(VALU_DEP_1) | instskip(NEXT) | instid1(VALU_DEP_1)
	v_mul_hi_u32 v1, v0, v1
	v_add_nc_u32_e32 v0, v0, v1
	s_delay_alu instid0(VALU_DEP_1) | instskip(NEXT) | instid1(VALU_DEP_1)
	v_mul_hi_u32 v0, v8, v0
	v_mul_lo_u32 v1, v0, s26
	s_delay_alu instid0(VALU_DEP_1) | instskip(NEXT) | instid1(VALU_DEP_1)
	v_dual_add_nc_u32 v2, 1, v0 :: v_dual_sub_nc_u32 v1, v8, v1
	v_subrev_nc_u32_e32 v3, s26, v1
	v_cmp_le_u32_e32 vcc_lo, s26, v1
	s_delay_alu instid0(VALU_DEP_2) | instskip(NEXT) | instid1(VALU_DEP_4)
	v_dual_cndmask_b32 v1, v1, v3, vcc_lo :: v_dual_mov_b32 v3, 0
	v_cndmask_b32_e32 v0, v0, v2, vcc_lo
	s_delay_alu instid0(VALU_DEP_2) | instskip(NEXT) | instid1(VALU_DEP_2)
	v_cmp_le_u32_e32 vcc_lo, s26, v1
	v_add_nc_u32_e32 v2, 1, v0
	s_delay_alu instid0(VALU_DEP_1)
	v_cndmask_b32_e32 v2, v0, v2, vcc_lo
.LBB2_5:
	s_or_b32 exec_lo, exec_lo, s2
	s_delay_alu instid0(VALU_DEP_1) | instskip(SKIP_1) | instid1(VALU_DEP_1)
	v_dual_mov_b32 v4, 0 :: v_dual_bitop2_b32 v5, s21, v3 bitop3:0x54
                                        ; implicit-def: $vgpr0_vgpr1
	s_mov_b32 s2, exec_lo
	v_cmpx_ne_u64_e32 0, v[4:5]
	s_xor_b32 s3, exec_lo, s2
	s_cbranch_execz .LBB2_7
; %bb.6:
	s_ashr_i32 s4, s21, 31
	s_mov_b32 s39, 0
	s_mov_b32 s5, s4
	v_dual_mov_b32 v11, v4 :: v_dual_ashrrev_i32 v0, 31, v3
	s_add_nc_u64 s[6:7], s[20:21], s[4:5]
	v_dual_mov_b32 v19, v4 :: v_dual_mov_b32 v5, v4
	s_xor_b64 s[6:7], s[6:7], s[4:5]
	s_delay_alu instid0(VALU_DEP_2) | instskip(SKIP_3) | instid1(VALU_DEP_1)
	v_mov_b32_e32 v1, v0
	s_cvt_f32_u32 s2, s6
	s_cvt_f32_u32 s5, s7
	s_sub_nc_u64 s[34:35], 0, s[6:7]
	v_add_nc_u64_e32 v[6:7], v[2:3], v[0:1]
	s_delay_alu instid0(SALU_CYCLE_1) | instskip(SKIP_1) | instid1(SALU_CYCLE_2)
	s_fmamk_f32 s2, s5, 0x4f800000, s2
	v_mov_b32_e32 v13, v4
	v_s_rcp_f32 s2, s2
	s_delay_alu instid0(VALU_DEP_2) | instskip(NEXT) | instid1(VALU_DEP_3)
	v_xor_b32_e32 v10, v6, v0
	v_xor_b32_e32 v12, v7, v0
	;; [unrolled: 1-line block ×3, first 2 shown]
	s_delay_alu instid0(TRANS32_DEP_1) | instskip(NEXT) | instid1(SALU_CYCLE_3)
	s_mul_f32 s2, s2, 0x5f7ffffc
	s_mul_f32 s5, s2, 0x2f800000
	s_delay_alu instid0(SALU_CYCLE_3) | instskip(NEXT) | instid1(SALU_CYCLE_3)
	s_trunc_f32 s5, s5
	s_fmamk_f32 s2, s5, 0xcf800000, s2
	s_cvt_u32_f32 s25, s5
	s_delay_alu instid0(SALU_CYCLE_2) | instskip(NEXT) | instid1(SALU_CYCLE_3)
	s_cvt_u32_f32 s24, s2
	s_mul_u64 s[36:37], s[34:35], s[24:25]
	s_delay_alu instid0(SALU_CYCLE_1)
	s_mul_hi_u32 s41, s24, s37
	s_mul_i32 s40, s24, s37
	s_mul_hi_u32 s38, s24, s36
	s_mul_i32 s5, s25, s36
	s_add_nc_u64 s[40:41], s[38:39], s[40:41]
	s_mul_hi_u32 s2, s25, s36
	s_mul_hi_u32 s33, s25, s37
	s_add_co_u32 s5, s40, s5
	s_add_co_ci_u32 s38, s41, s2
	s_mul_i32 s36, s25, s37
	s_add_co_ci_u32 s37, s33, 0
	s_delay_alu instid0(SALU_CYCLE_1) | instskip(NEXT) | instid1(SALU_CYCLE_1)
	s_add_nc_u64 s[36:37], s[38:39], s[36:37]
	s_add_co_u32 s24, s24, s36
	s_cselect_b32 s2, -1, 0
	s_delay_alu instid0(SALU_CYCLE_1) | instskip(SKIP_1) | instid1(SALU_CYCLE_1)
	s_cmp_lg_u32 s2, 0
	s_add_co_ci_u32 s25, s25, s37
	s_mul_u64 s[34:35], s[34:35], s[24:25]
	s_delay_alu instid0(SALU_CYCLE_1)
	s_mul_hi_u32 s37, s24, s35
	s_mul_i32 s36, s24, s35
	s_mul_hi_u32 s38, s24, s34
	s_mul_i32 s5, s25, s34
	s_add_nc_u64 s[36:37], s[38:39], s[36:37]
	s_mul_hi_u32 s2, s25, s34
	s_mul_hi_u32 s33, s25, s35
	s_add_co_u32 s5, s36, s5
	s_add_co_ci_u32 s38, s37, s2
	s_mul_i32 s34, s25, s35
	s_add_co_ci_u32 s35, s33, 0
	s_delay_alu instid0(SALU_CYCLE_1) | instskip(NEXT) | instid1(SALU_CYCLE_1)
	s_add_nc_u64 s[34:35], s[38:39], s[34:35]
	s_add_co_u32 s2, s24, s34
	s_cselect_b32 s5, -1, 0
	v_mul_hi_u32 v18, v10, s2
	s_cmp_lg_u32 s5, 0
	s_add_co_ci_u32 s38, s25, s35
	s_mov_b64 s[24:25], 0xffffffff
	v_mul_u64_e32 v[14:15], s[38:39], v[10:11]
	s_and_b64 s[24:25], s[2:3], s[24:25]
	v_mul_u64_e32 v[16:17], s[38:39], v[12:13]
	v_mul_u64_e32 v[6:7], s[24:25], v[12:13]
	s_delay_alu instid0(VALU_DEP_3) | instskip(NEXT) | instid1(VALU_DEP_1)
	v_add_nc_u64_e32 v[14:15], v[18:19], v[14:15]
	v_add_co_u32 v1, vcc_lo, v14, v6
	s_delay_alu instid0(VALU_DEP_2) | instskip(SKIP_1) | instid1(VALU_DEP_1)
	v_add_co_ci_u32_e32 v4, vcc_lo, v15, v7, vcc_lo
	v_add_co_ci_u32_e32 v17, vcc_lo, 0, v17, vcc_lo
	v_add_nc_u64_e32 v[4:5], v[4:5], v[16:17]
	s_delay_alu instid0(VALU_DEP_1) | instskip(NEXT) | instid1(VALU_DEP_1)
	v_mul_u64_e32 v[6:7], s[6:7], v[4:5]
	v_sub_nc_u32_e32 v1, v12, v7
	s_delay_alu instid0(VALU_DEP_2) | instskip(NEXT) | instid1(VALU_DEP_1)
	v_sub_co_u32 v6, vcc_lo, v10, v6
	v_sub_co_ci_u32_e64 v12, null, v12, v7, vcc_lo
	s_delay_alu instid0(VALU_DEP_3) | instskip(NEXT) | instid1(VALU_DEP_3)
	v_subrev_co_ci_u32_e64 v1, null, s7, v1, vcc_lo
	v_sub_co_u32 v10, s2, v6, s6
	s_delay_alu instid0(VALU_DEP_1) | instskip(NEXT) | instid1(VALU_DEP_2)
	v_subrev_co_ci_u32_e64 v1, null, 0, v1, s2
	v_cmp_le_u32_e32 vcc_lo, s6, v10
	v_cndmask_b32_e64 v7, 0, -1, vcc_lo
	s_delay_alu instid0(VALU_DEP_3)
	v_cmp_le_u32_e32 vcc_lo, s7, v1
	v_cndmask_b32_e64 v10, 0, -1, vcc_lo
	v_cmp_le_u32_e32 vcc_lo, s6, v6
	v_cndmask_b32_e64 v13, 0, -1, vcc_lo
	;; [unrolled: 2-line block ×3, first 2 shown]
	v_cmp_eq_u32_e32 vcc_lo, s7, v1
	v_cndmask_b32_e32 v1, v10, v7, vcc_lo
	v_cmp_eq_u32_e32 vcc_lo, s7, v12
	v_add_nc_u64_e32 v[6:7], 2, v[4:5]
	v_add_nc_u64_e32 v[10:11], 1, v[4:5]
	v_cndmask_b32_e32 v12, v14, v13, vcc_lo
	v_cmp_ne_u32_e32 vcc_lo, 0, v1
	s_delay_alu instid0(VALU_DEP_2) | instskip(NEXT) | instid1(VALU_DEP_4)
	v_cmp_ne_u32_e64 s2, 0, v12
	v_dual_cndmask_b32 v1, v11, v7 :: v_dual_cndmask_b32 v6, v10, v6
	s_delay_alu instid0(VALU_DEP_1) | instskip(NEXT) | instid1(VALU_DEP_1)
	v_dual_cndmask_b32 v5, v5, v1, s2 :: v_dual_cndmask_b32 v4, v4, v6, s2
	v_dual_mov_b32 v1, v0 :: v_dual_bitop2_b32 v5, v5, v0 bitop3:0x14
	s_delay_alu instid0(VALU_DEP_2) | instskip(NEXT) | instid1(VALU_DEP_1)
	v_xor_b32_e32 v4, v4, v0
	v_sub_nc_u64_e32 v[0:1], v[4:5], v[0:1]
.LBB2_7:
	s_and_not1_saveexec_b32 s2, s3
	s_cbranch_execz .LBB2_9
; %bb.8:
	v_cvt_f32_u32_e32 v0, s20
	s_sub_co_i32 s3, 0, s20
	s_delay_alu instid0(VALU_DEP_1) | instskip(SKIP_1) | instid1(TRANS32_DEP_1)
	v_rcp_iflag_f32_e32 v0, v0
	v_nop
	v_mul_f32_e32 v0, 0x4f7ffffe, v0
	s_delay_alu instid0(VALU_DEP_1) | instskip(NEXT) | instid1(VALU_DEP_1)
	v_cvt_u32_f32_e32 v0, v0
	v_mul_lo_u32 v1, s3, v0
	s_delay_alu instid0(VALU_DEP_1) | instskip(NEXT) | instid1(VALU_DEP_1)
	v_mul_hi_u32 v1, v0, v1
	v_add_nc_u32_e32 v0, v0, v1
	s_delay_alu instid0(VALU_DEP_1) | instskip(NEXT) | instid1(VALU_DEP_1)
	v_mul_hi_u32 v0, v2, v0
	v_mul_lo_u32 v1, v0, s20
	s_delay_alu instid0(VALU_DEP_1) | instskip(NEXT) | instid1(VALU_DEP_1)
	v_sub_nc_u32_e32 v1, v2, v1
	v_subrev_nc_u32_e32 v5, s20, v1
	v_cmp_le_u32_e32 vcc_lo, s20, v1
	s_delay_alu instid0(VALU_DEP_2) | instskip(NEXT) | instid1(VALU_DEP_1)
	v_dual_cndmask_b32 v1, v1, v5 :: v_dual_add_nc_u32 v4, 1, v0
	v_cndmask_b32_e32 v0, v0, v4, vcc_lo
	s_delay_alu instid0(VALU_DEP_2) | instskip(NEXT) | instid1(VALU_DEP_2)
	v_cmp_le_u32_e32 vcc_lo, s20, v1
	v_dual_mov_b32 v1, 0 :: v_dual_add_nc_u32 v4, 1, v0
	s_delay_alu instid0(VALU_DEP_1)
	v_cndmask_b32_e32 v0, v0, v4, vcc_lo
.LBB2_9:
	s_or_b32 exec_lo, exec_lo, s2
	s_delay_alu instid0(VALU_DEP_1) | instskip(NEXT) | instid1(VALU_DEP_1)
	v_mul_u64_e32 v[4:5], s[20:21], v[0:1]
	v_mul_u64_e32 v[6:7], s[22:23], v[4:5]
	v_sub_nc_u64_e32 v[4:5], v[2:3], v[4:5]
	s_delay_alu instid0(VALU_DEP_2) | instskip(NEXT) | instid1(VALU_DEP_1)
	v_lshl_add_u64 v[6:7], v[6:7], 2, s[16:17]
	v_lshl_add_u64 v[6:7], v[4:5], 2, v[6:7]
	global_load_b32 v30, v[6:7], off
	s_wait_loadcnt 0x0
	v_cmp_ne_u32_e32 vcc_lo, 0, v30
	s_and_b32 exec_lo, exec_lo, vcc_lo
	s_cbranch_execz .LBB2_79
; %bb.10:
	s_load_b256 s[36:43], s[0:1], 0x70
	s_add_nc_u64 s[2:3], s[20:21], 1
	v_mul_u64_e32 v[10:11], s[26:27], v[2:3]
	s_load_b32 s6, s[0:1], 0x0
	s_wait_kmcnt 0x0
	s_mul_u64 s[2:3], s[40:41], s[2:3]
	v_mad_nc_u64_u32 v[12:13], v0, s38, v[4:5]
	v_mul_u64_e32 v[6:7], s[2:3], v[0:1]
	s_and_b32 s2, s6, -3
	s_delay_alu instid0(SALU_CYCLE_1) | instskip(NEXT) | instid1(VALU_DEP_3)
	s_cmp_lg_u32 s2, 0
	v_sub_nc_u64_e32 v[2:3], v[8:9], v[10:11]
	s_delay_alu instid0(VALU_DEP_2) | instskip(NEXT) | instid1(VALU_DEP_1)
	v_lshl_add_u64 v[6:7], v[6:7], 2, s[18:19]
	v_lshl_add_u64 v[6:7], v[4:5], 2, v[6:7]
	v_mad_u32 v4, v1, s38, v13
	global_load_b64 v[6:7], v[6:7], off
	v_mad_u32 v13, v0, s39, v4
	v_mad_nc_u64_u32 v[4:5], v12, s36, v[2:3]
	s_delay_alu instid0(VALU_DEP_1) | instskip(NEXT) | instid1(VALU_DEP_1)
	v_mad_u32 v5, v13, s36, v5
	v_mad_u32 v5, v12, s37, v5
	s_cbranch_scc0 .LBB2_25
; %bb.11:
	s_cmp_lt_i32 s6, 3
	s_mov_b32 s2, -1
	s_cbranch_scc1 .LBB2_39
; %bb.12:
	s_cmp_lt_i32 s6, 4
	s_cbranch_scc1 .LBB2_28
; %bb.13:
	s_cmp_eq_u32 s6, 4
	s_cbranch_scc0 .LBB2_27
; %bb.14:
	s_mov_b32 s7, exec_lo
	s_wait_loadcnt 0x0
	v_cmpx_lt_i32_e64 v6, v7
	s_cbranch_execz .LBB2_26
; %bb.15:
	v_lshlrev_b64_e32 v[14:15], 1, v[4:5]
	v_mul_u64_e32 v[18:19], s[30:31], v[0:1]
	v_lshlrev_b64_e32 v[20:21], 1, v[8:9]
	s_load_b32 s16, s[0:1], 0x48
	s_lshl_b64 s[2:3], s[28:29], 1
	s_mov_b64 s[4:5], 0
	s_mov_b32 s17, 0
	v_add_nc_u64_e32 v[12:13], s[10:11], v[14:15]
	v_add_nc_u64_e32 v[14:15], s[12:13], v[14:15]
	global_load_u16 v24, v[12:13], off
	global_load_u16 v25, v[14:15], off
	s_wait_xcnt 0x0
	v_dual_mov_b32 v14, v6 :: v_dual_ashrrev_i32 v15, 31, v6
	s_delay_alu instid0(VALU_DEP_1) | instskip(NEXT) | instid1(VALU_DEP_1)
	v_lshlrev_b64_e32 v[16:17], 1, v[14:15]
	v_lshl_add_u64 v[22:23], v[18:19], 1, v[16:17]
	v_mad_nc_u64_u32 v[16:17], v18, s28, v[2:3]
	s_delay_alu instid0(VALU_DEP_2) | instskip(NEXT) | instid1(VALU_DEP_2)
	v_mad_nc_u64_u32 v[20:21], s28, v22, v[20:21]
	v_mad_u32 v17, v19, s28, v17
	s_delay_alu instid0(VALU_DEP_2) | instskip(NEXT) | instid1(VALU_DEP_2)
	v_mad_u32 v21, s29, v22, v21
	v_mad_u32 v17, v18, s29, v17
	s_delay_alu instid0(VALU_DEP_2) | instskip(SKIP_2) | instid1(VALU_DEP_1)
	v_mad_u32 v21, s28, v23, v21
	s_wait_loadcnt 0x0
	v_dual_lshlrev_b32 v22, 16, v24 :: v_dual_lshlrev_b32 v24, 16, v25
	v_mul_f32_e32 v24, v24, v22
	v_lshlrev_b64_e32 v[22:23], 1, v[10:11]
	s_delay_alu instid0(VALU_DEP_2) | instskip(NEXT) | instid1(VALU_DEP_2)
	v_bfe_u32 v19, v24, 16, 1
	v_sub_nc_u64_e32 v[20:21], v[20:21], v[22:23]
	s_delay_alu instid0(VALU_DEP_2) | instskip(NEXT) | instid1(VALU_DEP_2)
	v_add3_u32 v19, v24, v19, 0x7fff
	v_add_nc_u64_e32 v[20:21], s[14:15], v[20:21]
	s_delay_alu instid0(VALU_DEP_2) | instskip(SKIP_2) | instid1(VALU_DEP_3)
	v_and_b32_e32 v22, 0xffff0000, v19
	v_ashrrev_i32_e32 v19, 31, v7
	v_cmp_o_f32_e32 vcc_lo, v24, v24
	v_dual_mov_b32 v18, v7 :: v_dual_cndmask_b32 v31, 0x7fc00000, v22
	v_mov_b64_e32 v[22:23], v[14:15]
	s_branch .LBB2_18
.LBB2_16:                               ;   in Loop: Header=BB2_18 Depth=1
	s_or_b32 exec_lo, exec_lo, s19
	global_load_u16 v26, v[12:13], off
	s_wait_loadcnt 0x0
	v_dual_lshlrev_b32 v27, 16, v32 :: v_dual_lshlrev_b32 v26, 16, v26
	s_delay_alu instid0(VALU_DEP_1)
	v_mul_f32_e32 v26, v26, v27
.LBB2_17:                               ;   in Loop: Header=BB2_18 Depth=1
	s_wait_xcnt 0x0
	s_or_b32 exec_lo, exec_lo, s18
	s_delay_alu instid0(VALU_DEP_1)
	v_bfe_u32 v27, v26, 16, 1
	v_add_nc_u64_e32 v[22:23], 1, v[22:23]
	v_cmp_o_f32_e64 s0, v26, v26
	v_lshl_add_u64 v[24:25], v[24:25], 1, s[8:9]
	s_add_nc_u64 s[4:5], s[4:5], 1
	v_add3_u32 v27, v26, v27, 0x7fff
	v_cmp_ge_i64_e32 vcc_lo, v[22:23], v[18:19]
	s_delay_alu instid0(VALU_DEP_2) | instskip(SKIP_1) | instid1(VALU_DEP_1)
	v_lshrrev_b32_e32 v27, 16, v27
	s_or_b32 s17, vcc_lo, s17
	v_cndmask_b32_e64 v26, 0x7fc0, v27, s0
	global_store_b16 v[24:25], v26, off
	s_wait_xcnt 0x0
	s_and_not1_b32 exec_lo, exec_lo, s17
	s_cbranch_execz .LBB2_26
.LBB2_18:                               ; =>This Loop Header: Depth=1
                                        ;     Child Loop BB2_23 Depth 2
	s_delay_alu instid0(VALU_DEP_1) | instskip(SKIP_1) | instid1(VALU_DEP_1)
	v_mad_nc_u64_u32 v[24:25], v22, s28, v[16:17]
	s_mov_b32 s0, exec_lo
	v_mad_u32 v25, v23, s28, v25
	s_delay_alu instid0(VALU_DEP_1) | instskip(NEXT) | instid1(VALU_DEP_1)
	v_mad_u32 v25, v22, s29, v25
	v_lshl_add_u64 v[26:27], v[24:25], 1, s[14:15]
	global_load_u16 v26, v[26:27], off
	s_wait_loadcnt 0x0
	s_wait_xcnt 0x0
	v_lshlrev_b32_e32 v27, 16, v26
                                        ; implicit-def: $vgpr26
	s_delay_alu instid0(VALU_DEP_1)
	v_cmpx_lg_f32_e32 0, v27
	s_xor_b32 s0, exec_lo, s0
	s_cbranch_execz .LBB2_20
; %bb.19:                               ;   in Loop: Header=BB2_18 Depth=1
	v_div_scale_f32 v26, null, v27, v27, v31
	s_delay_alu instid0(VALU_DEP_1) | instskip(SKIP_1) | instid1(TRANS32_DEP_1)
	v_rcp_f32_e32 v28, v26
	v_nop
	v_fma_f32 v29, -v26, v28, 1.0
	s_delay_alu instid0(VALU_DEP_1) | instskip(SKIP_1) | instid1(VALU_DEP_1)
	v_fmac_f32_e32 v28, v29, v28
	v_div_scale_f32 v29, vcc_lo, v31, v27, v31
	v_mul_f32_e32 v32, v29, v28
	s_delay_alu instid0(VALU_DEP_1) | instskip(NEXT) | instid1(VALU_DEP_1)
	v_fma_f32 v33, -v26, v32, v29
	v_fmac_f32_e32 v32, v33, v28
	s_delay_alu instid0(VALU_DEP_1) | instskip(NEXT) | instid1(VALU_DEP_1)
	v_fma_f32 v26, -v26, v32, v29
	v_div_fmas_f32 v26, v26, v28, v32
	s_delay_alu instid0(VALU_DEP_1)
	v_div_fixup_f32 v26, v26, v27, v31
.LBB2_20:                               ;   in Loop: Header=BB2_18 Depth=1
	s_and_not1_saveexec_b32 s18, s0
	s_cbranch_execz .LBB2_17
; %bb.21:                               ;   in Loop: Header=BB2_18 Depth=1
	v_mov_b64_e32 v[26:27], v[20:21]
	v_mov_b64_e32 v[28:29], v[14:15]
	s_wait_kmcnt 0x0
	v_mov_b32_e32 v32, s16
	s_mov_b32 s19, 0
	s_mov_b64 s[0:1], s[4:5]
	s_branch .LBB2_23
.LBB2_22:                               ;   in Loop: Header=BB2_23 Depth=2
	v_add_nc_u64_e32 v[28:29], 1, v[28:29]
	s_wait_xcnt 0x0
	v_add_nc_u64_e32 v[26:27], s[2:3], v[26:27]
	s_add_nc_u64 s[0:1], s[0:1], -1
	s_delay_alu instid0(VALU_DEP_2) | instskip(SKIP_1) | instid1(SALU_CYCLE_1)
	v_cmp_ge_i64_e32 vcc_lo, v[28:29], v[18:19]
	s_or_b32 s19, vcc_lo, s19
	s_and_not1_b32 exec_lo, exec_lo, s19
	s_cbranch_execz .LBB2_16
.LBB2_23:                               ;   Parent Loop BB2_18 Depth=1
                                        ; =>  This Inner Loop Header: Depth=2
	s_cmp_eq_u64 s[0:1], 0
	s_cbranch_scc1 .LBB2_22
; %bb.24:                               ;   in Loop: Header=BB2_23 Depth=2
	global_load_u16 v33, v[26:27], off
	s_wait_loadcnt 0x0
	v_dual_lshlrev_b32 v32, 16, v32 :: v_dual_lshlrev_b32 v33, 16, v33
	s_delay_alu instid0(VALU_DEP_1) | instskip(NEXT) | instid1(VALU_DEP_1)
	v_mul_f32_e32 v32, v33, v32
	v_bfe_u32 v33, v32, 16, 1
	s_delay_alu instid0(VALU_DEP_1) | instskip(NEXT) | instid1(VALU_DEP_1)
	v_add3_u32 v33, v32, v33, 0x7fff
	v_lshrrev_b32_e32 v33, 16, v33
	v_cmp_o_f32_e32 vcc_lo, v32, v32
	s_delay_alu instid0(VALU_DEP_2)
	v_cndmask_b32_e32 v32, 0x7fc0, v33, vcc_lo
	s_branch .LBB2_22
.LBB2_25:
	s_cbranch_execnz .LBB2_51
	s_branch .LBB2_79
.LBB2_26:
	s_or_b32 exec_lo, exec_lo, s7
.LBB2_27:
	s_mov_b32 s2, 0
.LBB2_28:
	s_delay_alu instid0(SALU_CYCLE_1)
	s_and_not1_b32 vcc_lo, exec_lo, s2
	s_cbranch_vccnz .LBB2_38
; %bb.29:
	s_mov_b32 s2, exec_lo
	s_wait_loadcnt 0x0
	v_cmpx_lt_i32_e64 v6, v7
	s_cbranch_execz .LBB2_37
; %bb.30:
	v_lshl_add_u64 v[12:13], v[4:5], 1, s[10:11]
	v_mul_u64_e32 v[16:17], s[30:31], v[0:1]
	v_dual_mov_b32 v14, v6 :: v_dual_ashrrev_i32 v15, 31, v6
	s_cmp_eq_u64 s[28:29], 1
	global_load_u16 v28, v[12:13], off
	s_wait_xcnt 0x0
	v_dual_mov_b32 v12, v7 :: v_dual_ashrrev_i32 v13, 31, v7
	s_cselect_b32 s0, -1, 0
	s_mov_b32 s1, -1
	s_delay_alu instid0(VALU_DEP_1) | instskip(NEXT) | instid1(VALU_DEP_1)
	v_sub_nc_u64_e32 v[18:19], v[12:13], v[14:15]
	v_cmp_lt_u64_e32 vcc_lo, 3, v[18:19]
	s_and_b32 s3, vcc_lo, s0
	s_delay_alu instid0(SALU_CYCLE_1)
	s_and_saveexec_b32 s0, s3
	s_cbranch_execz .LBB2_34
; %bb.31:
	v_mul_u64_e32 v[20:21], s[28:29], v[16:17]
	s_wait_loadcnt 0x0
	v_perm_b32 v22, v28, v28, 0x5040100
	s_mov_b32 s1, 0
	s_delay_alu instid0(VALU_DEP_1) | instskip(NEXT) | instid1(VALU_DEP_3)
	v_mov_b32_e32 v23, v22
	v_lshl_add_u64 v[24:25], v[20:21], 1, s[8:9]
	v_dual_mov_b32 v21, v19 :: v_dual_bitop2_b32 v20, -4, v18 bitop3:0x40
	s_delay_alu instid0(VALU_DEP_2) | instskip(NEXT) | instid1(VALU_DEP_2)
	v_lshl_add_u64 v[24:25], v[2:3], 1, v[24:25]
	v_mov_b64_e32 v[26:27], v[20:21]
	s_delay_alu instid0(VALU_DEP_2)
	v_lshl_add_u64 v[24:25], v[14:15], 1, v[24:25]
.LBB2_32:                               ; =>This Inner Loop Header: Depth=1
	s_delay_alu instid0(VALU_DEP_2)
	v_add_nc_u64_e32 v[26:27], -4, v[26:27]
	global_store_b64 v[24:25], v[22:23], off
	s_wait_xcnt 0x0
	v_add_nc_u64_e32 v[24:25], 8, v[24:25]
	v_cmp_eq_u64_e32 vcc_lo, 0, v[26:27]
	s_or_b32 s1, vcc_lo, s1
	s_delay_alu instid0(SALU_CYCLE_1)
	s_and_not1_b32 exec_lo, exec_lo, s1
	s_cbranch_execnz .LBB2_32
; %bb.33:
	s_or_b32 exec_lo, exec_lo, s1
	v_cmp_ne_u64_e32 vcc_lo, v[18:19], v[20:21]
	v_add_nc_u64_e32 v[14:15], v[20:21], v[14:15]
	s_or_not1_b32 s1, vcc_lo, exec_lo
.LBB2_34:
	s_or_b32 exec_lo, exec_lo, s0
	s_delay_alu instid0(SALU_CYCLE_1)
	s_and_b32 exec_lo, exec_lo, s1
	s_cbranch_execz .LBB2_37
; %bb.35:
	s_delay_alu instid0(VALU_DEP_1) | instskip(SKIP_3) | instid1(VALU_DEP_2)
	v_lshlrev_b64_e32 v[18:19], 1, v[14:15]
	v_lshlrev_b64_e32 v[20:21], 1, v[8:9]
	s_lshl_b64 s[0:1], s[28:29], 1
	s_mov_b32 s3, 0
	v_lshl_add_u64 v[16:17], v[16:17], 1, v[18:19]
	s_delay_alu instid0(VALU_DEP_1) | instskip(NEXT) | instid1(VALU_DEP_1)
	v_mad_nc_u64_u32 v[18:19], s28, v16, v[20:21]
	v_mad_u32 v16, s29, v16, v19
	s_delay_alu instid0(VALU_DEP_1) | instskip(SKIP_1) | instid1(VALU_DEP_1)
	v_mad_u32 v19, s28, v17, v16
	v_lshlrev_b64_e32 v[16:17], 1, v[10:11]
	v_sub_nc_u64_e32 v[16:17], v[18:19], v[16:17]
	s_delay_alu instid0(VALU_DEP_1)
	v_add_nc_u64_e32 v[16:17], s[8:9], v[16:17]
.LBB2_36:                               ; =>This Inner Loop Header: Depth=1
	v_add_nc_u64_e32 v[14:15], 1, v[14:15]
	s_wait_loadcnt 0x0
	global_store_b16 v[16:17], v28, off
	s_wait_xcnt 0x0
	v_add_nc_u64_e32 v[16:17], s[0:1], v[16:17]
	v_cmp_ge_i64_e32 vcc_lo, v[14:15], v[12:13]
	s_or_b32 s3, vcc_lo, s3
	s_delay_alu instid0(SALU_CYCLE_1)
	s_and_not1_b32 exec_lo, exec_lo, s3
	s_cbranch_execnz .LBB2_36
.LBB2_37:
	s_or_b32 exec_lo, exec_lo, s2
.LBB2_38:
	s_mov_b32 s2, 0
.LBB2_39:
	s_delay_alu instid0(SALU_CYCLE_1)
	s_and_not1_b32 vcc_lo, exec_lo, s2
	s_cbranch_vccnz .LBB2_50
; %bb.40:
	s_cmp_lg_u32 s6, 1
	s_cbranch_scc1 .LBB2_50
; %bb.41:
	s_mov_b32 s2, exec_lo
	s_wait_loadcnt 0x0
	v_cmpx_lt_i32_e64 v6, v7
	s_cbranch_execz .LBB2_49
; %bb.42:
	v_lshl_add_u64 v[12:13], v[4:5], 1, s[10:11]
	s_cmp_eq_u64 s[28:29], 1
	s_mov_b32 s1, -1
	global_load_u16 v12, v[12:13], off
	s_wait_xcnt 0x0
	v_cvt_f32_i32_e32 v13, v30
	s_delay_alu instid0(VALU_DEP_1) | instskip(NEXT) | instid1(VALU_DEP_1)
	v_bfe_u32 v14, v13, 16, 1
	v_add3_u32 v13, v13, v14, 0x7fff
	s_delay_alu instid0(VALU_DEP_1) | instskip(SKIP_2) | instid1(VALU_DEP_1)
	v_and_b32_e32 v13, 0xffff0000, v13
	s_wait_loadcnt 0x0
	v_lshlrev_b32_e32 v12, 16, v12
	v_div_scale_f32 v14, null, v13, v13, v12
	s_delay_alu instid0(VALU_DEP_1) | instskip(SKIP_1) | instid1(TRANS32_DEP_1)
	v_rcp_f32_e32 v15, v14
	v_nop
	v_fma_f32 v16, -v14, v15, 1.0
	s_delay_alu instid0(VALU_DEP_1) | instskip(SKIP_1) | instid1(VALU_DEP_1)
	v_fmac_f32_e32 v15, v16, v15
	v_div_scale_f32 v17, vcc_lo, v12, v13, v12
	v_mul_f32_e32 v18, v17, v15
	s_delay_alu instid0(VALU_DEP_1) | instskip(NEXT) | instid1(VALU_DEP_1)
	v_fma_f32 v16, -v14, v18, v17
	v_fmac_f32_e32 v18, v16, v15
	s_delay_alu instid0(VALU_DEP_1) | instskip(SKIP_1) | instid1(VALU_DEP_2)
	v_fma_f32 v14, -v14, v18, v17
	v_mul_u64_e32 v[16:17], s[30:31], v[0:1]
	v_div_fmas_f32 v14, v14, v15, v18
	v_ashrrev_i32_e32 v15, 31, v6
	s_delay_alu instid0(VALU_DEP_2) | instskip(SKIP_2) | instid1(VALU_DEP_3)
	v_div_fixup_f32 v20, v14, v13, v12
	v_dual_mov_b32 v14, v6 :: v_dual_ashrrev_i32 v13, 31, v7
	v_mov_b32_e32 v12, v7
	v_bfe_u32 v21, v20, 16, 1
	v_cmp_o_f32_e64 s0, v20, v20
	s_delay_alu instid0(VALU_DEP_3) | instskip(NEXT) | instid1(VALU_DEP_3)
	v_sub_nc_u64_e32 v[18:19], v[12:13], v[14:15]
	v_add3_u32 v21, v20, v21, 0x7fff
	s_delay_alu instid0(VALU_DEP_2) | instskip(NEXT) | instid1(VALU_DEP_2)
	v_cmp_lt_u64_e32 vcc_lo, 3, v[18:19]
	v_lshrrev_b32_e32 v21, 16, v21
	s_delay_alu instid0(VALU_DEP_1) | instskip(SKIP_1) | instid1(SALU_CYCLE_1)
	v_cndmask_b32_e64 v28, 0x7fc0, v21, s0
	s_cselect_b32 s0, -1, 0
	s_and_b32 s3, vcc_lo, s0
	s_delay_alu instid0(SALU_CYCLE_1)
	s_and_saveexec_b32 s0, s3
	s_cbranch_execz .LBB2_46
; %bb.43:
	v_mul_u64_e32 v[20:21], s[28:29], v[16:17]
	v_perm_b32 v22, v28, v28, 0x5040100
	s_mov_b32 s1, 0
	s_delay_alu instid0(VALU_DEP_1) | instskip(NEXT) | instid1(VALU_DEP_3)
	v_mov_b32_e32 v23, v22
	v_lshl_add_u64 v[24:25], v[20:21], 1, s[8:9]
	v_dual_mov_b32 v21, v19 :: v_dual_bitop2_b32 v20, -4, v18 bitop3:0x40
	s_delay_alu instid0(VALU_DEP_2) | instskip(NEXT) | instid1(VALU_DEP_2)
	v_lshl_add_u64 v[24:25], v[2:3], 1, v[24:25]
	v_mov_b64_e32 v[26:27], v[20:21]
	s_delay_alu instid0(VALU_DEP_2)
	v_lshl_add_u64 v[24:25], v[14:15], 1, v[24:25]
.LBB2_44:                               ; =>This Inner Loop Header: Depth=1
	s_delay_alu instid0(VALU_DEP_2)
	v_add_nc_u64_e32 v[26:27], -4, v[26:27]
	global_store_b64 v[24:25], v[22:23], off
	s_wait_xcnt 0x0
	v_add_nc_u64_e32 v[24:25], 8, v[24:25]
	v_cmp_eq_u64_e32 vcc_lo, 0, v[26:27]
	s_or_b32 s1, vcc_lo, s1
	s_delay_alu instid0(SALU_CYCLE_1)
	s_and_not1_b32 exec_lo, exec_lo, s1
	s_cbranch_execnz .LBB2_44
; %bb.45:
	s_or_b32 exec_lo, exec_lo, s1
	v_cmp_ne_u64_e32 vcc_lo, v[18:19], v[20:21]
	v_add_nc_u64_e32 v[14:15], v[20:21], v[14:15]
	s_or_not1_b32 s1, vcc_lo, exec_lo
.LBB2_46:
	s_or_b32 exec_lo, exec_lo, s0
	s_delay_alu instid0(SALU_CYCLE_1)
	s_and_b32 exec_lo, exec_lo, s1
	s_cbranch_execz .LBB2_49
; %bb.47:
	s_delay_alu instid0(VALU_DEP_1) | instskip(SKIP_3) | instid1(VALU_DEP_2)
	v_lshlrev_b64_e32 v[18:19], 1, v[14:15]
	v_lshlrev_b64_e32 v[20:21], 1, v[8:9]
	s_lshl_b64 s[0:1], s[28:29], 1
	s_mov_b32 s3, 0
	v_lshl_add_u64 v[16:17], v[16:17], 1, v[18:19]
	s_delay_alu instid0(VALU_DEP_1) | instskip(NEXT) | instid1(VALU_DEP_1)
	v_mad_nc_u64_u32 v[18:19], s28, v16, v[20:21]
	v_mad_u32 v16, s29, v16, v19
	s_delay_alu instid0(VALU_DEP_1) | instskip(SKIP_1) | instid1(VALU_DEP_1)
	v_mad_u32 v19, s28, v17, v16
	v_lshlrev_b64_e32 v[16:17], 1, v[10:11]
	v_sub_nc_u64_e32 v[16:17], v[18:19], v[16:17]
	s_delay_alu instid0(VALU_DEP_1)
	v_add_nc_u64_e32 v[16:17], s[8:9], v[16:17]
.LBB2_48:                               ; =>This Inner Loop Header: Depth=1
	v_add_nc_u64_e32 v[14:15], 1, v[14:15]
	global_store_b16 v[16:17], v28, off
	s_wait_xcnt 0x0
	v_add_nc_u64_e32 v[16:17], s[0:1], v[16:17]
	v_cmp_ge_i64_e32 vcc_lo, v[14:15], v[12:13]
	s_or_b32 s3, vcc_lo, s3
	s_delay_alu instid0(SALU_CYCLE_1)
	s_and_not1_b32 exec_lo, exec_lo, s3
	s_cbranch_execnz .LBB2_48
.LBB2_49:
	s_or_b32 exec_lo, exec_lo, s2
.LBB2_50:
	s_branch .LBB2_79
.LBB2_51:
	v_mov_b64_e32 v[16:17], 0
	s_wait_loadcnt 0x0
	v_dual_mov_b32 v12, v6 :: v_dual_ashrrev_i32 v13, 31, v6
	v_dual_mov_b32 v14, v7 :: v_dual_ashrrev_i32 v15, 31, v7
	s_mov_b32 s1, exec_lo
	v_cmp_ge_i32_e32 vcc_lo, v6, v7
	s_wait_xcnt 0x0
	v_cmpx_lt_i32_e64 v6, v7
	s_cbranch_execz .LBB2_59
; %bb.52:
	v_mad_nc_u64_u32 v[6:7], v0, s30, v[12:13]
	v_mov_b64_e32 v[20:21], v[12:13]
	s_lshl_b64 s[2:3], s[28:29], 1
	s_mov_b32 s4, 0
	s_delay_alu instid0(VALU_DEP_2) | instskip(NEXT) | instid1(VALU_DEP_3)
	v_mad_u32 v7, v1, s30, v7
	v_mad_nc_u64_u32 v[16:17], s28, v6, v[8:9]
	s_delay_alu instid0(VALU_DEP_2) | instskip(NEXT) | instid1(VALU_DEP_2)
	v_mad_u32 v7, v0, s31, v7
	v_mad_u32 v6, s29, v6, v17
	s_delay_alu instid0(VALU_DEP_1) | instskip(SKIP_1) | instid1(VALU_DEP_1)
	v_mad_u32 v17, s28, v7, v6
	v_lshlrev_b64_e32 v[6:7], 1, v[4:5]
	v_add_nc_u64_e32 v[4:5], s[12:13], v[6:7]
	v_add_nc_u64_e32 v[6:7], s[10:11], v[6:7]
	s_delay_alu instid0(VALU_DEP_4) | instskip(NEXT) | instid1(VALU_DEP_1)
	v_sub_nc_u64_e32 v[16:17], v[16:17], v[10:11]
	v_lshlrev_b64_e32 v[18:19], 1, v[16:17]
	v_mov_b64_e32 v[16:17], 0
	s_branch .LBB2_54
.LBB2_53:                               ;   in Loop: Header=BB2_54 Depth=1
	s_wait_xcnt 0x0
	s_or_b32 exec_lo, exec_lo, s0
	v_add_nc_u64_e32 v[20:21], 1, v[20:21]
	v_add_nc_u64_e32 v[18:19], s[2:3], v[18:19]
	s_delay_alu instid0(VALU_DEP_2) | instskip(SKIP_1) | instid1(SALU_CYCLE_1)
	v_cmp_ge_i64_e64 s0, v[20:21], v[14:15]
	s_or_b32 s4, s0, s4
	s_and_not1_b32 exec_lo, exec_lo, s4
	s_cbranch_execz .LBB2_58
.LBB2_54:                               ; =>This Inner Loop Header: Depth=1
	s_delay_alu instid0(VALU_DEP_2) | instskip(SKIP_4) | instid1(VALU_DEP_1)
	v_add_nc_u64_e32 v[22:23], s[14:15], v[18:19]
	s_mov_b32 s6, exec_lo
	global_load_u16 v22, v[22:23], off
	s_wait_loadcnt 0x0
	v_lshlrev_b32_e32 v22, 16, v22
	v_cmp_u_f32_e64 s5, v22, v22
	v_cmpx_o_f32_e32 v22, v22
	s_cbranch_execz .LBB2_56
; %bb.55:                               ;   in Loop: Header=BB2_54 Depth=1
	global_load_u16 v23, v[4:5], off
	s_and_not1_b32 s5, s5, exec_lo
	s_wait_loadcnt 0x0
	v_lshlrev_b32_e32 v23, 16, v23
	s_delay_alu instid0(VALU_DEP_1) | instskip(SKIP_1) | instid1(SALU_CYCLE_1)
	v_cmp_eq_f32_e64 s0, v22, v23
	s_and_b32 s0, s0, exec_lo
	s_or_b32 s5, s5, s0
.LBB2_56:                               ;   in Loop: Header=BB2_54 Depth=1
	s_wait_xcnt 0x0
	s_or_b32 exec_lo, exec_lo, s6
	s_and_saveexec_b32 s0, s5
	s_cbranch_execz .LBB2_53
; %bb.57:                               ;   in Loop: Header=BB2_54 Depth=1
	global_load_u16 v24, v[6:7], off
	v_add_nc_u64_e32 v[22:23], s[8:9], v[18:19]
	v_add_nc_u64_e32 v[16:17], 1, v[16:17]
	s_wait_loadcnt 0x0
	global_store_b16 v[22:23], v24, off
	s_branch .LBB2_53
.LBB2_58:
	s_or_b32 exec_lo, exec_lo, s4
.LBB2_59:
	s_delay_alu instid0(SALU_CYCLE_1) | instskip(SKIP_2) | instid1(SALU_CYCLE_1)
	s_or_b32 exec_lo, exec_lo, s1
	v_cmp_lt_i64_e64 s0, 1, v[16:17]
	s_xor_b32 s1, vcc_lo, -1
	s_and_b32 s0, s0, s1
	s_delay_alu instid0(SALU_CYCLE_1)
	s_and_b32 exec_lo, exec_lo, s0
	s_cbranch_execz .LBB2_79
; %bb.60:
	v_clz_i32_u32_e32 v4, v17
	v_sub_nc_u64_e32 v[18:19], v[14:15], v[12:13]
	s_mov_b32 s7, exec_lo
	s_delay_alu instid0(VALU_DEP_2) | instskip(NEXT) | instid1(VALU_DEP_2)
	v_min_u32_e32 v6, 32, v4
	v_cmp_gt_u64_e64 s6, 16, v[18:19]
	s_delay_alu instid0(VALU_DEP_2) | instskip(SKIP_2) | instid1(VALU_DEP_3)
	v_lshlrev_b64_e32 v[4:5], v6, v[16:17]
	v_mul_u64_e32 v[16:17], s[30:31], v[0:1]
	v_sub_nc_u32_e32 v1, 32, v6
	v_min_u32_e32 v4, 1, v4
	s_delay_alu instid0(VALU_DEP_1) | instskip(NEXT) | instid1(VALU_DEP_1)
	v_or_b32_e32 v0, v5, v4
	v_cvt_f32_u32_e32 v0, v0
	s_delay_alu instid0(VALU_DEP_1) | instskip(NEXT) | instid1(VALU_DEP_1)
	v_ldexp_f32 v0, v0, v1
	v_bfe_u32 v1, v0, 16, 1
	s_delay_alu instid0(VALU_DEP_1) | instskip(NEXT) | instid1(VALU_DEP_1)
	v_add3_u32 v0, v0, v1, 0x7fff
	v_and_b32_e32 v0, 0xffff0000, v0
	v_cmpx_lt_u64_e32 15, v[18:19]
	s_cbranch_execz .LBB2_74
; %bb.61:
	v_add_nc_u64_e32 v[2:3], v[16:17], v[2:3]
	v_not_b32_e32 v5, v13
	v_not_b32_e32 v4, v12
	s_cmp_eq_u64 s[28:29], 1
	s_cselect_b32 s1, -1, 0
	s_delay_alu instid0(VALU_DEP_1) | instskip(NEXT) | instid1(VALU_DEP_4)
	v_add_nc_u64_e32 v[4:5], v[4:5], v[14:15]
	v_add_nc_u64_e32 v[2:3], v[2:3], v[12:13]
	s_delay_alu instid0(VALU_DEP_2) | instskip(NEXT) | instid1(VALU_DEP_2)
	v_cmp_lt_i64_e32 vcc_lo, -1, v[4:5]
	v_lshl_add_u64 v[2:3], v[2:3], 1, s[8:9]
	s_delay_alu instid0(VALU_DEP_1) | instskip(NEXT) | instid1(VALU_DEP_1)
	v_lshl_add_u64 v[6:7], v[4:5], 1, v[2:3]
	v_cmp_ge_u64_e64 s0, v[6:7], v[2:3]
	s_and_b32 s0, s0, vcc_lo
	s_delay_alu instid0(SALU_CYCLE_1)
	s_and_b32 s1, s1, s0
	s_mov_b32 s0, -1
	s_and_saveexec_b32 s10, s1
	s_cbranch_execz .LBB2_73
; %bb.62:
	v_lshlrev_b64_e32 v[2:3], 1, v[8:9]
	v_lshlrev_b64_e32 v[4:5], 1, v[10:11]
	v_dual_mov_b32 v21, v19 :: v_dual_bitop2_b32 v20, -4, v18 bitop3:0x40
	v_mov_b32_e32 v1, v0
	s_mov_b32 s11, 0
	s_delay_alu instid0(VALU_DEP_4) | instskip(NEXT) | instid1(VALU_DEP_3)
	v_lshl_add_u64 v[2:3], v[16:17], 1, v[2:3]
	v_mov_b64_e32 v[24:25], v[20:21]
	s_delay_alu instid0(VALU_DEP_2) | instskip(NEXT) | instid1(VALU_DEP_1)
	v_lshl_add_u64 v[2:3], v[12:13], 1, v[2:3]
	v_sub_nc_u64_e32 v[2:3], v[2:3], v[4:5]
	s_delay_alu instid0(VALU_DEP_1) | instskip(SKIP_1) | instid1(VALU_DEP_2)
	v_add_nc_u64_e32 v[4:5], s[8:9], v[2:3]
	v_dual_mov_b32 v2, v0 :: v_dual_mov_b32 v3, v0
	v_add_nc_u64_e32 v[22:23], 6, v[4:5]
	s_branch .LBB2_64
.LBB2_63:                               ;   in Loop: Header=BB2_64 Depth=1
	s_wait_xcnt 0x0
	s_or_b32 exec_lo, exec_lo, s1
	v_add_nc_u64_e32 v[24:25], -4, v[24:25]
	v_add_nc_u64_e32 v[22:23], 8, v[22:23]
	s_delay_alu instid0(VALU_DEP_2) | instskip(SKIP_1) | instid1(SALU_CYCLE_1)
	v_cmp_eq_u64_e32 vcc_lo, 0, v[24:25]
	s_or_b32 s11, vcc_lo, s11
	s_and_not1_b32 exec_lo, exec_lo, s11
	s_cbranch_execz .LBB2_72
.LBB2_64:                               ; =>This Inner Loop Header: Depth=1
	global_load_b64 v[4:5], v[22:23], off offset:-6
	s_wait_loadcnt 0x0
	v_and_b32_e32 v6, 0xffff0000, v5
	v_and_b32_e32 v7, 0xffff0000, v4
	v_dual_lshlrev_b32 v4, 16, v4 :: v_dual_lshlrev_b32 v26, 16, v5
	s_delay_alu instid0(VALU_DEP_3) | instskip(NEXT) | instid1(VALU_DEP_3)
	v_div_scale_f32 v5, null, v3, v3, v6
	v_div_scale_f32 v27, null, v1, v1, v7
	s_delay_alu instid0(VALU_DEP_3) | instskip(NEXT) | instid1(VALU_DEP_3)
	v_div_scale_f32 v28, null, v0, v0, v4
	v_rcp_f32_e32 v31, v5
	v_div_scale_f32 v29, null, v2, v2, v26
	s_delay_alu instid0(VALU_DEP_3) | instskip(NEXT) | instid1(VALU_DEP_2)
	v_rcp_f32_e32 v32, v27
	v_rcp_f32_e32 v33, v28
	v_div_scale_f32 v30, vcc_lo, v6, v3, v6
	s_delay_alu instid0(VALU_DEP_2) | instskip(SKIP_2) | instid1(TRANS32_DEP_3)
	v_rcp_f32_e32 v34, v29
	v_fma_f32 v37, -v5, v31, 1.0
	v_div_scale_f32 v35, s3, v7, v1, v7
	v_fma_f32 v38, -v27, v32, 1.0
	s_delay_alu instid0(TRANS32_DEP_2) | instskip(NEXT) | instid1(VALU_DEP_4)
	v_fma_f32 v39, -v28, v33, 1.0
	v_fmac_f32_e32 v31, v37, v31
	s_delay_alu instid0(TRANS32_DEP_1) | instskip(SKIP_1) | instid1(VALU_DEP_4)
	v_fma_f32 v40, -v29, v34, 1.0
	v_div_scale_f32 v36, s4, v4, v0, v4
	v_dual_fmac_f32 v32, v38, v32 :: v_dual_fmac_f32 v33, v39, v33
	s_delay_alu instid0(VALU_DEP_3) | instskip(SKIP_1) | instid1(VALU_DEP_3)
	v_dual_fmac_f32 v34, v40, v34 :: v_dual_mul_f32 v37, v30, v31
	v_div_scale_f32 v41, s5, v26, v2, v26
	v_dual_mul_f32 v38, v35, v32 :: v_dual_mul_f32 v39, v36, v33
	s_delay_alu instid0(VALU_DEP_3) | instskip(NEXT) | instid1(VALU_DEP_3)
	v_fma_f32 v42, -v5, v37, v30
	v_mul_f32_e32 v40, v41, v34
	v_cmp_lt_f32_e64 s0, 0, v6
	s_delay_alu instid0(VALU_DEP_4) | instskip(NEXT) | instid1(VALU_DEP_4)
	v_dual_fma_f32 v43, -v27, v38, v35 :: v_dual_fma_f32 v44, -v28, v39, v36
	v_fmac_f32_e32 v37, v42, v31
	s_delay_alu instid0(VALU_DEP_4) | instskip(SKIP_1) | instid1(VALU_DEP_4)
	v_fma_f32 v45, -v29, v40, v41
	v_cmp_lt_f32_e64 s2, 0, v7
	v_dual_fmac_f32 v38, v43, v32 :: v_dual_fmac_f32 v39, v44, v33
	s_delay_alu instid0(VALU_DEP_4) | instskip(NEXT) | instid1(VALU_DEP_4)
	v_fma_f32 v5, -v5, v37, v30
	v_fmac_f32_e32 v40, v45, v34
	v_cmp_lt_f32_e64 s1, 0, v26
	s_delay_alu instid0(VALU_DEP_4) | instskip(NEXT) | instid1(VALU_DEP_4)
	v_dual_fma_f32 v27, -v27, v38, v35 :: v_dual_fma_f32 v28, -v28, v39, v36
	v_div_fmas_f32 v5, v5, v31, v37
	s_mov_b32 vcc_lo, s3
	v_fma_f32 v29, -v29, v40, v41
	s_delay_alu instid0(VALU_DEP_3)
	v_div_fmas_f32 v27, v27, v32, v38
	s_mov_b32 vcc_lo, s4
	v_div_fixup_f32 v5, v5, v3, v6
	v_div_fmas_f32 v28, v28, v33, v39
	s_mov_b32 vcc_lo, s5
	v_div_fixup_f32 v7, v27, v1, v7
	v_div_fmas_f32 v29, v29, v34, v40
	v_cmp_lt_f32_e32 vcc_lo, 0, v4
	v_div_fixup_f32 v6, v28, v0, v4
	s_delay_alu instid0(VALU_DEP_3)
	v_div_fixup_f32 v4, v29, v2, v26
	s_wait_xcnt 0x0
	s_and_saveexec_b32 s3, vcc_lo
	s_cbranch_execnz .LBB2_68
; %bb.65:                               ;   in Loop: Header=BB2_64 Depth=1
	s_or_b32 exec_lo, exec_lo, s3
	s_and_saveexec_b32 s3, s2
	s_cbranch_execnz .LBB2_69
.LBB2_66:                               ;   in Loop: Header=BB2_64 Depth=1
	s_or_b32 exec_lo, exec_lo, s3
	s_and_saveexec_b32 s2, s1
	s_cbranch_execnz .LBB2_70
.LBB2_67:                               ;   in Loop: Header=BB2_64 Depth=1
	s_or_b32 exec_lo, exec_lo, s2
	s_and_saveexec_b32 s1, s0
	s_cbranch_execz .LBB2_63
	s_branch .LBB2_71
.LBB2_68:                               ;   in Loop: Header=BB2_64 Depth=1
	v_bfe_u32 v26, v6, 16, 1
	v_cmp_o_f32_e32 vcc_lo, v6, v6
	s_delay_alu instid0(VALU_DEP_2) | instskip(NEXT) | instid1(VALU_DEP_1)
	v_add3_u32 v26, v6, v26, 0x7fff
	v_lshrrev_b32_e32 v26, 16, v26
	s_delay_alu instid0(VALU_DEP_1)
	v_cndmask_b32_e32 v6, 0x7fc0, v26, vcc_lo
	global_store_b16 v[22:23], v6, off offset:-6
	s_wait_xcnt 0x0
	s_or_b32 exec_lo, exec_lo, s3
	s_and_saveexec_b32 s3, s2
	s_cbranch_execz .LBB2_66
.LBB2_69:                               ;   in Loop: Header=BB2_64 Depth=1
	v_bfe_u32 v6, v7, 16, 1
	v_cmp_o_f32_e32 vcc_lo, v7, v7
	s_delay_alu instid0(VALU_DEP_2) | instskip(NEXT) | instid1(VALU_DEP_1)
	v_add3_u32 v6, v7, v6, 0x7fff
	v_lshrrev_b32_e32 v6, 16, v6
	s_delay_alu instid0(VALU_DEP_1)
	v_cndmask_b32_e32 v6, 0x7fc0, v6, vcc_lo
	global_store_b16 v[22:23], v6, off offset:-4
	s_wait_xcnt 0x0
	s_or_b32 exec_lo, exec_lo, s3
	s_and_saveexec_b32 s2, s1
	s_cbranch_execz .LBB2_67
.LBB2_70:                               ;   in Loop: Header=BB2_64 Depth=1
	v_bfe_u32 v6, v4, 16, 1
	v_cmp_o_f32_e32 vcc_lo, v4, v4
	s_delay_alu instid0(VALU_DEP_2) | instskip(NEXT) | instid1(VALU_DEP_1)
	v_add3_u32 v6, v4, v6, 0x7fff
	v_lshrrev_b32_e32 v6, 16, v6
	s_delay_alu instid0(VALU_DEP_1)
	v_cndmask_b32_e32 v4, 0x7fc0, v6, vcc_lo
	global_store_b16 v[22:23], v4, off offset:-2
	s_wait_xcnt 0x0
	s_or_b32 exec_lo, exec_lo, s2
	s_and_saveexec_b32 s1, s0
	s_cbranch_execz .LBB2_63
.LBB2_71:                               ;   in Loop: Header=BB2_64 Depth=1
	v_bfe_u32 v4, v5, 16, 1
	v_cmp_o_f32_e32 vcc_lo, v5, v5
	s_delay_alu instid0(VALU_DEP_2) | instskip(NEXT) | instid1(VALU_DEP_1)
	v_add3_u32 v4, v5, v4, 0x7fff
	v_lshrrev_b32_e32 v4, 16, v4
	s_delay_alu instid0(VALU_DEP_1)
	v_cndmask_b32_e32 v4, 0x7fc0, v4, vcc_lo
	global_store_b16 v[22:23], v4, off
	s_branch .LBB2_63
.LBB2_72:
	s_or_b32 exec_lo, exec_lo, s11
	v_cmp_ne_u64_e32 vcc_lo, v[18:19], v[20:21]
	v_add_nc_u64_e32 v[12:13], v[20:21], v[12:13]
	s_or_not1_b32 s0, vcc_lo, exec_lo
.LBB2_73:
	s_or_b32 exec_lo, exec_lo, s10
	s_delay_alu instid0(SALU_CYCLE_1) | instskip(SKIP_1) | instid1(SALU_CYCLE_1)
	s_and_not1_b32 s1, s6, exec_lo
	s_and_b32 s0, s0, exec_lo
	s_or_b32 s6, s1, s0
.LBB2_74:
	s_or_b32 exec_lo, exec_lo, s7
	s_delay_alu instid0(SALU_CYCLE_1)
	s_and_b32 exec_lo, exec_lo, s6
	s_cbranch_execz .LBB2_79
; %bb.75:
	v_lshlrev_b64_e32 v[2:3], 1, v[12:13]
	v_lshlrev_b64_e32 v[4:5], 1, v[8:9]
	s_lshl_b64 s[0:1], s[28:29], 1
	s_mov_b32 s2, 0
	s_delay_alu instid0(VALU_DEP_2) | instskip(NEXT) | instid1(VALU_DEP_1)
	v_lshl_add_u64 v[2:3], v[16:17], 1, v[2:3]
	v_mad_nc_u64_u32 v[4:5], s28, v2, v[4:5]
	s_delay_alu instid0(VALU_DEP_1) | instskip(NEXT) | instid1(VALU_DEP_1)
	v_mad_u32 v1, s29, v2, v5
	v_mad_u32 v5, s28, v3, v1
	v_lshlrev_b64_e32 v[2:3], 1, v[10:11]
	s_delay_alu instid0(VALU_DEP_1) | instskip(NEXT) | instid1(VALU_DEP_1)
	v_sub_nc_u64_e32 v[2:3], v[4:5], v[2:3]
	v_add_nc_u64_e32 v[2:3], s[8:9], v[2:3]
	s_branch .LBB2_77
.LBB2_76:                               ;   in Loop: Header=BB2_77 Depth=1
	s_wait_xcnt 0x0
	s_or_b32 exec_lo, exec_lo, s3
	v_add_nc_u64_e32 v[12:13], 1, v[12:13]
	v_add_nc_u64_e32 v[2:3], s[0:1], v[2:3]
	s_delay_alu instid0(VALU_DEP_2) | instskip(SKIP_1) | instid1(SALU_CYCLE_1)
	v_cmp_ge_i64_e32 vcc_lo, v[12:13], v[14:15]
	s_or_b32 s2, vcc_lo, s2
	s_and_not1_b32 exec_lo, exec_lo, s2
	s_cbranch_execz .LBB2_79
.LBB2_77:                               ; =>This Inner Loop Header: Depth=1
	global_load_u16 v1, v[2:3], off
	s_mov_b32 s3, exec_lo
	s_wait_loadcnt 0x0
	v_lshlrev_b32_e32 v1, 16, v1
	s_wait_xcnt 0x0
	s_delay_alu instid0(VALU_DEP_1)
	v_cmpx_lt_f32_e32 0, v1
	s_cbranch_execz .LBB2_76
; %bb.78:                               ;   in Loop: Header=BB2_77 Depth=1
	v_div_scale_f32 v4, null, v0, v0, v1
	s_delay_alu instid0(VALU_DEP_1) | instskip(SKIP_1) | instid1(TRANS32_DEP_1)
	v_rcp_f32_e32 v5, v4
	v_nop
	v_fma_f32 v6, -v4, v5, 1.0
	s_delay_alu instid0(VALU_DEP_1) | instskip(SKIP_1) | instid1(VALU_DEP_1)
	v_fmac_f32_e32 v5, v6, v5
	v_div_scale_f32 v6, vcc_lo, v1, v0, v1
	v_mul_f32_e32 v7, v6, v5
	s_delay_alu instid0(VALU_DEP_1) | instskip(NEXT) | instid1(VALU_DEP_1)
	v_fma_f32 v8, -v4, v7, v6
	v_fmac_f32_e32 v7, v8, v5
	s_delay_alu instid0(VALU_DEP_1) | instskip(NEXT) | instid1(VALU_DEP_1)
	v_fma_f32 v4, -v4, v7, v6
	v_div_fmas_f32 v4, v4, v5, v7
	s_delay_alu instid0(VALU_DEP_1) | instskip(NEXT) | instid1(VALU_DEP_1)
	v_div_fixup_f32 v1, v4, v0, v1
	v_bfe_u32 v4, v1, 16, 1
	v_cmp_o_f32_e32 vcc_lo, v1, v1
	s_delay_alu instid0(VALU_DEP_2) | instskip(NEXT) | instid1(VALU_DEP_1)
	v_add3_u32 v4, v1, v4, 0x7fff
	v_lshrrev_b32_e32 v4, 16, v4
	s_delay_alu instid0(VALU_DEP_1)
	v_cndmask_b32_e32 v1, 0x7fc0, v4, vcc_lo
	global_store_b16 v[2:3], v1, off
	s_branch .LBB2_76
.LBB2_79:
	s_endpgm
	.section	.rodata,"a",@progbits
	.p2align	6, 0x0
	.amdhsa_kernel _ZN2at6native12_GLOBAL__N_130segment_reduce_backward_kernelIN3c108BFloat16EiEEvNS0_13ReductionTypeEPT_PKS6_S9_S9_PKT0_SC_llS6_lllllll
		.amdhsa_group_segment_fixed_size 0
		.amdhsa_private_segment_fixed_size 0
		.amdhsa_kernarg_size 392
		.amdhsa_user_sgpr_count 2
		.amdhsa_user_sgpr_dispatch_ptr 0
		.amdhsa_user_sgpr_queue_ptr 0
		.amdhsa_user_sgpr_kernarg_segment_ptr 1
		.amdhsa_user_sgpr_dispatch_id 0
		.amdhsa_user_sgpr_kernarg_preload_length 0
		.amdhsa_user_sgpr_kernarg_preload_offset 0
		.amdhsa_user_sgpr_private_segment_size 0
		.amdhsa_wavefront_size32 1
		.amdhsa_uses_dynamic_stack 0
		.amdhsa_enable_private_segment 0
		.amdhsa_system_sgpr_workgroup_id_x 1
		.amdhsa_system_sgpr_workgroup_id_y 0
		.amdhsa_system_sgpr_workgroup_id_z 0
		.amdhsa_system_sgpr_workgroup_info 0
		.amdhsa_system_vgpr_workitem_id 0
		.amdhsa_next_free_vgpr 46
		.amdhsa_next_free_sgpr 44
		.amdhsa_named_barrier_count 0
		.amdhsa_reserve_vcc 1
		.amdhsa_float_round_mode_32 0
		.amdhsa_float_round_mode_16_64 0
		.amdhsa_float_denorm_mode_32 3
		.amdhsa_float_denorm_mode_16_64 3
		.amdhsa_fp16_overflow 0
		.amdhsa_memory_ordered 1
		.amdhsa_forward_progress 1
		.amdhsa_inst_pref_size 43
		.amdhsa_round_robin_scheduling 0
		.amdhsa_exception_fp_ieee_invalid_op 0
		.amdhsa_exception_fp_denorm_src 0
		.amdhsa_exception_fp_ieee_div_zero 0
		.amdhsa_exception_fp_ieee_overflow 0
		.amdhsa_exception_fp_ieee_underflow 0
		.amdhsa_exception_fp_ieee_inexact 0
		.amdhsa_exception_int_div_zero 0
	.end_amdhsa_kernel
	.section	.text._ZN2at6native12_GLOBAL__N_130segment_reduce_backward_kernelIN3c108BFloat16EiEEvNS0_13ReductionTypeEPT_PKS6_S9_S9_PKT0_SC_llS6_lllllll,"axG",@progbits,_ZN2at6native12_GLOBAL__N_130segment_reduce_backward_kernelIN3c108BFloat16EiEEvNS0_13ReductionTypeEPT_PKS6_S9_S9_PKT0_SC_llS6_lllllll,comdat
.Lfunc_end2:
	.size	_ZN2at6native12_GLOBAL__N_130segment_reduce_backward_kernelIN3c108BFloat16EiEEvNS0_13ReductionTypeEPT_PKS6_S9_S9_PKT0_SC_llS6_lllllll, .Lfunc_end2-_ZN2at6native12_GLOBAL__N_130segment_reduce_backward_kernelIN3c108BFloat16EiEEvNS0_13ReductionTypeEPT_PKS6_S9_S9_PKT0_SC_llS6_lllllll
                                        ; -- End function
	.set _ZN2at6native12_GLOBAL__N_130segment_reduce_backward_kernelIN3c108BFloat16EiEEvNS0_13ReductionTypeEPT_PKS6_S9_S9_PKT0_SC_llS6_lllllll.num_vgpr, 46
	.set _ZN2at6native12_GLOBAL__N_130segment_reduce_backward_kernelIN3c108BFloat16EiEEvNS0_13ReductionTypeEPT_PKS6_S9_S9_PKT0_SC_llS6_lllllll.num_agpr, 0
	.set _ZN2at6native12_GLOBAL__N_130segment_reduce_backward_kernelIN3c108BFloat16EiEEvNS0_13ReductionTypeEPT_PKS6_S9_S9_PKT0_SC_llS6_lllllll.numbered_sgpr, 44
	.set _ZN2at6native12_GLOBAL__N_130segment_reduce_backward_kernelIN3c108BFloat16EiEEvNS0_13ReductionTypeEPT_PKS6_S9_S9_PKT0_SC_llS6_lllllll.num_named_barrier, 0
	.set _ZN2at6native12_GLOBAL__N_130segment_reduce_backward_kernelIN3c108BFloat16EiEEvNS0_13ReductionTypeEPT_PKS6_S9_S9_PKT0_SC_llS6_lllllll.private_seg_size, 0
	.set _ZN2at6native12_GLOBAL__N_130segment_reduce_backward_kernelIN3c108BFloat16EiEEvNS0_13ReductionTypeEPT_PKS6_S9_S9_PKT0_SC_llS6_lllllll.uses_vcc, 1
	.set _ZN2at6native12_GLOBAL__N_130segment_reduce_backward_kernelIN3c108BFloat16EiEEvNS0_13ReductionTypeEPT_PKS6_S9_S9_PKT0_SC_llS6_lllllll.uses_flat_scratch, 0
	.set _ZN2at6native12_GLOBAL__N_130segment_reduce_backward_kernelIN3c108BFloat16EiEEvNS0_13ReductionTypeEPT_PKS6_S9_S9_PKT0_SC_llS6_lllllll.has_dyn_sized_stack, 0
	.set _ZN2at6native12_GLOBAL__N_130segment_reduce_backward_kernelIN3c108BFloat16EiEEvNS0_13ReductionTypeEPT_PKS6_S9_S9_PKT0_SC_llS6_lllllll.has_recursion, 0
	.set _ZN2at6native12_GLOBAL__N_130segment_reduce_backward_kernelIN3c108BFloat16EiEEvNS0_13ReductionTypeEPT_PKS6_S9_S9_PKT0_SC_llS6_lllllll.has_indirect_call, 0
	.section	.AMDGPU.csdata,"",@progbits
; Kernel info:
; codeLenInByte = 5472
; TotalNumSgprs: 46
; NumVgprs: 46
; ScratchSize: 0
; MemoryBound: 0
; FloatMode: 240
; IeeeMode: 1
; LDSByteSize: 0 bytes/workgroup (compile time only)
; SGPRBlocks: 0
; VGPRBlocks: 2
; NumSGPRsForWavesPerEU: 46
; NumVGPRsForWavesPerEU: 46
; NamedBarCnt: 0
; Occupancy: 16
; WaveLimiterHint : 1
; COMPUTE_PGM_RSRC2:SCRATCH_EN: 0
; COMPUTE_PGM_RSRC2:USER_SGPR: 2
; COMPUTE_PGM_RSRC2:TRAP_HANDLER: 0
; COMPUTE_PGM_RSRC2:TGID_X_EN: 1
; COMPUTE_PGM_RSRC2:TGID_Y_EN: 0
; COMPUTE_PGM_RSRC2:TGID_Z_EN: 0
; COMPUTE_PGM_RSRC2:TIDIG_COMP_CNT: 0
	.section	.text._ZN2at6native12_GLOBAL__N_130segment_reduce_backward_kernelIN3c104HalfEiEEvNS0_13ReductionTypeEPT_PKS6_S9_S9_PKT0_SC_llS6_lllllll,"axG",@progbits,_ZN2at6native12_GLOBAL__N_130segment_reduce_backward_kernelIN3c104HalfEiEEvNS0_13ReductionTypeEPT_PKS6_S9_S9_PKT0_SC_llS6_lllllll,comdat
	.globl	_ZN2at6native12_GLOBAL__N_130segment_reduce_backward_kernelIN3c104HalfEiEEvNS0_13ReductionTypeEPT_PKS6_S9_S9_PKT0_SC_llS6_lllllll ; -- Begin function _ZN2at6native12_GLOBAL__N_130segment_reduce_backward_kernelIN3c104HalfEiEEvNS0_13ReductionTypeEPT_PKS6_S9_S9_PKT0_SC_llS6_lllllll
	.p2align	8
	.type	_ZN2at6native12_GLOBAL__N_130segment_reduce_backward_kernelIN3c104HalfEiEEvNS0_13ReductionTypeEPT_PKS6_S9_S9_PKT0_SC_llS6_lllllll,@function
_ZN2at6native12_GLOBAL__N_130segment_reduce_backward_kernelIN3c104HalfEiEEvNS0_13ReductionTypeEPT_PKS6_S9_S9_PKT0_SC_llS6_lllllll: ; @_ZN2at6native12_GLOBAL__N_130segment_reduce_backward_kernelIN3c104HalfEiEEvNS0_13ReductionTypeEPT_PKS6_S9_S9_PKT0_SC_llS6_lllllll
; %bb.0:
	s_clause 0x2
	s_load_b32 s2, s[0:1], 0x94
	s_load_b512 s[4:19], s[0:1], 0x8
	s_load_b256 s[20:27], s[0:1], 0x50
	s_bfe_u32 s3, ttmp6, 0x4000c
	v_mov_b32_e32 v2, 0
	s_add_co_i32 s3, s3, 1
	s_and_b32 s28, ttmp6, 15
	s_mul_i32 s3, ttmp9, s3
	s_getreg_b32 s29, hwreg(HW_REG_IB_STS2, 6, 4)
	v_mov_b32_e32 v1, v2
	s_add_co_i32 s28, s28, s3
	s_wait_kmcnt 0x0
	s_and_b32 s2, s2, 0xffff
	s_cmp_eq_u32 s29, 0
	s_cselect_b32 s3, ttmp9, s28
	s_delay_alu instid0(SALU_CYCLE_1) | instskip(SKIP_1) | instid1(SALU_CYCLE_1)
	v_mad_nc_u64_u32 v[0:1], s2, s3, v[0:1]
	s_mul_u64 s[2:3], s[20:21], s[16:17]
	s_mul_u64 s[2:3], s[2:3], s[22:23]
	s_delay_alu instid0(VALU_DEP_1) | instid1(SALU_CYCLE_1)
	v_cmp_gt_i64_e32 vcc_lo, s[2:3], v[0:1]
	s_and_saveexec_b32 s2, vcc_lo
	s_cbranch_execz .LBB3_79
; %bb.1:
	v_or_b32_e32 v3, s23, v1
	s_delay_alu instid0(VALU_DEP_1) | instskip(SKIP_1) | instid1(SALU_CYCLE_1)
	v_cmp_ne_u64_e32 vcc_lo, 0, v[2:3]
                                        ; implicit-def: $vgpr2_vgpr3
	s_and_saveexec_b32 s2, vcc_lo
	s_xor_b32 s3, exec_lo, s2
	s_cbranch_execz .LBB3_3
; %bb.2:
	s_ashr_i32 s20, s23, 31
	s_mov_b32 s39, 0
	s_mov_b32 s21, s20
	v_dual_mov_b32 v7, 0 :: v_dual_ashrrev_i32 v2, 31, v1
	s_add_nc_u64 s[28:29], s[22:23], s[20:21]
	s_delay_alu instid0(SALU_CYCLE_1) | instskip(NEXT) | instid1(VALU_DEP_1)
	s_xor_b64 s[28:29], s[28:29], s[20:21]
	v_mov_b32_e32 v3, v2
	s_cvt_f32_u32 s2, s28
	s_cvt_f32_u32 s21, s29
	s_sub_nc_u64 s[34:35], 0, s[28:29]
	s_delay_alu instid0(VALU_DEP_1) | instskip(NEXT) | instid1(SALU_CYCLE_1)
	v_add_nc_u64_e32 v[4:5], v[0:1], v[2:3]
	s_fmamk_f32 s2, s21, 0x4f800000, s2
	v_mov_b32_e32 v9, v7
	s_delay_alu instid0(SALU_CYCLE_2) | instskip(NEXT) | instid1(VALU_DEP_2)
	v_s_rcp_f32 s2, s2
	v_xor_b32_e32 v6, v4, v2
	s_delay_alu instid0(VALU_DEP_3) | instskip(SKIP_1) | instid1(TRANS32_DEP_1)
	v_dual_mov_b32 v15, v7 :: v_dual_bitop2_b32 v8, v5, v2 bitop3:0x14
	v_xor_b32_e32 v2, s20, v2
	s_mul_f32 s2, s2, 0x5f7ffffc
	s_delay_alu instid0(SALU_CYCLE_3) | instskip(NEXT) | instid1(SALU_CYCLE_3)
	s_mul_f32 s21, s2, 0x2f800000
	s_trunc_f32 s21, s21
	s_delay_alu instid0(SALU_CYCLE_3) | instskip(SKIP_1) | instid1(SALU_CYCLE_2)
	s_fmamk_f32 s2, s21, 0xcf800000, s2
	s_cvt_u32_f32 s31, s21
	s_cvt_u32_f32 s30, s2
	s_delay_alu instid0(SALU_CYCLE_3) | instskip(NEXT) | instid1(SALU_CYCLE_1)
	s_mul_u64 s[36:37], s[34:35], s[30:31]
	s_mul_hi_u32 s41, s30, s37
	s_mul_i32 s40, s30, s37
	s_mul_hi_u32 s38, s30, s36
	s_mul_i32 s21, s31, s36
	s_add_nc_u64 s[40:41], s[38:39], s[40:41]
	s_mul_hi_u32 s2, s31, s36
	s_mul_hi_u32 s33, s31, s37
	s_add_co_u32 s21, s40, s21
	s_add_co_ci_u32 s38, s41, s2
	s_mul_i32 s36, s31, s37
	s_add_co_ci_u32 s37, s33, 0
	s_delay_alu instid0(SALU_CYCLE_1) | instskip(NEXT) | instid1(SALU_CYCLE_1)
	s_add_nc_u64 s[36:37], s[38:39], s[36:37]
	s_add_co_u32 s30, s30, s36
	s_cselect_b32 s2, -1, 0
	s_delay_alu instid0(SALU_CYCLE_1) | instskip(SKIP_1) | instid1(SALU_CYCLE_1)
	s_cmp_lg_u32 s2, 0
	s_add_co_ci_u32 s31, s31, s37
	s_mul_u64 s[34:35], s[34:35], s[30:31]
	s_delay_alu instid0(SALU_CYCLE_1)
	s_mul_hi_u32 s37, s30, s35
	s_mul_i32 s36, s30, s35
	s_mul_hi_u32 s38, s30, s34
	s_mul_i32 s21, s31, s34
	s_add_nc_u64 s[36:37], s[38:39], s[36:37]
	s_mul_hi_u32 s2, s31, s34
	s_mul_hi_u32 s33, s31, s35
	s_add_co_u32 s21, s36, s21
	s_add_co_ci_u32 s38, s37, s2
	s_mul_i32 s34, s31, s35
	s_add_co_ci_u32 s35, s33, 0
	s_delay_alu instid0(SALU_CYCLE_1) | instskip(NEXT) | instid1(SALU_CYCLE_1)
	s_add_nc_u64 s[34:35], s[38:39], s[34:35]
	s_add_co_u32 s2, s30, s34
	s_cselect_b32 s21, -1, 0
	v_mul_hi_u32 v14, v6, s2
	s_cmp_lg_u32 s21, 0
	s_add_co_ci_u32 s38, s31, s35
	s_mov_b64 s[30:31], 0xffffffff
	v_mul_u64_e32 v[10:11], s[38:39], v[6:7]
	s_and_b64 s[30:31], s[2:3], s[30:31]
	v_mul_u64_e32 v[12:13], s[38:39], v[8:9]
	v_mul_u64_e32 v[4:5], s[30:31], v[8:9]
	s_delay_alu instid0(VALU_DEP_3) | instskip(NEXT) | instid1(VALU_DEP_1)
	v_add_nc_u64_e32 v[10:11], v[14:15], v[10:11]
	v_add_co_u32 v3, vcc_lo, v10, v4
	s_delay_alu instid0(VALU_DEP_2) | instskip(SKIP_1) | instid1(VALU_DEP_1)
	v_add_co_ci_u32_e32 v14, vcc_lo, v11, v5, vcc_lo
	v_add_co_ci_u32_e32 v13, vcc_lo, 0, v13, vcc_lo
	v_add_nc_u64_e32 v[4:5], v[14:15], v[12:13]
	s_delay_alu instid0(VALU_DEP_1) | instskip(NEXT) | instid1(VALU_DEP_1)
	v_mul_u64_e32 v[10:11], s[28:29], v[4:5]
	v_sub_nc_u32_e32 v3, v8, v11
	s_delay_alu instid0(VALU_DEP_2) | instskip(NEXT) | instid1(VALU_DEP_1)
	v_sub_co_u32 v6, vcc_lo, v6, v10
	v_sub_co_ci_u32_e64 v10, null, v8, v11, vcc_lo
	s_delay_alu instid0(VALU_DEP_3) | instskip(NEXT) | instid1(VALU_DEP_3)
	v_subrev_co_ci_u32_e64 v3, null, s29, v3, vcc_lo
	v_sub_co_u32 v7, s2, v6, s28
	s_delay_alu instid0(VALU_DEP_1) | instskip(NEXT) | instid1(VALU_DEP_2)
	v_subrev_co_ci_u32_e64 v3, null, 0, v3, s2
	v_cmp_le_u32_e32 vcc_lo, s28, v7
	v_cndmask_b32_e64 v7, 0, -1, vcc_lo
	s_delay_alu instid0(VALU_DEP_3)
	v_cmp_le_u32_e32 vcc_lo, s29, v3
	v_cndmask_b32_e64 v8, 0, -1, vcc_lo
	v_cmp_le_u32_e32 vcc_lo, s28, v6
	v_cndmask_b32_e64 v11, 0, -1, vcc_lo
	v_cmp_le_u32_e32 vcc_lo, s29, v10
	v_cndmask_b32_e64 v12, 0, -1, vcc_lo
	v_cmp_eq_u32_e32 vcc_lo, s29, v3
	v_cndmask_b32_e32 v3, v8, v7, vcc_lo
	v_cmp_eq_u32_e32 vcc_lo, s29, v10
	v_add_nc_u64_e32 v[6:7], 2, v[4:5]
	v_add_nc_u64_e32 v[8:9], 1, v[4:5]
	v_cndmask_b32_e32 v10, v12, v11, vcc_lo
	v_cmp_ne_u32_e32 vcc_lo, 0, v3
	s_delay_alu instid0(VALU_DEP_2) | instskip(NEXT) | instid1(VALU_DEP_4)
	v_cmp_ne_u32_e64 s2, 0, v10
	v_dual_cndmask_b32 v6, v8, v6 :: v_dual_cndmask_b32 v3, v9, v7
	s_delay_alu instid0(VALU_DEP_1) | instskip(NEXT) | instid1(VALU_DEP_1)
	v_dual_cndmask_b32 v4, v4, v6, s2 :: v_dual_cndmask_b32 v5, v5, v3, s2
	v_dual_mov_b32 v3, v2 :: v_dual_bitop2_b32 v4, v4, v2 bitop3:0x14
	s_delay_alu instid0(VALU_DEP_2) | instskip(NEXT) | instid1(VALU_DEP_1)
	v_xor_b32_e32 v5, v5, v2
	v_sub_nc_u64_e32 v[2:3], v[4:5], v[2:3]
.LBB3_3:
	s_and_not1_saveexec_b32 s2, s3
	s_cbranch_execz .LBB3_5
; %bb.4:
	v_cvt_f32_u32_e32 v2, s22
	s_sub_co_i32 s3, 0, s22
	s_delay_alu instid0(VALU_DEP_1) | instskip(SKIP_1) | instid1(TRANS32_DEP_1)
	v_rcp_iflag_f32_e32 v2, v2
	v_nop
	v_mul_f32_e32 v2, 0x4f7ffffe, v2
	s_delay_alu instid0(VALU_DEP_1) | instskip(NEXT) | instid1(VALU_DEP_1)
	v_cvt_u32_f32_e32 v2, v2
	v_mul_lo_u32 v3, s3, v2
	s_delay_alu instid0(VALU_DEP_1) | instskip(NEXT) | instid1(VALU_DEP_1)
	v_mul_hi_u32 v3, v2, v3
	v_add_nc_u32_e32 v2, v2, v3
	s_delay_alu instid0(VALU_DEP_1) | instskip(NEXT) | instid1(VALU_DEP_1)
	v_mul_hi_u32 v2, v0, v2
	v_mul_lo_u32 v3, v2, s22
	s_delay_alu instid0(VALU_DEP_1) | instskip(NEXT) | instid1(VALU_DEP_1)
	v_dual_add_nc_u32 v4, 1, v2 :: v_dual_sub_nc_u32 v3, v0, v3
	v_subrev_nc_u32_e32 v5, s22, v3
	v_cmp_le_u32_e32 vcc_lo, s22, v3
	s_delay_alu instid0(VALU_DEP_2) | instskip(NEXT) | instid1(VALU_DEP_1)
	v_dual_cndmask_b32 v3, v3, v5 :: v_dual_cndmask_b32 v2, v2, v4
	v_cmp_le_u32_e32 vcc_lo, s22, v3
	s_delay_alu instid0(VALU_DEP_2) | instskip(NEXT) | instid1(VALU_DEP_1)
	v_dual_mov_b32 v3, 0 :: v_dual_add_nc_u32 v4, 1, v2
	v_cndmask_b32_e32 v2, v2, v4, vcc_lo
.LBB3_5:
	s_or_b32 exec_lo, exec_lo, s2
	s_delay_alu instid0(VALU_DEP_1) | instskip(SKIP_1) | instid1(VALU_DEP_1)
	v_dual_mov_b32 v6, 0 :: v_dual_bitop2_b32 v7, s17, v3 bitop3:0x54
                                        ; implicit-def: $vgpr4_vgpr5
	s_mov_b32 s2, exec_lo
	v_cmpx_ne_u64_e32 0, v[6:7]
	s_xor_b32 s3, exec_lo, s2
	s_cbranch_execz .LBB3_7
; %bb.6:
	s_ashr_i32 s20, s17, 31
	s_mov_b32 s39, 0
	s_mov_b32 s21, s20
	v_dual_mov_b32 v11, v6 :: v_dual_ashrrev_i32 v4, 31, v3
	s_add_nc_u64 s[28:29], s[16:17], s[20:21]
	v_mov_b32_e32 v13, v6
	s_xor_b64 s[28:29], s[28:29], s[20:21]
	s_delay_alu instid0(VALU_DEP_2)
	v_mov_b32_e32 v5, v4
	s_cvt_f32_u32 s2, s28
	s_cvt_f32_u32 s21, s29
	s_sub_nc_u64 s[34:35], 0, s[28:29]
	v_mov_b32_e32 v19, v6
	v_add_nc_u64_e32 v[8:9], v[2:3], v[4:5]
	s_fmamk_f32 s2, s21, 0x4f800000, s2
	v_mov_b32_e32 v7, v6
	s_delay_alu instid0(SALU_CYCLE_2) | instskip(NEXT) | instid1(VALU_DEP_2)
	v_s_rcp_f32 s2, s2
	v_xor_b32_e32 v10, v8, v4
	s_delay_alu instid0(VALU_DEP_3) | instskip(SKIP_1) | instid1(TRANS32_DEP_1)
	v_xor_b32_e32 v12, v9, v4
	v_xor_b32_e32 v4, s20, v4
	s_mul_f32 s2, s2, 0x5f7ffffc
	s_delay_alu instid0(SALU_CYCLE_3) | instskip(NEXT) | instid1(SALU_CYCLE_3)
	s_mul_f32 s21, s2, 0x2f800000
	s_trunc_f32 s21, s21
	s_delay_alu instid0(SALU_CYCLE_3) | instskip(SKIP_1) | instid1(SALU_CYCLE_2)
	s_fmamk_f32 s2, s21, 0xcf800000, s2
	s_cvt_u32_f32 s31, s21
	s_cvt_u32_f32 s30, s2
	s_delay_alu instid0(SALU_CYCLE_3) | instskip(NEXT) | instid1(SALU_CYCLE_1)
	s_mul_u64 s[36:37], s[34:35], s[30:31]
	s_mul_hi_u32 s41, s30, s37
	s_mul_i32 s40, s30, s37
	s_mul_hi_u32 s38, s30, s36
	s_mul_i32 s21, s31, s36
	s_add_nc_u64 s[40:41], s[38:39], s[40:41]
	s_mul_hi_u32 s2, s31, s36
	s_mul_hi_u32 s33, s31, s37
	s_add_co_u32 s21, s40, s21
	s_add_co_ci_u32 s38, s41, s2
	s_mul_i32 s36, s31, s37
	s_add_co_ci_u32 s37, s33, 0
	s_delay_alu instid0(SALU_CYCLE_1) | instskip(NEXT) | instid1(SALU_CYCLE_1)
	s_add_nc_u64 s[36:37], s[38:39], s[36:37]
	s_add_co_u32 s30, s30, s36
	s_cselect_b32 s2, -1, 0
	s_delay_alu instid0(SALU_CYCLE_1) | instskip(SKIP_1) | instid1(SALU_CYCLE_1)
	s_cmp_lg_u32 s2, 0
	s_add_co_ci_u32 s31, s31, s37
	s_mul_u64 s[34:35], s[34:35], s[30:31]
	s_delay_alu instid0(SALU_CYCLE_1)
	s_mul_hi_u32 s37, s30, s35
	s_mul_i32 s36, s30, s35
	s_mul_hi_u32 s38, s30, s34
	s_mul_i32 s21, s31, s34
	s_add_nc_u64 s[36:37], s[38:39], s[36:37]
	s_mul_hi_u32 s2, s31, s34
	s_mul_hi_u32 s33, s31, s35
	s_add_co_u32 s21, s36, s21
	s_add_co_ci_u32 s38, s37, s2
	s_mul_i32 s34, s31, s35
	s_add_co_ci_u32 s35, s33, 0
	s_delay_alu instid0(SALU_CYCLE_1) | instskip(NEXT) | instid1(SALU_CYCLE_1)
	s_add_nc_u64 s[34:35], s[38:39], s[34:35]
	s_add_co_u32 s2, s30, s34
	s_cselect_b32 s21, -1, 0
	v_mul_hi_u32 v18, v10, s2
	s_cmp_lg_u32 s21, 0
	s_add_co_ci_u32 s38, s31, s35
	s_mov_b64 s[30:31], 0xffffffff
	v_mul_u64_e32 v[14:15], s[38:39], v[10:11]
	s_and_b64 s[30:31], s[2:3], s[30:31]
	v_mul_u64_e32 v[16:17], s[38:39], v[12:13]
	v_mul_u64_e32 v[8:9], s[30:31], v[12:13]
	s_delay_alu instid0(VALU_DEP_3) | instskip(NEXT) | instid1(VALU_DEP_1)
	v_add_nc_u64_e32 v[14:15], v[18:19], v[14:15]
	v_add_co_u32 v5, vcc_lo, v14, v8
	s_delay_alu instid0(VALU_DEP_2) | instskip(SKIP_1) | instid1(VALU_DEP_1)
	v_add_co_ci_u32_e32 v6, vcc_lo, v15, v9, vcc_lo
	v_add_co_ci_u32_e32 v17, vcc_lo, 0, v17, vcc_lo
	v_add_nc_u64_e32 v[6:7], v[6:7], v[16:17]
	s_delay_alu instid0(VALU_DEP_1) | instskip(NEXT) | instid1(VALU_DEP_1)
	v_mul_u64_e32 v[8:9], s[28:29], v[6:7]
	v_sub_nc_u32_e32 v5, v12, v9
	s_delay_alu instid0(VALU_DEP_2) | instskip(NEXT) | instid1(VALU_DEP_1)
	v_sub_co_u32 v8, vcc_lo, v10, v8
	v_sub_co_ci_u32_e64 v12, null, v12, v9, vcc_lo
	s_delay_alu instid0(VALU_DEP_3) | instskip(NEXT) | instid1(VALU_DEP_3)
	v_subrev_co_ci_u32_e64 v5, null, s29, v5, vcc_lo
	v_sub_co_u32 v10, s2, v8, s28
	s_delay_alu instid0(VALU_DEP_1) | instskip(NEXT) | instid1(VALU_DEP_2)
	v_subrev_co_ci_u32_e64 v5, null, 0, v5, s2
	v_cmp_le_u32_e32 vcc_lo, s28, v10
	v_cndmask_b32_e64 v9, 0, -1, vcc_lo
	s_delay_alu instid0(VALU_DEP_3)
	v_cmp_le_u32_e32 vcc_lo, s29, v5
	v_cndmask_b32_e64 v10, 0, -1, vcc_lo
	v_cmp_le_u32_e32 vcc_lo, s28, v8
	v_cndmask_b32_e64 v13, 0, -1, vcc_lo
	;; [unrolled: 2-line block ×3, first 2 shown]
	v_cmp_eq_u32_e32 vcc_lo, s29, v5
	v_cndmask_b32_e32 v5, v10, v9, vcc_lo
	v_cmp_eq_u32_e32 vcc_lo, s29, v12
	v_add_nc_u64_e32 v[8:9], 2, v[6:7]
	v_add_nc_u64_e32 v[10:11], 1, v[6:7]
	v_cndmask_b32_e32 v12, v14, v13, vcc_lo
	v_cmp_ne_u32_e32 vcc_lo, 0, v5
	s_delay_alu instid0(VALU_DEP_2) | instskip(NEXT) | instid1(VALU_DEP_4)
	v_cmp_ne_u32_e64 s2, 0, v12
	v_dual_cndmask_b32 v8, v10, v8 :: v_dual_cndmask_b32 v5, v11, v9
	s_delay_alu instid0(VALU_DEP_1) | instskip(NEXT) | instid1(VALU_DEP_1)
	v_dual_cndmask_b32 v6, v6, v8, s2 :: v_dual_cndmask_b32 v7, v7, v5, s2
	v_dual_mov_b32 v5, v4 :: v_dual_bitop2_b32 v6, v6, v4 bitop3:0x14
	s_delay_alu instid0(VALU_DEP_2) | instskip(NEXT) | instid1(VALU_DEP_1)
	v_xor_b32_e32 v7, v7, v4
	v_sub_nc_u64_e32 v[4:5], v[6:7], v[4:5]
.LBB3_7:
	s_and_not1_saveexec_b32 s2, s3
	s_cbranch_execz .LBB3_9
; %bb.8:
	v_cvt_f32_u32_e32 v4, s16
	s_sub_co_i32 s3, 0, s16
	s_delay_alu instid0(VALU_DEP_1) | instskip(SKIP_1) | instid1(TRANS32_DEP_1)
	v_rcp_iflag_f32_e32 v4, v4
	v_nop
	v_mul_f32_e32 v4, 0x4f7ffffe, v4
	s_delay_alu instid0(VALU_DEP_1) | instskip(NEXT) | instid1(VALU_DEP_1)
	v_cvt_u32_f32_e32 v4, v4
	v_mul_lo_u32 v5, s3, v4
	s_delay_alu instid0(VALU_DEP_1) | instskip(NEXT) | instid1(VALU_DEP_1)
	v_mul_hi_u32 v5, v4, v5
	v_add_nc_u32_e32 v4, v4, v5
	s_delay_alu instid0(VALU_DEP_1) | instskip(NEXT) | instid1(VALU_DEP_1)
	v_mul_hi_u32 v4, v2, v4
	v_mul_lo_u32 v5, v4, s16
	s_delay_alu instid0(VALU_DEP_1) | instskip(NEXT) | instid1(VALU_DEP_1)
	v_dual_add_nc_u32 v6, 1, v4 :: v_dual_sub_nc_u32 v5, v2, v5
	v_subrev_nc_u32_e32 v7, s16, v5
	v_cmp_le_u32_e32 vcc_lo, s16, v5
	s_delay_alu instid0(VALU_DEP_2) | instskip(NEXT) | instid1(VALU_DEP_1)
	v_dual_cndmask_b32 v5, v5, v7 :: v_dual_cndmask_b32 v4, v4, v6
	v_cmp_le_u32_e32 vcc_lo, s16, v5
	s_delay_alu instid0(VALU_DEP_2) | instskip(NEXT) | instid1(VALU_DEP_1)
	v_dual_mov_b32 v5, 0 :: v_dual_add_nc_u32 v6, 1, v4
	v_cndmask_b32_e32 v4, v4, v6, vcc_lo
.LBB3_9:
	s_or_b32 exec_lo, exec_lo, s2
	s_delay_alu instid0(VALU_DEP_1) | instskip(NEXT) | instid1(VALU_DEP_1)
	v_mul_u64_e32 v[6:7], s[16:17], v[4:5]
	v_mul_u64_e32 v[8:9], s[18:19], v[6:7]
	v_sub_nc_u64_e32 v[6:7], v[2:3], v[6:7]
	s_delay_alu instid0(VALU_DEP_2) | instskip(NEXT) | instid1(VALU_DEP_1)
	v_lshl_add_u64 v[8:9], v[8:9], 2, s[12:13]
	v_lshl_add_u64 v[8:9], v[6:7], 2, v[8:9]
	global_load_b32 v30, v[8:9], off
	s_wait_loadcnt 0x0
	v_cmp_ne_u32_e32 vcc_lo, 0, v30
	s_and_b32 exec_lo, exec_lo, vcc_lo
	s_cbranch_execz .LBB3_79
; %bb.10:
	s_load_b256 s[36:43], s[0:1], 0x70
	s_add_nc_u64 s[2:3], s[16:17], 1
	v_mul_u64_e32 v[2:3], s[22:23], v[2:3]
	s_wait_kmcnt 0x0
	s_mul_u64 s[2:3], s[40:41], s[2:3]
	v_mad_nc_u64_u32 v[12:13], v4, s38, v[6:7]
	v_mul_u64_e32 v[8:9], s[2:3], v[4:5]
	s_delay_alu instid0(VALU_DEP_1) | instskip(SKIP_1) | instid1(VALU_DEP_1)
	v_lshl_add_u64 v[8:9], v[8:9], 2, s[14:15]
	s_load_b32 s14, s[0:1], 0x0
	v_lshl_add_u64 v[8:9], v[6:7], 2, v[8:9]
	v_sub_nc_u64_e32 v[6:7], v[0:1], v[2:3]
	global_load_b64 v[10:11], v[8:9], off
	s_wait_xcnt 0x0
	v_mad_u32 v8, v5, s38, v13
	s_wait_kmcnt 0x0
	s_and_b32 s2, s14, -3
	s_delay_alu instid0(VALU_DEP_1) | instskip(SKIP_2) | instid1(VALU_DEP_1)
	v_mad_u32 v13, v4, s39, v8
	v_mad_nc_u64_u32 v[8:9], v12, s36, v[6:7]
	s_cmp_lg_u32 s2, 0
	v_mad_u32 v9, v13, s36, v9
	s_delay_alu instid0(VALU_DEP_1)
	v_mad_u32 v9, v12, s37, v9
	s_cbranch_scc0 .LBB3_25
; %bb.11:
	s_cmp_lt_i32 s14, 3
	s_mov_b32 s2, -1
	s_cbranch_scc1 .LBB3_39
; %bb.12:
	s_cmp_lt_i32 s14, 4
	s_cbranch_scc1 .LBB3_28
; %bb.13:
	s_cmp_eq_u32 s14, 4
	s_cbranch_scc0 .LBB3_27
; %bb.14:
	s_mov_b32 s15, exec_lo
	s_wait_loadcnt 0x0
	v_cmpx_lt_i32_e64 v10, v11
	s_cbranch_execz .LBB3_26
; %bb.15:
	v_lshlrev_b64_e32 v[14:15], 1, v[8:9]
	v_mul_u64_e32 v[18:19], s[26:27], v[4:5]
	v_lshlrev_b64_e32 v[20:21], 1, v[0:1]
	s_load_b32 s16, s[0:1], 0x48
	s_wait_xcnt 0x0
	s_lshl_b64 s[0:1], s[24:25], 1
	s_mov_b64 s[2:3], 0
	s_mov_b32 s17, 0
	v_add_nc_u64_e32 v[12:13], s[6:7], v[14:15]
	v_add_nc_u64_e32 v[14:15], s[8:9], v[14:15]
	global_load_u16 v24, v[12:13], off
	global_load_u16 v25, v[14:15], off
	s_wait_xcnt 0x0
	v_dual_mov_b32 v14, v10 :: v_dual_ashrrev_i32 v15, 31, v10
	s_delay_alu instid0(VALU_DEP_1) | instskip(NEXT) | instid1(VALU_DEP_1)
	v_lshlrev_b64_e32 v[16:17], 1, v[14:15]
	v_lshl_add_u64 v[22:23], v[18:19], 1, v[16:17]
	v_mad_nc_u64_u32 v[16:17], v18, s24, v[6:7]
	s_delay_alu instid0(VALU_DEP_2) | instskip(NEXT) | instid1(VALU_DEP_2)
	v_mad_nc_u64_u32 v[20:21], s24, v22, v[20:21]
	v_mad_u32 v17, v19, s24, v17
	v_ashrrev_i32_e32 v19, 31, v11
	s_delay_alu instid0(VALU_DEP_3) | instskip(NEXT) | instid1(VALU_DEP_3)
	v_mad_u32 v21, s25, v22, v21
	v_mad_u32 v17, v18, s25, v17
	v_mov_b32_e32 v18, v11
	s_delay_alu instid0(VALU_DEP_3) | instskip(SKIP_1) | instid1(VALU_DEP_1)
	v_mad_u32 v21, s24, v23, v21
	v_lshlrev_b64_e32 v[22:23], 1, v[2:3]
	v_sub_nc_u64_e32 v[20:21], v[20:21], v[22:23]
	v_mov_b64_e32 v[22:23], v[14:15]
	s_delay_alu instid0(VALU_DEP_2) | instskip(SKIP_2) | instid1(VALU_DEP_1)
	v_add_nc_u64_e32 v[20:21], s[10:11], v[20:21]
	s_wait_loadcnt 0x0
	v_mul_f16_e32 v31, v24, v25
	v_cvt_f32_f16_e32 v32, v31
	s_branch .LBB3_18
.LBB3_16:                               ;   in Loop: Header=BB3_18 Depth=1
	s_or_b32 exec_lo, exec_lo, s19
	global_load_u16 v26, v[12:13], off
	s_wait_loadcnt 0x0
	v_mul_f16_e32 v26, v26, v33
.LBB3_17:                               ;   in Loop: Header=BB3_18 Depth=1
	s_wait_xcnt 0x0
	s_or_b32 exec_lo, exec_lo, s18
	v_add_nc_u64_e32 v[22:23], 1, v[22:23]
	v_lshl_add_u64 v[24:25], v[24:25], 1, s[4:5]
	s_add_nc_u64 s[2:3], s[2:3], 1
	global_store_b16 v[24:25], v26, off
	v_cmp_ge_i64_e32 vcc_lo, v[22:23], v[18:19]
	s_or_b32 s17, vcc_lo, s17
	s_wait_xcnt 0x0
	s_and_not1_b32 exec_lo, exec_lo, s17
	s_cbranch_execz .LBB3_26
.LBB3_18:                               ; =>This Loop Header: Depth=1
                                        ;     Child Loop BB3_23 Depth 2
	s_delay_alu instid0(VALU_DEP_4) | instskip(SKIP_1) | instid1(VALU_DEP_1)
	v_mad_nc_u64_u32 v[24:25], v22, s24, v[16:17]
	s_mov_b32 s12, exec_lo
	v_mad_u32 v25, v23, s24, v25
	s_delay_alu instid0(VALU_DEP_1) | instskip(NEXT) | instid1(VALU_DEP_1)
	v_mad_u32 v25, v22, s25, v25
	v_lshl_add_u64 v[26:27], v[24:25], 1, s[10:11]
	global_load_u16 v27, v[26:27], off
                                        ; implicit-def: $vgpr26
	s_wait_loadcnt 0x0
	s_wait_xcnt 0x0
	v_cmpx_lg_f16_e32 0, v27
	s_xor_b32 s12, exec_lo, s12
	s_cbranch_execz .LBB3_20
; %bb.19:                               ;   in Loop: Header=BB3_18 Depth=1
	v_cvt_f32_f16_e32 v26, v27
	s_delay_alu instid0(VALU_DEP_1) | instskip(SKIP_1) | instid1(TRANS32_DEP_1)
	v_rcp_f32_e32 v26, v26
	v_nop
	v_mul_f32_e32 v28, v32, v26
	s_delay_alu instid0(VALU_DEP_1) | instskip(NEXT) | instid1(VALU_DEP_1)
	v_fma_mix_f32 v29, -v27, v28, v31 op_sel_hi:[1,0,1]
	v_fmac_f32_e32 v28, v29, v26
	s_delay_alu instid0(VALU_DEP_1) | instskip(NEXT) | instid1(VALU_DEP_1)
	v_fma_mix_f32 v29, -v27, v28, v31 op_sel_hi:[1,0,1]
	v_mul_f32_e32 v26, v29, v26
	s_delay_alu instid0(VALU_DEP_1) | instskip(NEXT) | instid1(VALU_DEP_1)
	v_and_b32_e32 v26, 0xff800000, v26
	v_add_f32_e32 v26, v26, v28
	s_delay_alu instid0(VALU_DEP_1) | instskip(NEXT) | instid1(VALU_DEP_1)
	v_cvt_f16_f32_e32 v26, v26
	v_div_fixup_f16 v26, v26, v27, v31
.LBB3_20:                               ;   in Loop: Header=BB3_18 Depth=1
	s_and_not1_saveexec_b32 s18, s12
	s_cbranch_execz .LBB3_17
; %bb.21:                               ;   in Loop: Header=BB3_18 Depth=1
	v_mov_b64_e32 v[26:27], v[20:21]
	v_mov_b64_e32 v[28:29], v[14:15]
	s_wait_kmcnt 0x0
	v_mov_b32_e32 v33, s16
	s_mov_b32 s19, 0
	s_mov_b64 s[12:13], s[2:3]
	s_branch .LBB3_23
.LBB3_22:                               ;   in Loop: Header=BB3_23 Depth=2
	v_add_nc_u64_e32 v[28:29], 1, v[28:29]
	s_wait_xcnt 0x0
	v_add_nc_u64_e32 v[26:27], s[0:1], v[26:27]
	s_add_nc_u64 s[12:13], s[12:13], -1
	s_delay_alu instid0(VALU_DEP_2) | instskip(SKIP_1) | instid1(SALU_CYCLE_1)
	v_cmp_ge_i64_e32 vcc_lo, v[28:29], v[18:19]
	s_or_b32 s19, vcc_lo, s19
	s_and_not1_b32 exec_lo, exec_lo, s19
	s_cbranch_execz .LBB3_16
.LBB3_23:                               ;   Parent Loop BB3_18 Depth=1
                                        ; =>  This Inner Loop Header: Depth=2
	s_cmp_eq_u64 s[12:13], 0
	s_cbranch_scc1 .LBB3_22
; %bb.24:                               ;   in Loop: Header=BB3_23 Depth=2
	global_load_u16 v34, v[26:27], off
	s_wait_loadcnt 0x0
	v_mul_f16_e32 v33, v34, v33
	s_branch .LBB3_22
.LBB3_25:
	s_cbranch_execnz .LBB3_51
	s_branch .LBB3_79
.LBB3_26:
	s_or_b32 exec_lo, exec_lo, s15
.LBB3_27:
	s_mov_b32 s2, 0
.LBB3_28:
	s_delay_alu instid0(SALU_CYCLE_1)
	s_and_not1_b32 vcc_lo, exec_lo, s2
	s_cbranch_vccnz .LBB3_38
; %bb.29:
	s_mov_b32 s2, exec_lo
	s_wait_loadcnt 0x0
	v_cmpx_lt_i32_e64 v10, v11
	s_cbranch_execz .LBB3_37
; %bb.30:
	v_lshl_add_u64 v[12:13], v[8:9], 1, s[6:7]
	v_mul_u64_e32 v[16:17], s[26:27], v[4:5]
	v_dual_mov_b32 v14, v10 :: v_dual_ashrrev_i32 v15, 31, v10
	s_cmp_eq_u64 s[24:25], 1
	global_load_u16 v28, v[12:13], off
	s_wait_xcnt 0x0
	v_dual_mov_b32 v12, v11 :: v_dual_ashrrev_i32 v13, 31, v11
	s_cselect_b32 s0, -1, 0
	s_mov_b32 s1, -1
	s_delay_alu instid0(VALU_DEP_1) | instskip(NEXT) | instid1(VALU_DEP_1)
	v_sub_nc_u64_e32 v[18:19], v[12:13], v[14:15]
	v_cmp_lt_u64_e32 vcc_lo, 3, v[18:19]
	s_and_b32 s3, vcc_lo, s0
	s_delay_alu instid0(SALU_CYCLE_1)
	s_and_saveexec_b32 s0, s3
	s_cbranch_execz .LBB3_34
; %bb.31:
	v_mul_u64_e32 v[20:21], s[24:25], v[16:17]
	s_wait_loadcnt 0x0
	v_perm_b32 v22, v28, v28, 0x5040100
	s_mov_b32 s1, 0
	s_delay_alu instid0(VALU_DEP_1) | instskip(NEXT) | instid1(VALU_DEP_3)
	v_mov_b32_e32 v23, v22
	v_lshl_add_u64 v[24:25], v[20:21], 1, s[4:5]
	v_dual_mov_b32 v21, v19 :: v_dual_bitop2_b32 v20, -4, v18 bitop3:0x40
	s_delay_alu instid0(VALU_DEP_2) | instskip(NEXT) | instid1(VALU_DEP_2)
	v_lshl_add_u64 v[24:25], v[6:7], 1, v[24:25]
	v_mov_b64_e32 v[26:27], v[20:21]
	s_delay_alu instid0(VALU_DEP_2)
	v_lshl_add_u64 v[24:25], v[14:15], 1, v[24:25]
.LBB3_32:                               ; =>This Inner Loop Header: Depth=1
	s_delay_alu instid0(VALU_DEP_2)
	v_add_nc_u64_e32 v[26:27], -4, v[26:27]
	global_store_b64 v[24:25], v[22:23], off
	s_wait_xcnt 0x0
	v_add_nc_u64_e32 v[24:25], 8, v[24:25]
	v_cmp_eq_u64_e32 vcc_lo, 0, v[26:27]
	s_or_b32 s1, vcc_lo, s1
	s_delay_alu instid0(SALU_CYCLE_1)
	s_and_not1_b32 exec_lo, exec_lo, s1
	s_cbranch_execnz .LBB3_32
; %bb.33:
	s_or_b32 exec_lo, exec_lo, s1
	v_cmp_ne_u64_e32 vcc_lo, v[18:19], v[20:21]
	v_add_nc_u64_e32 v[14:15], v[20:21], v[14:15]
	s_or_not1_b32 s1, vcc_lo, exec_lo
.LBB3_34:
	s_or_b32 exec_lo, exec_lo, s0
	s_delay_alu instid0(SALU_CYCLE_1)
	s_and_b32 exec_lo, exec_lo, s1
	s_cbranch_execz .LBB3_37
; %bb.35:
	s_delay_alu instid0(VALU_DEP_1) | instskip(SKIP_3) | instid1(VALU_DEP_2)
	v_lshlrev_b64_e32 v[18:19], 1, v[14:15]
	v_lshlrev_b64_e32 v[20:21], 1, v[0:1]
	s_lshl_b64 s[0:1], s[24:25], 1
	s_mov_b32 s3, 0
	v_lshl_add_u64 v[16:17], v[16:17], 1, v[18:19]
	s_delay_alu instid0(VALU_DEP_1) | instskip(NEXT) | instid1(VALU_DEP_1)
	v_mad_nc_u64_u32 v[18:19], s24, v16, v[20:21]
	v_mad_u32 v16, s25, v16, v19
	s_delay_alu instid0(VALU_DEP_1) | instskip(SKIP_1) | instid1(VALU_DEP_1)
	v_mad_u32 v19, s24, v17, v16
	v_lshlrev_b64_e32 v[16:17], 1, v[2:3]
	v_sub_nc_u64_e32 v[16:17], v[18:19], v[16:17]
	s_delay_alu instid0(VALU_DEP_1)
	v_add_nc_u64_e32 v[16:17], s[4:5], v[16:17]
.LBB3_36:                               ; =>This Inner Loop Header: Depth=1
	v_add_nc_u64_e32 v[14:15], 1, v[14:15]
	s_wait_loadcnt 0x0
	global_store_b16 v[16:17], v28, off
	s_wait_xcnt 0x0
	v_add_nc_u64_e32 v[16:17], s[0:1], v[16:17]
	v_cmp_ge_i64_e32 vcc_lo, v[14:15], v[12:13]
	s_or_b32 s3, vcc_lo, s3
	s_delay_alu instid0(SALU_CYCLE_1)
	s_and_not1_b32 exec_lo, exec_lo, s3
	s_cbranch_execnz .LBB3_36
.LBB3_37:
	s_or_b32 exec_lo, exec_lo, s2
.LBB3_38:
	s_mov_b32 s2, 0
.LBB3_39:
	s_delay_alu instid0(SALU_CYCLE_1)
	s_and_not1_b32 vcc_lo, exec_lo, s2
	s_cbranch_vccnz .LBB3_50
; %bb.40:
	s_cmp_lg_u32 s14, 1
	s_cbranch_scc1 .LBB3_50
; %bb.41:
	s_mov_b32 s2, exec_lo
	s_wait_loadcnt 0x0
	v_cmpx_lt_i32_e64 v10, v11
	s_cbranch_execz .LBB3_49
; %bb.42:
	v_lshl_add_u64 v[12:13], v[8:9], 1, s[6:7]
	v_mul_u64_e32 v[16:17], s[26:27], v[4:5]
	s_cmp_eq_u64 s[24:25], 1
	s_mov_b32 s1, -1
	s_cselect_b32 s0, -1, 0
	global_load_u16 v20, v[12:13], off
	s_wait_xcnt 0x0
	v_cvt_f32_i32_e32 v12, v30
	v_ashrrev_i32_e32 v15, 31, v10
	s_delay_alu instid0(VALU_DEP_2) | instskip(NEXT) | instid1(VALU_DEP_1)
	v_cvt_f16_f32_e32 v21, v12
	v_cvt_f32_f16_e32 v12, v21
	s_delay_alu instid0(VALU_DEP_1)
	v_rcp_f32_e32 v12, v12
	s_wait_loadcnt 0x0
	v_cvt_f32_f16_e32 v13, v20
	s_delay_alu instid0(TRANS32_DEP_1) | instid1(VALU_DEP_1)
	v_mul_f32_e32 v22, v13, v12
	s_delay_alu instid0(VALU_DEP_1) | instskip(NEXT) | instid1(VALU_DEP_1)
	v_fma_mix_f32 v13, -v21, v22, v20 op_sel_hi:[1,0,1]
	v_fmac_f32_e32 v22, v13, v12
	s_delay_alu instid0(VALU_DEP_1) | instskip(NEXT) | instid1(VALU_DEP_1)
	v_fma_mix_f32 v13, -v21, v22, v20 op_sel_hi:[1,0,1]
	v_dual_mul_f32 v18, v13, v12 :: v_dual_ashrrev_i32 v13, 31, v11
	v_mov_b32_e32 v12, v11
	s_delay_alu instid0(VALU_DEP_2) | instskip(NEXT) | instid1(VALU_DEP_1)
	v_and_b32_e32 v23, 0xff800000, v18
	v_dual_mov_b32 v14, v10 :: v_dual_add_f32 v22, v23, v22
	s_delay_alu instid0(VALU_DEP_1) | instskip(NEXT) | instid1(VALU_DEP_2)
	v_sub_nc_u64_e32 v[18:19], v[12:13], v[14:15]
	v_cvt_f16_f32_e32 v22, v22
	s_delay_alu instid0(VALU_DEP_2) | instskip(NEXT) | instid1(VALU_DEP_2)
	v_cmp_lt_u64_e32 vcc_lo, 3, v[18:19]
	v_div_fixup_f16 v28, v22, v21, v20
	s_and_b32 s3, vcc_lo, s0
	s_delay_alu instid0(SALU_CYCLE_1)
	s_and_saveexec_b32 s0, s3
	s_cbranch_execz .LBB3_46
; %bb.43:
	v_mul_u64_e32 v[20:21], s[24:25], v[16:17]
	v_perm_b32 v22, v28, v28, 0x5040100
	s_mov_b32 s1, 0
	s_delay_alu instid0(VALU_DEP_1) | instskip(NEXT) | instid1(VALU_DEP_3)
	v_mov_b32_e32 v23, v22
	v_lshl_add_u64 v[24:25], v[20:21], 1, s[4:5]
	v_dual_mov_b32 v21, v19 :: v_dual_bitop2_b32 v20, -4, v18 bitop3:0x40
	s_delay_alu instid0(VALU_DEP_2) | instskip(NEXT) | instid1(VALU_DEP_2)
	v_lshl_add_u64 v[24:25], v[6:7], 1, v[24:25]
	v_mov_b64_e32 v[26:27], v[20:21]
	s_delay_alu instid0(VALU_DEP_2)
	v_lshl_add_u64 v[24:25], v[14:15], 1, v[24:25]
.LBB3_44:                               ; =>This Inner Loop Header: Depth=1
	s_delay_alu instid0(VALU_DEP_2)
	v_add_nc_u64_e32 v[26:27], -4, v[26:27]
	global_store_b64 v[24:25], v[22:23], off
	s_wait_xcnt 0x0
	v_add_nc_u64_e32 v[24:25], 8, v[24:25]
	v_cmp_eq_u64_e32 vcc_lo, 0, v[26:27]
	s_or_b32 s1, vcc_lo, s1
	s_delay_alu instid0(SALU_CYCLE_1)
	s_and_not1_b32 exec_lo, exec_lo, s1
	s_cbranch_execnz .LBB3_44
; %bb.45:
	s_or_b32 exec_lo, exec_lo, s1
	v_cmp_ne_u64_e32 vcc_lo, v[18:19], v[20:21]
	v_add_nc_u64_e32 v[14:15], v[20:21], v[14:15]
	s_or_not1_b32 s1, vcc_lo, exec_lo
.LBB3_46:
	s_or_b32 exec_lo, exec_lo, s0
	s_delay_alu instid0(SALU_CYCLE_1)
	s_and_b32 exec_lo, exec_lo, s1
	s_cbranch_execz .LBB3_49
; %bb.47:
	s_delay_alu instid0(VALU_DEP_1) | instskip(SKIP_3) | instid1(VALU_DEP_2)
	v_lshlrev_b64_e32 v[18:19], 1, v[14:15]
	v_lshlrev_b64_e32 v[20:21], 1, v[0:1]
	s_lshl_b64 s[0:1], s[24:25], 1
	s_mov_b32 s3, 0
	v_lshl_add_u64 v[16:17], v[16:17], 1, v[18:19]
	s_delay_alu instid0(VALU_DEP_1) | instskip(NEXT) | instid1(VALU_DEP_1)
	v_mad_nc_u64_u32 v[18:19], s24, v16, v[20:21]
	v_mad_u32 v16, s25, v16, v19
	s_delay_alu instid0(VALU_DEP_1) | instskip(SKIP_1) | instid1(VALU_DEP_1)
	v_mad_u32 v19, s24, v17, v16
	v_lshlrev_b64_e32 v[16:17], 1, v[2:3]
	v_sub_nc_u64_e32 v[16:17], v[18:19], v[16:17]
	s_delay_alu instid0(VALU_DEP_1)
	v_add_nc_u64_e32 v[16:17], s[4:5], v[16:17]
.LBB3_48:                               ; =>This Inner Loop Header: Depth=1
	v_add_nc_u64_e32 v[14:15], 1, v[14:15]
	global_store_b16 v[16:17], v28, off
	s_wait_xcnt 0x0
	v_add_nc_u64_e32 v[16:17], s[0:1], v[16:17]
	v_cmp_ge_i64_e32 vcc_lo, v[14:15], v[12:13]
	s_or_b32 s3, vcc_lo, s3
	s_delay_alu instid0(SALU_CYCLE_1)
	s_and_not1_b32 exec_lo, exec_lo, s3
	s_cbranch_execnz .LBB3_48
.LBB3_49:
	s_or_b32 exec_lo, exec_lo, s2
.LBB3_50:
	s_branch .LBB3_79
.LBB3_51:
	v_mov_b64_e32 v[16:17], 0
	s_wait_loadcnt 0x0
	v_dual_mov_b32 v12, v10 :: v_dual_ashrrev_i32 v13, 31, v10
	v_dual_mov_b32 v14, v11 :: v_dual_ashrrev_i32 v15, 31, v11
	s_mov_b32 s1, exec_lo
	v_cmp_ge_i32_e32 vcc_lo, v10, v11
	v_cmpx_lt_i32_e64 v10, v11
	s_cbranch_execz .LBB3_59
; %bb.52:
	v_mad_nc_u64_u32 v[10:11], v4, s26, v[12:13]
	v_mov_b64_e32 v[20:21], v[12:13]
	s_lshl_b64 s[2:3], s[24:25], 1
	s_delay_alu instid0(VALU_DEP_2) | instskip(NEXT) | instid1(VALU_DEP_3)
	v_mad_u32 v11, v5, s26, v11
	v_mad_nc_u64_u32 v[16:17], s24, v10, v[0:1]
	s_delay_alu instid0(VALU_DEP_2) | instskip(NEXT) | instid1(VALU_DEP_2)
	v_mad_u32 v11, v4, s27, v11
	v_mad_u32 v10, s25, v10, v17
	s_delay_alu instid0(VALU_DEP_1) | instskip(SKIP_1) | instid1(VALU_DEP_1)
	v_mad_u32 v17, s24, v11, v10
	v_lshlrev_b64_e32 v[10:11], 1, v[8:9]
	v_add_nc_u64_e32 v[8:9], s[8:9], v[10:11]
	v_add_nc_u64_e32 v[10:11], s[6:7], v[10:11]
	s_mov_b32 s6, 0
	s_delay_alu instid0(VALU_DEP_4) | instskip(NEXT) | instid1(VALU_DEP_1)
	v_sub_nc_u64_e32 v[16:17], v[16:17], v[2:3]
	v_lshlrev_b64_e32 v[18:19], 1, v[16:17]
	v_mov_b64_e32 v[16:17], 0
	s_branch .LBB3_54
.LBB3_53:                               ;   in Loop: Header=BB3_54 Depth=1
	s_wait_xcnt 0x0
	s_or_b32 exec_lo, exec_lo, s0
	v_add_nc_u64_e32 v[20:21], 1, v[20:21]
	v_add_nc_u64_e32 v[18:19], s[2:3], v[18:19]
	s_delay_alu instid0(VALU_DEP_2) | instskip(SKIP_1) | instid1(SALU_CYCLE_1)
	v_cmp_ge_i64_e64 s0, v[20:21], v[14:15]
	s_or_b32 s6, s0, s6
	s_and_not1_b32 exec_lo, exec_lo, s6
	s_cbranch_execz .LBB3_58
.LBB3_54:                               ; =>This Inner Loop Header: Depth=1
	s_delay_alu instid0(VALU_DEP_2)
	v_add_nc_u64_e32 v[22:23], s[10:11], v[18:19]
	s_mov_b32 s8, exec_lo
	global_load_u16 v22, v[22:23], off
	s_wait_loadcnt 0x0
	v_cmp_u_f16_e64 s7, v22, v22
	s_wait_xcnt 0x0
	v_cmpx_o_f16_e32 v22, v22
	s_cbranch_execz .LBB3_56
; %bb.55:                               ;   in Loop: Header=BB3_54 Depth=1
	global_load_u16 v23, v[8:9], off
	s_and_not1_b32 s7, s7, exec_lo
	s_wait_loadcnt 0x0
	v_cmp_eq_f16_e64 s0, v22, v23
	s_and_b32 s0, s0, exec_lo
	s_delay_alu instid0(SALU_CYCLE_1)
	s_or_b32 s7, s7, s0
.LBB3_56:                               ;   in Loop: Header=BB3_54 Depth=1
	s_wait_xcnt 0x0
	s_or_b32 exec_lo, exec_lo, s8
	s_and_saveexec_b32 s0, s7
	s_cbranch_execz .LBB3_53
; %bb.57:                               ;   in Loop: Header=BB3_54 Depth=1
	global_load_u16 v24, v[10:11], off
	v_add_nc_u64_e32 v[22:23], s[4:5], v[18:19]
	v_add_nc_u64_e32 v[16:17], 1, v[16:17]
	s_wait_loadcnt 0x0
	global_store_b16 v[22:23], v24, off
	s_branch .LBB3_53
.LBB3_58:
	s_or_b32 exec_lo, exec_lo, s6
.LBB3_59:
	s_delay_alu instid0(SALU_CYCLE_1) | instskip(SKIP_2) | instid1(SALU_CYCLE_1)
	s_or_b32 exec_lo, exec_lo, s1
	v_cmp_lt_i64_e64 s0, 1, v[16:17]
	s_xor_b32 s1, vcc_lo, -1
	s_and_b32 s0, s0, s1
	s_delay_alu instid0(SALU_CYCLE_1)
	s_and_b32 exec_lo, exec_lo, s0
	s_cbranch_execz .LBB3_79
; %bb.60:
	v_clz_i32_u32_e32 v8, v17
	v_mul_u64_e32 v[4:5], s[26:27], v[4:5]
	s_mov_b32 s6, exec_lo
	s_delay_alu instid0(VALU_DEP_2) | instskip(NEXT) | instid1(VALU_DEP_1)
	v_min_u32_e32 v10, 32, v8
	v_lshlrev_b64_e32 v[8:9], v10, v[16:17]
	v_sub_nc_u32_e32 v10, 32, v10
	s_delay_alu instid0(VALU_DEP_2) | instskip(NEXT) | instid1(VALU_DEP_1)
	v_min_u32_e32 v8, 1, v8
	v_or_b32_e32 v8, v9, v8
	s_delay_alu instid0(VALU_DEP_1) | instskip(SKIP_1) | instid1(VALU_DEP_2)
	v_cvt_f32_u32_e32 v11, v8
	v_sub_nc_u64_e32 v[8:9], v[14:15], v[12:13]
	v_ldexp_f32 v10, v11, v10
	s_delay_alu instid0(VALU_DEP_2) | instskip(NEXT) | instid1(VALU_DEP_2)
	v_cmp_gt_u64_e64 s3, 16, v[8:9]
	v_cvt_f16_f32_e32 v20, v10
	v_cmpx_lt_u64_e32 15, v[8:9]
	s_cbranch_execz .LBB3_74
; %bb.61:
	v_add_nc_u64_e32 v[6:7], v[4:5], v[6:7]
	v_not_b32_e32 v11, v13
	v_not_b32_e32 v10, v12
	s_cmp_eq_u64 s[24:25], 1
	s_cselect_b32 s1, -1, 0
	s_delay_alu instid0(VALU_DEP_1) | instskip(NEXT) | instid1(VALU_DEP_4)
	v_add_nc_u64_e32 v[10:11], v[10:11], v[14:15]
	v_add_nc_u64_e32 v[6:7], v[6:7], v[12:13]
	s_delay_alu instid0(VALU_DEP_2) | instskip(NEXT) | instid1(VALU_DEP_2)
	v_cmp_lt_i64_e32 vcc_lo, -1, v[10:11]
	v_lshl_add_u64 v[6:7], v[6:7], 1, s[4:5]
	s_delay_alu instid0(VALU_DEP_1) | instskip(NEXT) | instid1(VALU_DEP_1)
	v_lshl_add_u64 v[16:17], v[10:11], 1, v[6:7]
	v_cmp_ge_u64_e64 s0, v[16:17], v[6:7]
	s_and_b32 s0, s0, vcc_lo
	s_delay_alu instid0(SALU_CYCLE_1)
	s_and_b32 s1, s1, s0
	s_mov_b32 s0, -1
	s_and_saveexec_b32 s7, s1
	s_cbranch_execz .LBB3_73
; %bb.62:
	v_lshlrev_b64_e32 v[6:7], 1, v[0:1]
	v_lshlrev_b64_e32 v[10:11], 1, v[2:3]
	v_cvt_f32_f16_e32 v16, v20
	s_mov_b32 s8, 0
	s_delay_alu instid0(VALU_DEP_1) | instskip(NEXT) | instid1(VALU_DEP_3)
	v_rcp_f32_e32 v21, v16
	v_lshl_add_u64 v[6:7], v[4:5], 1, v[6:7]
	s_delay_alu instid0(VALU_DEP_1) | instskip(NEXT) | instid1(VALU_DEP_1)
	v_lshl_add_u64 v[6:7], v[12:13], 1, v[6:7]
	v_sub_nc_u64_e32 v[6:7], v[6:7], v[10:11]
	s_delay_alu instid0(VALU_DEP_1) | instskip(SKIP_1) | instid1(VALU_DEP_1)
	v_add_nc_u64_e32 v[10:11], s[4:5], v[6:7]
	v_dual_mov_b32 v7, v9 :: v_dual_bitop2_b32 v6, -4, v8 bitop3:0x40
	v_mov_b64_e32 v[16:17], v[6:7]
	s_delay_alu instid0(VALU_DEP_3)
	v_add_nc_u64_e32 v[10:11], 6, v[10:11]
	s_branch .LBB3_64
.LBB3_63:                               ;   in Loop: Header=BB3_64 Depth=1
	s_wait_xcnt 0x0
	s_or_b32 exec_lo, exec_lo, s0
	v_add_nc_u64_e32 v[16:17], -4, v[16:17]
	v_add_nc_u64_e32 v[10:11], 8, v[10:11]
	s_delay_alu instid0(VALU_DEP_2) | instskip(SKIP_1) | instid1(SALU_CYCLE_1)
	v_cmp_eq_u64_e32 vcc_lo, 0, v[16:17]
	s_or_b32 s8, vcc_lo, s8
	s_and_not1_b32 exec_lo, exec_lo, s8
	s_cbranch_execz .LBB3_72
.LBB3_64:                               ; =>This Inner Loop Header: Depth=1
	global_load_b64 v[18:19], v[10:11], off offset:-6
	s_mov_b32 s9, exec_lo
	s_wait_loadcnt 0x0
	v_dual_lshrrev_b32 v22, 16, v19 :: v_dual_lshrrev_b32 v23, 16, v18
	v_cmp_lt_f16_e64 s0, 0, v19
	s_delay_alu instid0(VALU_DEP_2) | instskip(NEXT) | instid1(VALU_DEP_3)
	v_cmp_lt_f16_e32 vcc_lo, 0, v22
	v_cmp_lt_f16_e64 s1, 0, v23
	s_wait_xcnt 0x0
	v_cmpx_lt_f16_e32 0, v18
	s_cbranch_execnz .LBB3_68
; %bb.65:                               ;   in Loop: Header=BB3_64 Depth=1
	s_or_b32 exec_lo, exec_lo, s9
	s_and_saveexec_b32 s2, s1
	s_cbranch_execnz .LBB3_69
.LBB3_66:                               ;   in Loop: Header=BB3_64 Depth=1
	s_or_b32 exec_lo, exec_lo, s2
	s_and_saveexec_b32 s1, s0
	s_cbranch_execnz .LBB3_70
.LBB3_67:                               ;   in Loop: Header=BB3_64 Depth=1
	s_or_b32 exec_lo, exec_lo, s1
	s_and_saveexec_b32 s0, vcc_lo
	s_cbranch_execz .LBB3_63
	s_branch .LBB3_71
.LBB3_68:                               ;   in Loop: Header=BB3_64 Depth=1
	v_cvt_f32_f16_e32 v24, v18
	s_delay_alu instid0(VALU_DEP_1) | instskip(NEXT) | instid1(VALU_DEP_1)
	v_mul_f32_e32 v24, v24, v21
	v_fma_mix_f32 v25, -v20, v24, v18 op_sel_hi:[1,0,1]
	s_delay_alu instid0(VALU_DEP_1) | instskip(NEXT) | instid1(VALU_DEP_1)
	v_fmac_f32_e32 v24, v25, v21
	v_fma_mix_f32 v25, -v20, v24, v18 op_sel_hi:[1,0,1]
	s_delay_alu instid0(VALU_DEP_1) | instskip(NEXT) | instid1(VALU_DEP_1)
	v_mul_f32_e32 v25, v25, v21
	v_and_b32_e32 v25, 0xff800000, v25
	s_delay_alu instid0(VALU_DEP_1) | instskip(NEXT) | instid1(VALU_DEP_1)
	v_add_f32_e32 v24, v25, v24
	v_cvt_f16_f32_e32 v24, v24
	s_delay_alu instid0(VALU_DEP_1)
	v_div_fixup_f16 v24, v24, v20, v18
	global_store_b16 v[10:11], v24, off offset:-6
	s_wait_xcnt 0x0
	s_or_b32 exec_lo, exec_lo, s9
	s_and_saveexec_b32 s2, s1
	s_cbranch_execz .LBB3_66
.LBB3_69:                               ;   in Loop: Header=BB3_64 Depth=1
	v_cvt_f32_f16_e32 v24, v23
	s_delay_alu instid0(VALU_DEP_1) | instskip(NEXT) | instid1(VALU_DEP_1)
	v_mul_f32_e32 v24, v24, v21
	v_fma_mix_f32 v25, -v20, v24, v18 op_sel:[0,0,1] op_sel_hi:[1,0,1]
	s_delay_alu instid0(VALU_DEP_1) | instskip(NEXT) | instid1(VALU_DEP_1)
	v_fmac_f32_e32 v24, v25, v21
	v_fma_mix_f32 v18, -v20, v24, v18 op_sel:[0,0,1] op_sel_hi:[1,0,1]
	s_delay_alu instid0(VALU_DEP_1) | instskip(NEXT) | instid1(VALU_DEP_1)
	v_mul_f32_e32 v18, v18, v21
	v_and_b32_e32 v18, 0xff800000, v18
	s_delay_alu instid0(VALU_DEP_1) | instskip(NEXT) | instid1(VALU_DEP_1)
	v_add_f32_e32 v18, v18, v24
	v_cvt_f16_f32_e32 v18, v18
	s_delay_alu instid0(VALU_DEP_1)
	v_div_fixup_f16 v18, v18, v20, v23
	global_store_b16 v[10:11], v18, off offset:-4
	s_wait_xcnt 0x0
	s_or_b32 exec_lo, exec_lo, s2
	s_and_saveexec_b32 s1, s0
	s_cbranch_execz .LBB3_67
.LBB3_70:                               ;   in Loop: Header=BB3_64 Depth=1
	v_cvt_f32_f16_e32 v18, v19
	s_delay_alu instid0(VALU_DEP_1) | instskip(NEXT) | instid1(VALU_DEP_1)
	v_mul_f32_e32 v18, v18, v21
	v_fma_mix_f32 v23, -v20, v18, v19 op_sel_hi:[1,0,1]
	s_delay_alu instid0(VALU_DEP_1) | instskip(NEXT) | instid1(VALU_DEP_1)
	v_fmac_f32_e32 v18, v23, v21
	v_fma_mix_f32 v23, -v20, v18, v19 op_sel_hi:[1,0,1]
	s_delay_alu instid0(VALU_DEP_1) | instskip(NEXT) | instid1(VALU_DEP_1)
	v_mul_f32_e32 v23, v23, v21
	v_and_b32_e32 v23, 0xff800000, v23
	s_delay_alu instid0(VALU_DEP_1) | instskip(NEXT) | instid1(VALU_DEP_1)
	v_add_f32_e32 v18, v23, v18
	v_cvt_f16_f32_e32 v18, v18
	s_delay_alu instid0(VALU_DEP_1)
	v_div_fixup_f16 v18, v18, v20, v19
	global_store_b16 v[10:11], v18, off offset:-2
	s_wait_xcnt 0x0
	s_or_b32 exec_lo, exec_lo, s1
	s_and_saveexec_b32 s0, vcc_lo
	s_cbranch_execz .LBB3_63
.LBB3_71:                               ;   in Loop: Header=BB3_64 Depth=1
	v_cvt_f32_f16_e32 v18, v22
	s_delay_alu instid0(VALU_DEP_1) | instskip(NEXT) | instid1(VALU_DEP_1)
	v_mul_f32_e32 v18, v18, v21
	v_fma_mix_f32 v23, -v20, v18, v19 op_sel:[0,0,1] op_sel_hi:[1,0,1]
	s_delay_alu instid0(VALU_DEP_1) | instskip(NEXT) | instid1(VALU_DEP_1)
	v_fmac_f32_e32 v18, v23, v21
	v_fma_mix_f32 v19, -v20, v18, v19 op_sel:[0,0,1] op_sel_hi:[1,0,1]
	s_delay_alu instid0(VALU_DEP_1) | instskip(NEXT) | instid1(VALU_DEP_1)
	v_mul_f32_e32 v19, v19, v21
	v_and_b32_e32 v19, 0xff800000, v19
	s_delay_alu instid0(VALU_DEP_1) | instskip(NEXT) | instid1(VALU_DEP_1)
	v_add_f32_e32 v18, v19, v18
	v_cvt_f16_f32_e32 v18, v18
	s_delay_alu instid0(VALU_DEP_1)
	v_div_fixup_f16 v18, v18, v20, v22
	global_store_b16 v[10:11], v18, off
	s_branch .LBB3_63
.LBB3_72:
	s_or_b32 exec_lo, exec_lo, s8
	v_cmp_ne_u64_e32 vcc_lo, v[8:9], v[6:7]
	v_add_nc_u64_e32 v[12:13], v[6:7], v[12:13]
	s_or_not1_b32 s0, vcc_lo, exec_lo
.LBB3_73:
	s_or_b32 exec_lo, exec_lo, s7
	s_delay_alu instid0(SALU_CYCLE_1) | instskip(SKIP_1) | instid1(SALU_CYCLE_1)
	s_and_not1_b32 s1, s3, exec_lo
	s_and_b32 s0, s0, exec_lo
	s_or_b32 s3, s1, s0
.LBB3_74:
	s_or_b32 exec_lo, exec_lo, s6
	s_delay_alu instid0(SALU_CYCLE_1)
	s_and_b32 exec_lo, exec_lo, s3
	s_cbranch_execz .LBB3_79
; %bb.75:
	v_lshlrev_b64_e32 v[6:7], 1, v[12:13]
	v_lshlrev_b64_e32 v[0:1], 1, v[0:1]
	;; [unrolled: 1-line block ×3, first 2 shown]
	s_lshl_b64 s[0:1], s[24:25], 1
	s_mov_b32 s2, 0
	s_delay_alu instid0(VALU_DEP_3) | instskip(NEXT) | instid1(VALU_DEP_1)
	v_lshl_add_u64 v[4:5], v[4:5], 1, v[6:7]
	v_mad_nc_u64_u32 v[0:1], s24, v4, v[0:1]
	s_delay_alu instid0(VALU_DEP_1) | instskip(NEXT) | instid1(VALU_DEP_1)
	v_mad_u32 v1, s25, v4, v1
	v_mad_u32 v1, s24, v5, v1
	s_delay_alu instid0(VALU_DEP_1) | instskip(SKIP_1) | instid1(VALU_DEP_1)
	v_sub_nc_u64_e32 v[0:1], v[0:1], v[2:3]
	v_cvt_f32_f16_e32 v2, v20
	v_rcp_f32_e32 v2, v2
	s_delay_alu instid0(VALU_DEP_2)
	v_add_nc_u64_e32 v[0:1], s[4:5], v[0:1]
	s_branch .LBB3_77
.LBB3_76:                               ;   in Loop: Header=BB3_77 Depth=1
	s_wait_xcnt 0x0
	s_or_b32 exec_lo, exec_lo, s3
	v_add_nc_u64_e32 v[12:13], 1, v[12:13]
	v_add_nc_u64_e32 v[0:1], s[0:1], v[0:1]
	s_delay_alu instid0(VALU_DEP_2) | instskip(SKIP_1) | instid1(SALU_CYCLE_1)
	v_cmp_ge_i64_e32 vcc_lo, v[12:13], v[14:15]
	s_or_b32 s2, vcc_lo, s2
	s_and_not1_b32 exec_lo, exec_lo, s2
	s_cbranch_execz .LBB3_79
.LBB3_77:                               ; =>This Inner Loop Header: Depth=1
	global_load_u16 v3, v[0:1], off
	s_mov_b32 s3, exec_lo
	s_wait_loadcnt 0x0
	v_cmpx_lt_f16_e32 0, v3
	s_cbranch_execz .LBB3_76
; %bb.78:                               ;   in Loop: Header=BB3_77 Depth=1
	v_cvt_f32_f16_e32 v4, v3
	s_delay_alu instid0(VALU_DEP_1) | instskip(NEXT) | instid1(VALU_DEP_1)
	v_mul_f32_e32 v4, v4, v2
	v_fma_mix_f32 v5, -v20, v4, v3 op_sel_hi:[1,0,1]
	s_delay_alu instid0(VALU_DEP_1) | instskip(NEXT) | instid1(VALU_DEP_1)
	v_fmac_f32_e32 v4, v5, v2
	v_fma_mix_f32 v5, -v20, v4, v3 op_sel_hi:[1,0,1]
	s_delay_alu instid0(VALU_DEP_1) | instskip(NEXT) | instid1(VALU_DEP_1)
	v_mul_f32_e32 v5, v5, v2
	v_and_b32_e32 v5, 0xff800000, v5
	s_delay_alu instid0(VALU_DEP_1) | instskip(NEXT) | instid1(VALU_DEP_1)
	v_add_f32_e32 v4, v5, v4
	v_cvt_f16_f32_e32 v4, v4
	s_delay_alu instid0(VALU_DEP_1)
	v_div_fixup_f16 v3, v4, v20, v3
	global_store_b16 v[0:1], v3, off
	s_branch .LBB3_76
.LBB3_79:
	s_endpgm
	.section	.rodata,"a",@progbits
	.p2align	6, 0x0
	.amdhsa_kernel _ZN2at6native12_GLOBAL__N_130segment_reduce_backward_kernelIN3c104HalfEiEEvNS0_13ReductionTypeEPT_PKS6_S9_S9_PKT0_SC_llS6_lllllll
		.amdhsa_group_segment_fixed_size 0
		.amdhsa_private_segment_fixed_size 0
		.amdhsa_kernarg_size 392
		.amdhsa_user_sgpr_count 2
		.amdhsa_user_sgpr_dispatch_ptr 0
		.amdhsa_user_sgpr_queue_ptr 0
		.amdhsa_user_sgpr_kernarg_segment_ptr 1
		.amdhsa_user_sgpr_dispatch_id 0
		.amdhsa_user_sgpr_kernarg_preload_length 0
		.amdhsa_user_sgpr_kernarg_preload_offset 0
		.amdhsa_user_sgpr_private_segment_size 0
		.amdhsa_wavefront_size32 1
		.amdhsa_uses_dynamic_stack 0
		.amdhsa_enable_private_segment 0
		.amdhsa_system_sgpr_workgroup_id_x 1
		.amdhsa_system_sgpr_workgroup_id_y 0
		.amdhsa_system_sgpr_workgroup_id_z 0
		.amdhsa_system_sgpr_workgroup_info 0
		.amdhsa_system_vgpr_workitem_id 0
		.amdhsa_next_free_vgpr 35
		.amdhsa_next_free_sgpr 44
		.amdhsa_named_barrier_count 0
		.amdhsa_reserve_vcc 1
		.amdhsa_float_round_mode_32 0
		.amdhsa_float_round_mode_16_64 0
		.amdhsa_float_denorm_mode_32 3
		.amdhsa_float_denorm_mode_16_64 3
		.amdhsa_fp16_overflow 0
		.amdhsa_memory_ordered 1
		.amdhsa_forward_progress 1
		.amdhsa_inst_pref_size 38
		.amdhsa_round_robin_scheduling 0
		.amdhsa_exception_fp_ieee_invalid_op 0
		.amdhsa_exception_fp_denorm_src 0
		.amdhsa_exception_fp_ieee_div_zero 0
		.amdhsa_exception_fp_ieee_overflow 0
		.amdhsa_exception_fp_ieee_underflow 0
		.amdhsa_exception_fp_ieee_inexact 0
		.amdhsa_exception_int_div_zero 0
	.end_amdhsa_kernel
	.section	.text._ZN2at6native12_GLOBAL__N_130segment_reduce_backward_kernelIN3c104HalfEiEEvNS0_13ReductionTypeEPT_PKS6_S9_S9_PKT0_SC_llS6_lllllll,"axG",@progbits,_ZN2at6native12_GLOBAL__N_130segment_reduce_backward_kernelIN3c104HalfEiEEvNS0_13ReductionTypeEPT_PKS6_S9_S9_PKT0_SC_llS6_lllllll,comdat
.Lfunc_end3:
	.size	_ZN2at6native12_GLOBAL__N_130segment_reduce_backward_kernelIN3c104HalfEiEEvNS0_13ReductionTypeEPT_PKS6_S9_S9_PKT0_SC_llS6_lllllll, .Lfunc_end3-_ZN2at6native12_GLOBAL__N_130segment_reduce_backward_kernelIN3c104HalfEiEEvNS0_13ReductionTypeEPT_PKS6_S9_S9_PKT0_SC_llS6_lllllll
                                        ; -- End function
	.set _ZN2at6native12_GLOBAL__N_130segment_reduce_backward_kernelIN3c104HalfEiEEvNS0_13ReductionTypeEPT_PKS6_S9_S9_PKT0_SC_llS6_lllllll.num_vgpr, 35
	.set _ZN2at6native12_GLOBAL__N_130segment_reduce_backward_kernelIN3c104HalfEiEEvNS0_13ReductionTypeEPT_PKS6_S9_S9_PKT0_SC_llS6_lllllll.num_agpr, 0
	.set _ZN2at6native12_GLOBAL__N_130segment_reduce_backward_kernelIN3c104HalfEiEEvNS0_13ReductionTypeEPT_PKS6_S9_S9_PKT0_SC_llS6_lllllll.numbered_sgpr, 44
	.set _ZN2at6native12_GLOBAL__N_130segment_reduce_backward_kernelIN3c104HalfEiEEvNS0_13ReductionTypeEPT_PKS6_S9_S9_PKT0_SC_llS6_lllllll.num_named_barrier, 0
	.set _ZN2at6native12_GLOBAL__N_130segment_reduce_backward_kernelIN3c104HalfEiEEvNS0_13ReductionTypeEPT_PKS6_S9_S9_PKT0_SC_llS6_lllllll.private_seg_size, 0
	.set _ZN2at6native12_GLOBAL__N_130segment_reduce_backward_kernelIN3c104HalfEiEEvNS0_13ReductionTypeEPT_PKS6_S9_S9_PKT0_SC_llS6_lllllll.uses_vcc, 1
	.set _ZN2at6native12_GLOBAL__N_130segment_reduce_backward_kernelIN3c104HalfEiEEvNS0_13ReductionTypeEPT_PKS6_S9_S9_PKT0_SC_llS6_lllllll.uses_flat_scratch, 0
	.set _ZN2at6native12_GLOBAL__N_130segment_reduce_backward_kernelIN3c104HalfEiEEvNS0_13ReductionTypeEPT_PKS6_S9_S9_PKT0_SC_llS6_lllllll.has_dyn_sized_stack, 0
	.set _ZN2at6native12_GLOBAL__N_130segment_reduce_backward_kernelIN3c104HalfEiEEvNS0_13ReductionTypeEPT_PKS6_S9_S9_PKT0_SC_llS6_lllllll.has_recursion, 0
	.set _ZN2at6native12_GLOBAL__N_130segment_reduce_backward_kernelIN3c104HalfEiEEvNS0_13ReductionTypeEPT_PKS6_S9_S9_PKT0_SC_llS6_lllllll.has_indirect_call, 0
	.section	.AMDGPU.csdata,"",@progbits
; Kernel info:
; codeLenInByte = 4836
; TotalNumSgprs: 46
; NumVgprs: 35
; ScratchSize: 0
; MemoryBound: 0
; FloatMode: 240
; IeeeMode: 1
; LDSByteSize: 0 bytes/workgroup (compile time only)
; SGPRBlocks: 0
; VGPRBlocks: 2
; NumSGPRsForWavesPerEU: 46
; NumVGPRsForWavesPerEU: 35
; NamedBarCnt: 0
; Occupancy: 16
; WaveLimiterHint : 1
; COMPUTE_PGM_RSRC2:SCRATCH_EN: 0
; COMPUTE_PGM_RSRC2:USER_SGPR: 2
; COMPUTE_PGM_RSRC2:TRAP_HANDLER: 0
; COMPUTE_PGM_RSRC2:TGID_X_EN: 1
; COMPUTE_PGM_RSRC2:TGID_Y_EN: 0
; COMPUTE_PGM_RSRC2:TGID_Z_EN: 0
; COMPUTE_PGM_RSRC2:TIDIG_COMP_CNT: 0
	.section	.text._ZN2at6native12_GLOBAL__N_130segment_reduce_backward_kernelIdlEEvNS0_13ReductionTypeEPT_PKS4_S7_S7_PKT0_SA_llS4_lllllll,"axG",@progbits,_ZN2at6native12_GLOBAL__N_130segment_reduce_backward_kernelIdlEEvNS0_13ReductionTypeEPT_PKS4_S7_S7_PKT0_SA_llS4_lllllll,comdat
	.globl	_ZN2at6native12_GLOBAL__N_130segment_reduce_backward_kernelIdlEEvNS0_13ReductionTypeEPT_PKS4_S7_S7_PKT0_SA_llS4_lllllll ; -- Begin function _ZN2at6native12_GLOBAL__N_130segment_reduce_backward_kernelIdlEEvNS0_13ReductionTypeEPT_PKS4_S7_S7_PKT0_SA_llS4_lllllll
	.p2align	8
	.type	_ZN2at6native12_GLOBAL__N_130segment_reduce_backward_kernelIdlEEvNS0_13ReductionTypeEPT_PKS4_S7_S7_PKT0_SA_llS4_lllllll,@function
_ZN2at6native12_GLOBAL__N_130segment_reduce_backward_kernelIdlEEvNS0_13ReductionTypeEPT_PKS4_S7_S7_PKT0_SA_llS4_lllllll: ; @_ZN2at6native12_GLOBAL__N_130segment_reduce_backward_kernelIdlEEvNS0_13ReductionTypeEPT_PKS4_S7_S7_PKT0_SA_llS4_lllllll
; %bb.0:
	s_clause 0x2
	s_load_b32 s2, s[0:1], 0x94
	s_load_b512 s[4:19], s[0:1], 0x8
	s_load_b512 s[36:51], s[0:1], 0x48
	s_bfe_u32 s3, ttmp6, 0x4000c
	v_mov_b32_e32 v2, 0
	s_add_co_i32 s3, s3, 1
	s_and_b32 s20, ttmp6, 15
	s_mul_i32 s3, ttmp9, s3
	s_getreg_b32 s21, hwreg(HW_REG_IB_STS2, 6, 4)
	v_mov_b32_e32 v1, v2
	s_add_co_i32 s20, s20, s3
	s_wait_kmcnt 0x0
	s_and_b32 s2, s2, 0xffff
	s_cmp_eq_u32 s21, 0
	s_cselect_b32 s3, ttmp9, s20
	s_delay_alu instid0(SALU_CYCLE_1) | instskip(SKIP_1) | instid1(SALU_CYCLE_1)
	v_mad_nc_u64_u32 v[4:5], s2, s3, v[0:1]
	s_mul_u64 s[2:3], s[38:39], s[16:17]
	s_mul_u64 s[2:3], s[2:3], s[40:41]
	s_delay_alu instid0(VALU_DEP_1) | instid1(SALU_CYCLE_1)
	v_cmp_gt_i64_e32 vcc_lo, s[2:3], v[4:5]
	s_and_saveexec_b32 s2, vcc_lo
	s_cbranch_execz .LBB4_54
; %bb.1:
	v_or_b32_e32 v3, s41, v5
                                        ; implicit-def: $vgpr8_vgpr9
	s_mov_b32 s2, exec_lo
	s_delay_alu instid0(VALU_DEP_1)
	v_cmpx_ne_u64_e32 0, v[2:3]
	s_xor_b32 s3, exec_lo, s2
	s_cbranch_execz .LBB4_3
; %bb.2:
	s_ashr_i32 s20, s41, 31
	s_mov_b32 s31, 0
	s_mov_b32 s21, s20
	v_dual_mov_b32 v7, 0 :: v_dual_ashrrev_i32 v0, 31, v5
	s_add_nc_u64 s[22:23], s[40:41], s[20:21]
	s_delay_alu instid0(SALU_CYCLE_1) | instskip(NEXT) | instid1(VALU_DEP_1)
	s_xor_b64 s[22:23], s[22:23], s[20:21]
	v_mov_b32_e32 v1, v0
	s_cvt_f32_u32 s2, s22
	s_cvt_f32_u32 s21, s23
	s_sub_nc_u64 s[26:27], 0, s[22:23]
	v_dual_mov_b32 v9, v7 :: v_dual_mov_b32 v15, v7
	s_delay_alu instid0(SALU_CYCLE_1) | instskip(SKIP_1) | instid1(SALU_CYCLE_2)
	s_fmamk_f32 s2, s21, 0x4f800000, s2
	v_add_nc_u64_e32 v[2:3], v[4:5], v[0:1]
	v_s_rcp_f32 s2, s2
	s_delay_alu instid0(VALU_DEP_1) | instskip(NEXT) | instid1(VALU_DEP_2)
	v_xor_b32_e32 v6, v2, v0
	v_xor_b32_e32 v8, v3, v0
	;; [unrolled: 1-line block ×3, first 2 shown]
	s_delay_alu instid0(TRANS32_DEP_1) | instskip(NEXT) | instid1(SALU_CYCLE_3)
	s_mul_f32 s2, s2, 0x5f7ffffc
	s_mul_f32 s21, s2, 0x2f800000
	s_delay_alu instid0(SALU_CYCLE_3) | instskip(NEXT) | instid1(SALU_CYCLE_3)
	s_trunc_f32 s21, s21
	s_fmamk_f32 s2, s21, 0xcf800000, s2
	s_cvt_u32_f32 s25, s21
	s_delay_alu instid0(SALU_CYCLE_2) | instskip(NEXT) | instid1(SALU_CYCLE_3)
	s_cvt_u32_f32 s24, s2
	s_mul_u64 s[28:29], s[26:27], s[24:25]
	s_delay_alu instid0(SALU_CYCLE_1)
	s_mul_hi_u32 s35, s24, s29
	s_mul_i32 s34, s24, s29
	s_mul_hi_u32 s30, s24, s28
	s_mul_i32 s21, s25, s28
	s_add_nc_u64 s[34:35], s[30:31], s[34:35]
	s_mul_hi_u32 s2, s25, s28
	s_mul_hi_u32 s33, s25, s29
	s_add_co_u32 s21, s34, s21
	s_add_co_ci_u32 s30, s35, s2
	s_mul_i32 s28, s25, s29
	s_add_co_ci_u32 s29, s33, 0
	s_delay_alu instid0(SALU_CYCLE_1) | instskip(NEXT) | instid1(SALU_CYCLE_1)
	s_add_nc_u64 s[28:29], s[30:31], s[28:29]
	s_add_co_u32 s24, s24, s28
	s_cselect_b32 s2, -1, 0
	s_delay_alu instid0(SALU_CYCLE_1) | instskip(SKIP_1) | instid1(SALU_CYCLE_1)
	s_cmp_lg_u32 s2, 0
	s_add_co_ci_u32 s25, s25, s29
	s_mul_u64 s[26:27], s[26:27], s[24:25]
	s_delay_alu instid0(SALU_CYCLE_1)
	s_mul_hi_u32 s29, s24, s27
	s_mul_i32 s28, s24, s27
	s_mul_hi_u32 s30, s24, s26
	s_mul_i32 s21, s25, s26
	s_add_nc_u64 s[28:29], s[30:31], s[28:29]
	s_mul_hi_u32 s2, s25, s26
	s_mul_hi_u32 s33, s25, s27
	s_add_co_u32 s21, s28, s21
	s_add_co_ci_u32 s30, s29, s2
	s_mul_i32 s26, s25, s27
	s_add_co_ci_u32 s27, s33, 0
	s_delay_alu instid0(SALU_CYCLE_1) | instskip(NEXT) | instid1(SALU_CYCLE_1)
	s_add_nc_u64 s[26:27], s[30:31], s[26:27]
	s_add_co_u32 s2, s24, s26
	s_cselect_b32 s21, -1, 0
	v_mul_hi_u32 v14, v6, s2
	s_cmp_lg_u32 s21, 0
	s_add_co_ci_u32 s30, s25, s27
	s_mov_b64 s[24:25], 0xffffffff
	v_mul_u64_e32 v[10:11], s[30:31], v[6:7]
	s_and_b64 s[24:25], s[2:3], s[24:25]
	v_mul_u64_e32 v[12:13], s[30:31], v[8:9]
	v_mul_u64_e32 v[2:3], s[24:25], v[8:9]
	s_delay_alu instid0(VALU_DEP_3) | instskip(NEXT) | instid1(VALU_DEP_1)
	v_add_nc_u64_e32 v[10:11], v[14:15], v[10:11]
	v_add_co_u32 v1, vcc_lo, v10, v2
	s_delay_alu instid0(VALU_DEP_2) | instskip(SKIP_1) | instid1(VALU_DEP_1)
	v_add_co_ci_u32_e32 v14, vcc_lo, v11, v3, vcc_lo
	v_add_co_ci_u32_e32 v13, vcc_lo, 0, v13, vcc_lo
	v_add_nc_u64_e32 v[2:3], v[14:15], v[12:13]
	s_delay_alu instid0(VALU_DEP_1) | instskip(NEXT) | instid1(VALU_DEP_1)
	v_mul_u64_e32 v[10:11], s[22:23], v[2:3]
	v_sub_nc_u32_e32 v1, v8, v11
	s_delay_alu instid0(VALU_DEP_2) | instskip(NEXT) | instid1(VALU_DEP_1)
	v_sub_co_u32 v6, vcc_lo, v6, v10
	v_sub_co_ci_u32_e64 v10, null, v8, v11, vcc_lo
	s_delay_alu instid0(VALU_DEP_3) | instskip(NEXT) | instid1(VALU_DEP_3)
	v_subrev_co_ci_u32_e64 v1, null, s23, v1, vcc_lo
	v_sub_co_u32 v7, s2, v6, s22
	s_delay_alu instid0(VALU_DEP_1) | instskip(NEXT) | instid1(VALU_DEP_2)
	v_subrev_co_ci_u32_e64 v1, null, 0, v1, s2
	v_cmp_le_u32_e32 vcc_lo, s22, v7
	v_cndmask_b32_e64 v7, 0, -1, vcc_lo
	s_delay_alu instid0(VALU_DEP_3)
	v_cmp_le_u32_e32 vcc_lo, s23, v1
	v_cndmask_b32_e64 v8, 0, -1, vcc_lo
	v_cmp_le_u32_e32 vcc_lo, s22, v6
	v_cndmask_b32_e64 v11, 0, -1, vcc_lo
	;; [unrolled: 2-line block ×3, first 2 shown]
	v_cmp_eq_u32_e32 vcc_lo, s23, v1
	v_cndmask_b32_e32 v1, v8, v7, vcc_lo
	v_cmp_eq_u32_e32 vcc_lo, s23, v10
	v_add_nc_u64_e32 v[6:7], 2, v[2:3]
	v_add_nc_u64_e32 v[8:9], 1, v[2:3]
	v_cndmask_b32_e32 v10, v12, v11, vcc_lo
	v_cmp_ne_u32_e32 vcc_lo, 0, v1
	s_delay_alu instid0(VALU_DEP_2) | instskip(NEXT) | instid1(VALU_DEP_4)
	v_cmp_ne_u32_e64 s2, 0, v10
	v_dual_cndmask_b32 v6, v8, v6 :: v_dual_cndmask_b32 v1, v9, v7
	s_delay_alu instid0(VALU_DEP_1) | instskip(NEXT) | instid1(VALU_DEP_1)
	v_dual_cndmask_b32 v2, v2, v6, s2 :: v_dual_cndmask_b32 v3, v3, v1, s2
	v_dual_mov_b32 v1, v0 :: v_dual_bitop2_b32 v2, v2, v0 bitop3:0x14
	s_delay_alu instid0(VALU_DEP_2) | instskip(NEXT) | instid1(VALU_DEP_1)
	v_xor_b32_e32 v3, v3, v0
	v_sub_nc_u64_e32 v[8:9], v[2:3], v[0:1]
.LBB4_3:
	s_and_not1_saveexec_b32 s2, s3
	s_cbranch_execz .LBB4_5
; %bb.4:
	v_cvt_f32_u32_e32 v0, s40
	s_sub_co_i32 s3, 0, s40
	v_mov_b32_e32 v9, 0
	s_delay_alu instid0(VALU_DEP_2) | instskip(SKIP_1) | instid1(TRANS32_DEP_1)
	v_rcp_iflag_f32_e32 v0, v0
	v_nop
	v_mul_f32_e32 v0, 0x4f7ffffe, v0
	s_delay_alu instid0(VALU_DEP_1) | instskip(NEXT) | instid1(VALU_DEP_1)
	v_cvt_u32_f32_e32 v0, v0
	v_mul_lo_u32 v1, s3, v0
	s_delay_alu instid0(VALU_DEP_1) | instskip(NEXT) | instid1(VALU_DEP_1)
	v_mul_hi_u32 v1, v0, v1
	v_add_nc_u32_e32 v0, v0, v1
	s_delay_alu instid0(VALU_DEP_1) | instskip(NEXT) | instid1(VALU_DEP_1)
	v_mul_hi_u32 v0, v4, v0
	v_mul_lo_u32 v1, v0, s40
	s_delay_alu instid0(VALU_DEP_1) | instskip(NEXT) | instid1(VALU_DEP_1)
	v_dual_add_nc_u32 v2, 1, v0 :: v_dual_sub_nc_u32 v1, v4, v1
	v_subrev_nc_u32_e32 v3, s40, v1
	v_cmp_le_u32_e32 vcc_lo, s40, v1
	s_delay_alu instid0(VALU_DEP_2) | instskip(NEXT) | instid1(VALU_DEP_1)
	v_dual_cndmask_b32 v1, v1, v3 :: v_dual_cndmask_b32 v0, v0, v2
	v_cmp_le_u32_e32 vcc_lo, s40, v1
	s_delay_alu instid0(VALU_DEP_2) | instskip(NEXT) | instid1(VALU_DEP_1)
	v_add_nc_u32_e32 v2, 1, v0
	v_cndmask_b32_e32 v8, v0, v2, vcc_lo
.LBB4_5:
	s_or_b32 exec_lo, exec_lo, s2
	s_delay_alu instid0(VALU_DEP_1) | instskip(SKIP_1) | instid1(VALU_DEP_1)
	v_dual_mov_b32 v0, 0 :: v_dual_bitop2_b32 v1, s17, v9 bitop3:0x54
                                        ; implicit-def: $vgpr6_vgpr7
	s_mov_b32 s2, exec_lo
	v_cmpx_ne_u64_e32 0, v[0:1]
	s_xor_b32 s3, exec_lo, s2
	s_cbranch_execz .LBB4_7
; %bb.6:
	s_ashr_i32 s20, s17, 31
	s_mov_b32 s31, 0
	s_mov_b32 s21, s20
	v_dual_mov_b32 v11, v0 :: v_dual_ashrrev_i32 v2, 31, v9
	s_add_nc_u64 s[22:23], s[16:17], s[20:21]
	v_mov_b32_e32 v13, v0
	s_xor_b64 s[22:23], s[22:23], s[20:21]
	s_delay_alu instid0(VALU_DEP_2)
	v_mov_b32_e32 v3, v2
	s_cvt_f32_u32 s2, s22
	s_cvt_f32_u32 s21, s23
	s_sub_nc_u64 s[26:27], 0, s[22:23]
	v_mov_b32_e32 v19, v0
	v_add_nc_u64_e32 v[6:7], v[8:9], v[2:3]
	s_fmamk_f32 s2, s21, 0x4f800000, s2
	v_mov_b32_e32 v1, v0
	s_delay_alu instid0(SALU_CYCLE_2) | instskip(NEXT) | instid1(VALU_DEP_2)
	v_s_rcp_f32 s2, s2
	v_xor_b32_e32 v10, v6, v2
	s_delay_alu instid0(VALU_DEP_3) | instskip(SKIP_1) | instid1(TRANS32_DEP_1)
	v_xor_b32_e32 v12, v7, v2
	v_xor_b32_e32 v2, s20, v2
	s_mul_f32 s2, s2, 0x5f7ffffc
	s_delay_alu instid0(SALU_CYCLE_3) | instskip(NEXT) | instid1(SALU_CYCLE_3)
	s_mul_f32 s21, s2, 0x2f800000
	s_trunc_f32 s21, s21
	s_delay_alu instid0(SALU_CYCLE_3) | instskip(SKIP_1) | instid1(SALU_CYCLE_2)
	s_fmamk_f32 s2, s21, 0xcf800000, s2
	s_cvt_u32_f32 s25, s21
	s_cvt_u32_f32 s24, s2
	s_delay_alu instid0(SALU_CYCLE_3) | instskip(NEXT) | instid1(SALU_CYCLE_1)
	s_mul_u64 s[28:29], s[26:27], s[24:25]
	s_mul_hi_u32 s35, s24, s29
	s_mul_i32 s34, s24, s29
	s_mul_hi_u32 s30, s24, s28
	s_mul_i32 s21, s25, s28
	s_add_nc_u64 s[34:35], s[30:31], s[34:35]
	s_mul_hi_u32 s2, s25, s28
	s_mul_hi_u32 s33, s25, s29
	s_add_co_u32 s21, s34, s21
	s_add_co_ci_u32 s30, s35, s2
	s_mul_i32 s28, s25, s29
	s_add_co_ci_u32 s29, s33, 0
	s_delay_alu instid0(SALU_CYCLE_1) | instskip(NEXT) | instid1(SALU_CYCLE_1)
	s_add_nc_u64 s[28:29], s[30:31], s[28:29]
	s_add_co_u32 s24, s24, s28
	s_cselect_b32 s2, -1, 0
	s_delay_alu instid0(SALU_CYCLE_1) | instskip(SKIP_1) | instid1(SALU_CYCLE_1)
	s_cmp_lg_u32 s2, 0
	s_add_co_ci_u32 s25, s25, s29
	s_mul_u64 s[26:27], s[26:27], s[24:25]
	s_delay_alu instid0(SALU_CYCLE_1)
	s_mul_hi_u32 s29, s24, s27
	s_mul_i32 s28, s24, s27
	s_mul_hi_u32 s30, s24, s26
	s_mul_i32 s21, s25, s26
	s_add_nc_u64 s[28:29], s[30:31], s[28:29]
	s_mul_hi_u32 s2, s25, s26
	s_mul_hi_u32 s33, s25, s27
	s_add_co_u32 s21, s28, s21
	s_add_co_ci_u32 s30, s29, s2
	s_mul_i32 s26, s25, s27
	s_add_co_ci_u32 s27, s33, 0
	s_delay_alu instid0(SALU_CYCLE_1) | instskip(NEXT) | instid1(SALU_CYCLE_1)
	s_add_nc_u64 s[26:27], s[30:31], s[26:27]
	s_add_co_u32 s2, s24, s26
	s_cselect_b32 s21, -1, 0
	v_mul_hi_u32 v18, v10, s2
	s_cmp_lg_u32 s21, 0
	s_add_co_ci_u32 s30, s25, s27
	s_mov_b64 s[24:25], 0xffffffff
	v_mul_u64_e32 v[14:15], s[30:31], v[10:11]
	s_and_b64 s[24:25], s[2:3], s[24:25]
	v_mul_u64_e32 v[16:17], s[30:31], v[12:13]
	v_mul_u64_e32 v[6:7], s[24:25], v[12:13]
	s_delay_alu instid0(VALU_DEP_3) | instskip(NEXT) | instid1(VALU_DEP_1)
	v_add_nc_u64_e32 v[14:15], v[18:19], v[14:15]
	v_add_co_u32 v0, vcc_lo, v14, v6
	s_delay_alu instid0(VALU_DEP_2) | instskip(SKIP_1) | instid1(VALU_DEP_1)
	v_add_co_ci_u32_e32 v0, vcc_lo, v15, v7, vcc_lo
	v_add_co_ci_u32_e32 v17, vcc_lo, 0, v17, vcc_lo
	v_add_nc_u64_e32 v[0:1], v[0:1], v[16:17]
	s_delay_alu instid0(VALU_DEP_1) | instskip(NEXT) | instid1(VALU_DEP_1)
	v_mul_u64_e32 v[6:7], s[22:23], v[0:1]
	v_sub_nc_u32_e32 v3, v12, v7
	s_delay_alu instid0(VALU_DEP_2) | instskip(NEXT) | instid1(VALU_DEP_1)
	v_sub_co_u32 v6, vcc_lo, v10, v6
	v_sub_co_ci_u32_e64 v12, null, v12, v7, vcc_lo
	s_delay_alu instid0(VALU_DEP_3) | instskip(NEXT) | instid1(VALU_DEP_3)
	v_subrev_co_ci_u32_e64 v3, null, s23, v3, vcc_lo
	v_sub_co_u32 v10, s2, v6, s22
	s_delay_alu instid0(VALU_DEP_1) | instskip(NEXT) | instid1(VALU_DEP_2)
	v_subrev_co_ci_u32_e64 v3, null, 0, v3, s2
	v_cmp_le_u32_e32 vcc_lo, s22, v10
	v_cndmask_b32_e64 v7, 0, -1, vcc_lo
	s_delay_alu instid0(VALU_DEP_3)
	v_cmp_le_u32_e32 vcc_lo, s23, v3
	v_cndmask_b32_e64 v10, 0, -1, vcc_lo
	v_cmp_le_u32_e32 vcc_lo, s22, v6
	v_cndmask_b32_e64 v13, 0, -1, vcc_lo
	;; [unrolled: 2-line block ×3, first 2 shown]
	v_cmp_eq_u32_e32 vcc_lo, s23, v3
	v_cndmask_b32_e32 v3, v10, v7, vcc_lo
	v_cmp_eq_u32_e32 vcc_lo, s23, v12
	v_add_nc_u64_e32 v[6:7], 2, v[0:1]
	v_add_nc_u64_e32 v[10:11], 1, v[0:1]
	v_cndmask_b32_e32 v12, v14, v13, vcc_lo
	v_cmp_ne_u32_e32 vcc_lo, 0, v3
	s_delay_alu instid0(VALU_DEP_2) | instskip(NEXT) | instid1(VALU_DEP_4)
	v_cmp_ne_u32_e64 s2, 0, v12
	v_dual_cndmask_b32 v3, v11, v7 :: v_dual_cndmask_b32 v6, v10, v6
	s_delay_alu instid0(VALU_DEP_1) | instskip(NEXT) | instid1(VALU_DEP_1)
	v_dual_cndmask_b32 v1, v1, v3, s2 :: v_dual_cndmask_b32 v0, v0, v6, s2
	v_dual_mov_b32 v3, v2 :: v_dual_bitop2_b32 v1, v1, v2 bitop3:0x14
	s_delay_alu instid0(VALU_DEP_2) | instskip(NEXT) | instid1(VALU_DEP_1)
	v_xor_b32_e32 v0, v0, v2
	v_sub_nc_u64_e32 v[6:7], v[0:1], v[2:3]
.LBB4_7:
	s_and_not1_saveexec_b32 s2, s3
	s_cbranch_execz .LBB4_9
; %bb.8:
	v_cvt_f32_u32_e32 v0, s16
	s_sub_co_i32 s3, 0, s16
	v_mov_b32_e32 v7, 0
	s_delay_alu instid0(VALU_DEP_2) | instskip(SKIP_1) | instid1(TRANS32_DEP_1)
	v_rcp_iflag_f32_e32 v0, v0
	v_nop
	v_mul_f32_e32 v0, 0x4f7ffffe, v0
	s_delay_alu instid0(VALU_DEP_1) | instskip(NEXT) | instid1(VALU_DEP_1)
	v_cvt_u32_f32_e32 v0, v0
	v_mul_lo_u32 v1, s3, v0
	s_delay_alu instid0(VALU_DEP_1) | instskip(NEXT) | instid1(VALU_DEP_1)
	v_mul_hi_u32 v1, v0, v1
	v_add_nc_u32_e32 v0, v0, v1
	s_delay_alu instid0(VALU_DEP_1) | instskip(NEXT) | instid1(VALU_DEP_1)
	v_mul_hi_u32 v0, v8, v0
	v_mul_lo_u32 v1, v0, s16
	s_delay_alu instid0(VALU_DEP_1) | instskip(NEXT) | instid1(VALU_DEP_1)
	v_dual_add_nc_u32 v2, 1, v0 :: v_dual_sub_nc_u32 v1, v8, v1
	v_subrev_nc_u32_e32 v3, s16, v1
	v_cmp_le_u32_e32 vcc_lo, s16, v1
	s_delay_alu instid0(VALU_DEP_2) | instskip(NEXT) | instid1(VALU_DEP_1)
	v_dual_cndmask_b32 v1, v1, v3 :: v_dual_cndmask_b32 v0, v0, v2
	v_cmp_le_u32_e32 vcc_lo, s16, v1
	s_delay_alu instid0(VALU_DEP_2) | instskip(NEXT) | instid1(VALU_DEP_1)
	v_add_nc_u32_e32 v2, 1, v0
	v_cndmask_b32_e32 v6, v0, v2, vcc_lo
.LBB4_9:
	s_or_b32 exec_lo, exec_lo, s2
	s_delay_alu instid0(VALU_DEP_1) | instskip(NEXT) | instid1(VALU_DEP_1)
	v_mul_u64_e32 v[0:1], s[16:17], v[6:7]
	v_mul_u64_e32 v[2:3], s[18:19], v[0:1]
	v_sub_nc_u64_e32 v[10:11], v[8:9], v[0:1]
	s_delay_alu instid0(VALU_DEP_2) | instskip(NEXT) | instid1(VALU_DEP_1)
	v_lshl_add_u64 v[0:1], v[2:3], 3, s[12:13]
	v_lshl_add_u64 v[0:1], v[10:11], 3, v[0:1]
	global_load_b64 v[12:13], v[0:1], off
	s_wait_loadcnt 0x0
	v_cmp_ne_u64_e32 vcc_lo, 0, v[12:13]
	s_and_b32 exec_lo, exec_lo, vcc_lo
	s_cbranch_execz .LBB4_54
; %bb.10:
	s_add_nc_u64 s[2:3], s[16:17], 1
	v_mul_u64_e32 v[8:9], s[40:41], v[8:9]
	s_mul_u64 s[2:3], s[50:51], s[2:3]
	v_mad_nc_u64_u32 v[14:15], v6, s48, v[10:11]
	v_mul_u64_e32 v[0:1], s[2:3], v[6:7]
	s_delay_alu instid0(VALU_DEP_3) | instskip(NEXT) | instid1(VALU_DEP_2)
	v_sub_nc_u64_e32 v[16:17], v[4:5], v[8:9]
	v_lshl_add_u64 v[0:1], v[0:1], 3, s[14:15]
	s_load_b32 s14, s[0:1], 0x0
	s_delay_alu instid0(VALU_DEP_1)
	v_lshl_add_u64 v[0:1], v[10:11], 3, v[0:1]
	v_mad_u32 v10, v7, s48, v15
	global_load_b128 v[0:3], v[0:1], off
	v_mad_u32 v15, v6, s49, v10
	v_mad_nc_u64_u32 v[10:11], v14, s46, v[16:17]
	s_wait_kmcnt 0x0
	s_and_b32 s0, s14, -3
	s_delay_alu instid0(SALU_CYCLE_1) | instskip(NEXT) | instid1(VALU_DEP_1)
	s_cmp_lg_u32 s0, 0
	v_mad_u32 v11, v15, s46, v11
	s_delay_alu instid0(VALU_DEP_1)
	v_mad_u32 v11, v14, s47, v11
	s_cbranch_scc0 .LBB4_25
; %bb.11:
	s_cmp_lt_i32 s14, 3
	s_mov_b32 s0, -1
	s_cbranch_scc1 .LBB4_34
; %bb.12:
	s_cmp_lt_i32 s14, 4
	s_cbranch_scc1 .LBB4_28
; %bb.13:
	s_cmp_eq_u32 s14, 4
	s_cbranch_scc0 .LBB4_27
; %bb.14:
	s_mov_b32 s15, exec_lo
	s_wait_loadcnt 0x0
	v_cmpx_lt_i64_e64 v[0:1], v[2:3]
	s_cbranch_execz .LBB4_26
; %bb.15:
	v_lshlrev_b64_e32 v[18:19], 3, v[10:11]
	v_mul_u64_e32 v[24:25], s[44:45], v[6:7]
	v_lshlrev_b64_e32 v[26:27], 3, v[4:5]
	s_lshl_b64 s[0:1], s[42:43], 3
	s_mov_b64 s[2:3], 0
	s_mov_b32 s16, 0
	s_delay_alu instid0(VALU_DEP_3)
	v_add_nc_u64_e32 v[14:15], s[6:7], v[18:19]
	v_add_nc_u64_e32 v[18:19], s[8:9], v[18:19]
	global_load_b64 v[20:21], v[14:15], off
	global_load_b64 v[22:23], v[18:19], off
	s_wait_xcnt 0x0
	v_lshlrev_b64_e32 v[18:19], 3, v[0:1]
	s_delay_alu instid0(VALU_DEP_1) | instskip(SKIP_1) | instid1(VALU_DEP_2)
	v_lshl_add_u64 v[28:29], v[24:25], 3, v[18:19]
	v_mad_nc_u64_u32 v[16:17], v24, s42, v[16:17]
	v_mad_nc_u64_u32 v[26:27], s42, v28, v[26:27]
	s_delay_alu instid0(VALU_DEP_2) | instskip(NEXT) | instid1(VALU_DEP_2)
	v_mad_u32 v17, v25, s42, v17
	v_mad_u32 v27, s43, v28, v27
	s_delay_alu instid0(VALU_DEP_2) | instskip(NEXT) | instid1(VALU_DEP_2)
	v_mad_u32 v17, v24, s43, v17
	v_mad_u32 v27, s42, v29, v27
	s_wait_loadcnt 0x0
	v_mul_f64_e32 v[18:19], v[20:21], v[22:23]
	v_lshlrev_b64_e32 v[20:21], 3, v[8:9]
	v_mov_b64_e32 v[22:23], v[0:1]
	s_delay_alu instid0(VALU_DEP_2) | instskip(NEXT) | instid1(VALU_DEP_1)
	v_sub_nc_u64_e32 v[20:21], v[26:27], v[20:21]
	v_add_nc_u64_e32 v[20:21], s[10:11], v[20:21]
	s_branch .LBB4_18
.LBB4_16:                               ;   in Loop: Header=BB4_18 Depth=1
	s_or_b32 exec_lo, exec_lo, s18
	global_load_b64 v[28:29], v[14:15], off
	s_wait_loadcnt 0x0
	v_mul_f64_e32 v[26:27], v[26:27], v[28:29]
.LBB4_17:                               ;   in Loop: Header=BB4_18 Depth=1
	s_wait_xcnt 0x0
	s_or_b32 exec_lo, exec_lo, s17
	v_add_nc_u64_e32 v[22:23], 1, v[22:23]
	v_lshl_add_u64 v[24:25], v[24:25], 3, s[4:5]
	s_add_nc_u64 s[2:3], s[2:3], 1
	global_store_b64 v[24:25], v[26:27], off
	v_cmp_ge_i64_e32 vcc_lo, v[22:23], v[2:3]
	s_or_b32 s16, vcc_lo, s16
	s_wait_xcnt 0x0
	s_and_not1_b32 exec_lo, exec_lo, s16
	s_cbranch_execz .LBB4_26
.LBB4_18:                               ; =>This Loop Header: Depth=1
                                        ;     Child Loop BB4_23 Depth 2
	s_delay_alu instid0(VALU_DEP_3) | instskip(SKIP_1) | instid1(VALU_DEP_1)
	v_mad_nc_u64_u32 v[24:25], v22, s42, v[16:17]
	s_mov_b32 s12, exec_lo
	v_mad_u32 v25, v23, s42, v25
	s_delay_alu instid0(VALU_DEP_1) | instskip(NEXT) | instid1(VALU_DEP_1)
	v_mad_u32 v25, v22, s43, v25
	v_lshl_add_u64 v[26:27], v[24:25], 3, s[10:11]
	global_load_b64 v[28:29], v[26:27], off
                                        ; implicit-def: $vgpr26_vgpr27
	s_wait_loadcnt 0x0
	s_wait_xcnt 0x0
	v_cmpx_lg_f64_e32 0, v[28:29]
	s_xor_b32 s12, exec_lo, s12
	s_cbranch_execz .LBB4_20
; %bb.19:                               ;   in Loop: Header=BB4_18 Depth=1
	v_div_scale_f64 v[26:27], null, v[28:29], v[28:29], v[18:19]
	s_delay_alu instid0(VALU_DEP_1) | instskip(SKIP_1) | instid1(TRANS32_DEP_1)
	v_rcp_f64_e32 v[30:31], v[26:27]
	v_nop
	v_fma_f64 v[32:33], -v[26:27], v[30:31], 1.0
	s_delay_alu instid0(VALU_DEP_1) | instskip(NEXT) | instid1(VALU_DEP_1)
	v_fmac_f64_e32 v[30:31], v[30:31], v[32:33]
	v_fma_f64 v[32:33], -v[26:27], v[30:31], 1.0
	s_delay_alu instid0(VALU_DEP_1) | instskip(SKIP_1) | instid1(VALU_DEP_1)
	v_fmac_f64_e32 v[30:31], v[30:31], v[32:33]
	v_div_scale_f64 v[32:33], vcc_lo, v[18:19], v[28:29], v[18:19]
	v_mul_f64_e32 v[34:35], v[32:33], v[30:31]
	s_delay_alu instid0(VALU_DEP_1) | instskip(NEXT) | instid1(VALU_DEP_1)
	v_fma_f64 v[26:27], -v[26:27], v[34:35], v[32:33]
	v_div_fmas_f64 v[26:27], v[26:27], v[30:31], v[34:35]
	s_delay_alu instid0(VALU_DEP_1)
	v_div_fixup_f64 v[26:27], v[26:27], v[28:29], v[18:19]
.LBB4_20:                               ;   in Loop: Header=BB4_18 Depth=1
	s_and_not1_saveexec_b32 s17, s12
	s_cbranch_execz .LBB4_17
; %bb.21:                               ;   in Loop: Header=BB4_18 Depth=1
	v_mov_b64_e32 v[26:27], s[36:37]
	v_mov_b64_e32 v[28:29], v[20:21]
	;; [unrolled: 1-line block ×3, first 2 shown]
	s_mov_b32 s18, 0
	s_mov_b64 s[12:13], s[2:3]
	s_branch .LBB4_23
.LBB4_22:                               ;   in Loop: Header=BB4_23 Depth=2
	s_delay_alu instid0(VALU_DEP_1) | instskip(SKIP_3) | instid1(VALU_DEP_2)
	v_add_nc_u64_e32 v[30:31], 1, v[30:31]
	s_wait_xcnt 0x0
	v_add_nc_u64_e32 v[28:29], s[0:1], v[28:29]
	s_add_nc_u64 s[12:13], s[12:13], -1
	v_cmp_ge_i64_e32 vcc_lo, v[30:31], v[2:3]
	s_or_b32 s18, vcc_lo, s18
	s_delay_alu instid0(SALU_CYCLE_1)
	s_and_not1_b32 exec_lo, exec_lo, s18
	s_cbranch_execz .LBB4_16
.LBB4_23:                               ;   Parent Loop BB4_18 Depth=1
                                        ; =>  This Inner Loop Header: Depth=2
	s_cmp_eq_u64 s[12:13], 0
	s_cbranch_scc1 .LBB4_22
; %bb.24:                               ;   in Loop: Header=BB4_23 Depth=2
	global_load_b64 v[32:33], v[28:29], off
	s_wait_loadcnt 0x0
	v_mul_f64_e32 v[26:27], v[26:27], v[32:33]
	s_branch .LBB4_22
.LBB4_25:
	s_cbranch_execnz .LBB4_41
	s_branch .LBB4_54
.LBB4_26:
	s_or_b32 exec_lo, exec_lo, s15
.LBB4_27:
	s_mov_b32 s0, 0
.LBB4_28:
	s_delay_alu instid0(SALU_CYCLE_1)
	s_and_not1_b32 vcc_lo, exec_lo, s0
	s_cbranch_vccnz .LBB4_33
; %bb.29:
	s_mov_b32 s2, exec_lo
	s_wait_loadcnt 0x0
	v_cmpx_lt_i64_e64 v[0:1], v[2:3]
	s_cbranch_execz .LBB4_32
; %bb.30:
	v_lshl_add_u64 v[14:15], v[10:11], 3, s[6:7]
	v_mul_u64_e32 v[16:17], s[44:45], v[6:7]
	v_lshlrev_b64_e32 v[18:19], 3, v[0:1]
	v_lshlrev_b64_e32 v[20:21], 3, v[4:5]
	s_lshl_b64 s[0:1], s[42:43], 3
	global_load_b64 v[14:15], v[14:15], off
	s_mov_b32 s3, 0
	v_lshl_add_u64 v[16:17], v[16:17], 3, v[18:19]
	s_delay_alu instid0(VALU_DEP_1) | instskip(NEXT) | instid1(VALU_DEP_1)
	v_mad_nc_u64_u32 v[18:19], s42, v16, v[20:21]
	v_mad_u32 v16, s43, v16, v19
	s_delay_alu instid0(VALU_DEP_1) | instskip(SKIP_1) | instid1(VALU_DEP_1)
	v_mad_u32 v19, s42, v17, v16
	v_lshlrev_b64_e32 v[16:17], 3, v[8:9]
	v_sub_nc_u64_e32 v[16:17], v[18:19], v[16:17]
	v_mov_b64_e32 v[18:19], v[0:1]
	s_delay_alu instid0(VALU_DEP_2)
	v_add_nc_u64_e32 v[16:17], s[4:5], v[16:17]
.LBB4_31:                               ; =>This Inner Loop Header: Depth=1
	s_delay_alu instid0(VALU_DEP_2)
	v_add_nc_u64_e32 v[18:19], 1, v[18:19]
	s_wait_loadcnt 0x0
	global_store_b64 v[16:17], v[14:15], off
	s_wait_xcnt 0x0
	v_add_nc_u64_e32 v[16:17], s[0:1], v[16:17]
	v_cmp_ge_i64_e32 vcc_lo, v[18:19], v[2:3]
	s_or_b32 s3, vcc_lo, s3
	s_delay_alu instid0(SALU_CYCLE_1)
	s_and_not1_b32 exec_lo, exec_lo, s3
	s_cbranch_execnz .LBB4_31
.LBB4_32:
	s_or_b32 exec_lo, exec_lo, s2
.LBB4_33:
	s_mov_b32 s0, 0
.LBB4_34:
	s_delay_alu instid0(SALU_CYCLE_1)
	s_and_not1_b32 vcc_lo, exec_lo, s0
	s_cbranch_vccnz .LBB4_40
; %bb.35:
	s_cmp_lg_u32 s14, 1
	s_cbranch_scc1 .LBB4_40
; %bb.36:
	s_mov_b32 s2, exec_lo
	s_wait_loadcnt 0x0
	v_cmpx_lt_i64_e64 v[0:1], v[2:3]
	s_cbranch_execz .LBB4_39
; %bb.37:
	v_lshl_add_u64 v[14:15], v[10:11], 3, s[6:7]
	v_cvt_f64_i32_e32 v[16:17], v13
	v_cvt_f64_u32_e32 v[12:13], v12
	s_lshl_b64 s[0:1], s[42:43], 3
	s_mov_b32 s3, 0
	global_load_b64 v[14:15], v[14:15], off
	v_ldexp_f64 v[16:17], v[16:17], 32
	s_delay_alu instid0(VALU_DEP_1) | instskip(SKIP_1) | instid1(VALU_DEP_1)
	v_add_f64_e32 v[12:13], v[16:17], v[12:13]
	s_wait_loadcnt 0x0
	v_div_scale_f64 v[16:17], null, v[12:13], v[12:13], v[14:15]
	s_delay_alu instid0(VALU_DEP_1) | instskip(SKIP_1) | instid1(TRANS32_DEP_1)
	v_rcp_f64_e32 v[18:19], v[16:17]
	v_nop
	v_fma_f64 v[20:21], -v[16:17], v[18:19], 1.0
	s_delay_alu instid0(VALU_DEP_1) | instskip(NEXT) | instid1(VALU_DEP_1)
	v_fmac_f64_e32 v[18:19], v[18:19], v[20:21]
	v_fma_f64 v[20:21], -v[16:17], v[18:19], 1.0
	s_delay_alu instid0(VALU_DEP_1) | instskip(SKIP_1) | instid1(VALU_DEP_1)
	v_fmac_f64_e32 v[18:19], v[18:19], v[20:21]
	v_div_scale_f64 v[20:21], vcc_lo, v[14:15], v[12:13], v[14:15]
	v_mul_f64_e32 v[22:23], v[20:21], v[18:19]
	s_delay_alu instid0(VALU_DEP_1) | instskip(SKIP_1) | instid1(VALU_DEP_2)
	v_fma_f64 v[16:17], -v[16:17], v[22:23], v[20:21]
	v_mul_u64_e32 v[20:21], s[44:45], v[6:7]
	v_div_fmas_f64 v[16:17], v[16:17], v[18:19], v[22:23]
	v_lshlrev_b64_e32 v[18:19], 3, v[0:1]
	v_lshlrev_b64_e32 v[22:23], 3, v[4:5]
	s_delay_alu instid0(VALU_DEP_2) | instskip(NEXT) | instid1(VALU_DEP_1)
	v_lshl_add_u64 v[18:19], v[20:21], 3, v[18:19]
	v_mad_nc_u64_u32 v[20:21], s42, v18, v[22:23]
	s_delay_alu instid0(VALU_DEP_1) | instskip(SKIP_4) | instid1(VALU_DEP_4)
	v_mad_u32 v18, s43, v18, v21
	v_div_fixup_f64 v[12:13], v[16:17], v[12:13], v[14:15]
	s_wait_xcnt 0x0
	v_lshlrev_b64_e32 v[14:15], 3, v[8:9]
	v_mov_b64_e32 v[16:17], v[0:1]
	v_mad_u32 v21, s42, v19, v18
	s_delay_alu instid0(VALU_DEP_1) | instskip(NEXT) | instid1(VALU_DEP_1)
	v_sub_nc_u64_e32 v[14:15], v[20:21], v[14:15]
	v_add_nc_u64_e32 v[14:15], s[4:5], v[14:15]
.LBB4_38:                               ; =>This Inner Loop Header: Depth=1
	s_delay_alu instid0(VALU_DEP_4)
	v_add_nc_u64_e32 v[16:17], 1, v[16:17]
	global_store_b64 v[14:15], v[12:13], off
	s_wait_xcnt 0x0
	v_add_nc_u64_e32 v[14:15], s[0:1], v[14:15]
	v_cmp_ge_i64_e32 vcc_lo, v[16:17], v[2:3]
	s_or_b32 s3, vcc_lo, s3
	s_delay_alu instid0(SALU_CYCLE_1)
	s_and_not1_b32 exec_lo, exec_lo, s3
	s_cbranch_execnz .LBB4_38
.LBB4_39:
	s_or_b32 exec_lo, exec_lo, s2
.LBB4_40:
	s_branch .LBB4_54
.LBB4_41:
	v_mov_b64_e32 v[12:13], 0
	s_mov_b32 s1, exec_lo
	s_wait_loadcnt 0x0
	v_cmp_ge_i64_e32 vcc_lo, v[0:1], v[2:3]
	s_wait_xcnt 0x0
	v_cmpx_lt_i64_e64 v[0:1], v[2:3]
	s_cbranch_execz .LBB4_49
; %bb.42:
	v_mad_nc_u64_u32 v[12:13], v6, s44, v[0:1]
	v_mov_b64_e32 v[18:19], v[0:1]
	s_lshl_b64 s[2:3], s[42:43], 3
	s_delay_alu instid0(VALU_DEP_2) | instskip(NEXT) | instid1(VALU_DEP_3)
	v_mad_u32 v13, v7, s44, v13
	v_mad_nc_u64_u32 v[14:15], s42, v12, v[4:5]
	s_delay_alu instid0(VALU_DEP_2) | instskip(NEXT) | instid1(VALU_DEP_2)
	v_mad_u32 v13, v6, s45, v13
	v_mad_u32 v12, s43, v12, v15
	s_delay_alu instid0(VALU_DEP_1) | instskip(SKIP_1) | instid1(VALU_DEP_1)
	v_mad_u32 v15, s42, v13, v12
	v_lshlrev_b64_e32 v[12:13], 3, v[10:11]
	v_add_nc_u64_e32 v[10:11], s[8:9], v[12:13]
	s_delay_alu instid0(VALU_DEP_3) | instskip(SKIP_3) | instid1(VALU_DEP_3)
	v_sub_nc_u64_e32 v[16:17], v[14:15], v[8:9]
	v_add_nc_u64_e32 v[14:15], s[6:7], v[12:13]
	v_mov_b64_e32 v[12:13], 0
	s_mov_b32 s6, 0
	v_lshlrev_b64_e32 v[16:17], 3, v[16:17]
	s_branch .LBB4_44
.LBB4_43:                               ;   in Loop: Header=BB4_44 Depth=1
	s_wait_xcnt 0x0
	s_or_b32 exec_lo, exec_lo, s0
	v_add_nc_u64_e32 v[18:19], 1, v[18:19]
	v_add_nc_u64_e32 v[16:17], s[2:3], v[16:17]
	s_delay_alu instid0(VALU_DEP_2) | instskip(SKIP_1) | instid1(SALU_CYCLE_1)
	v_cmp_ge_i64_e64 s0, v[18:19], v[2:3]
	s_or_b32 s6, s0, s6
	s_and_not1_b32 exec_lo, exec_lo, s6
	s_cbranch_execz .LBB4_48
.LBB4_44:                               ; =>This Inner Loop Header: Depth=1
	s_delay_alu instid0(VALU_DEP_1)
	v_add_nc_u64_e32 v[20:21], s[10:11], v[16:17]
	s_mov_b32 s8, exec_lo
	global_load_b64 v[20:21], v[20:21], off
	s_wait_loadcnt 0x0
	v_cmp_u_f64_e64 s7, v[20:21], v[20:21]
	s_wait_xcnt 0x0
	v_cmpx_o_f64_e32 v[20:21], v[20:21]
	s_cbranch_execz .LBB4_46
; %bb.45:                               ;   in Loop: Header=BB4_44 Depth=1
	global_load_b64 v[22:23], v[10:11], off
	s_and_not1_b32 s7, s7, exec_lo
	s_wait_loadcnt 0x0
	v_cmp_eq_f64_e64 s0, v[20:21], v[22:23]
	s_and_b32 s0, s0, exec_lo
	s_delay_alu instid0(SALU_CYCLE_1)
	s_or_b32 s7, s7, s0
.LBB4_46:                               ;   in Loop: Header=BB4_44 Depth=1
	s_wait_xcnt 0x0
	s_or_b32 exec_lo, exec_lo, s8
	s_and_saveexec_b32 s0, s7
	s_cbranch_execz .LBB4_43
; %bb.47:                               ;   in Loop: Header=BB4_44 Depth=1
	global_load_b64 v[20:21], v[14:15], off
	v_add_nc_u64_e32 v[22:23], s[4:5], v[16:17]
	v_add_nc_u64_e32 v[12:13], 1, v[12:13]
	s_wait_loadcnt 0x0
	global_store_b64 v[22:23], v[20:21], off
	s_branch .LBB4_43
.LBB4_48:
	s_or_b32 exec_lo, exec_lo, s6
.LBB4_49:
	s_delay_alu instid0(SALU_CYCLE_1) | instskip(SKIP_2) | instid1(SALU_CYCLE_1)
	s_or_b32 exec_lo, exec_lo, s1
	v_cmp_lt_i64_e64 s0, 1, v[12:13]
	s_xor_b32 s1, vcc_lo, -1
	s_and_b32 s0, s0, s1
	s_delay_alu instid0(SALU_CYCLE_1)
	s_and_b32 exec_lo, exec_lo, s0
	s_cbranch_execz .LBB4_54
; %bb.50:
	v_cvt_f64_u32_e32 v[10:11], v13
	v_mul_u64_e32 v[6:7], s[44:45], v[6:7]
	v_cvt_f64_u32_e32 v[12:13], v12
	v_lshlrev_b64_e32 v[14:15], 3, v[0:1]
	v_lshlrev_b64_e32 v[4:5], 3, v[4:5]
	s_lshl_b64 s[0:1], s[42:43], 3
	s_mov_b32 s2, 0
	v_ldexp_f64 v[10:11], v[10:11], 32
	s_delay_alu instid0(VALU_DEP_3) | instskip(NEXT) | instid1(VALU_DEP_1)
	v_lshl_add_u64 v[6:7], v[6:7], 3, v[14:15]
	v_mad_nc_u64_u32 v[14:15], s42, v6, v[4:5]
	s_delay_alu instid0(VALU_DEP_1) | instskip(NEXT) | instid1(VALU_DEP_1)
	v_mad_u32 v6, s43, v6, v15
	v_mad_u32 v15, s42, v7, v6
	v_lshlrev_b64_e32 v[6:7], 3, v[8:9]
	v_add_f64_e32 v[4:5], v[10:11], v[12:13]
	s_delay_alu instid0(VALU_DEP_2) | instskip(NEXT) | instid1(VALU_DEP_1)
	v_sub_nc_u64_e32 v[6:7], v[14:15], v[6:7]
	v_add_nc_u64_e32 v[6:7], s[4:5], v[6:7]
	s_branch .LBB4_52
.LBB4_51:                               ;   in Loop: Header=BB4_52 Depth=1
	s_wait_xcnt 0x0
	s_or_b32 exec_lo, exec_lo, s3
	v_add_nc_u64_e32 v[0:1], 1, v[0:1]
	v_add_nc_u64_e32 v[6:7], s[0:1], v[6:7]
	s_delay_alu instid0(VALU_DEP_2) | instskip(SKIP_1) | instid1(SALU_CYCLE_1)
	v_cmp_ge_i64_e32 vcc_lo, v[0:1], v[2:3]
	s_or_b32 s2, vcc_lo, s2
	s_and_not1_b32 exec_lo, exec_lo, s2
	s_cbranch_execz .LBB4_54
.LBB4_52:                               ; =>This Inner Loop Header: Depth=1
	global_load_b64 v[8:9], v[6:7], off
	s_mov_b32 s3, exec_lo
	s_wait_loadcnt 0x0
	v_cmpx_lt_f64_e32 0, v[8:9]
	s_cbranch_execz .LBB4_51
; %bb.53:                               ;   in Loop: Header=BB4_52 Depth=1
	v_div_scale_f64 v[10:11], null, v[4:5], v[4:5], v[8:9]
	s_delay_alu instid0(VALU_DEP_1) | instskip(SKIP_1) | instid1(TRANS32_DEP_1)
	v_rcp_f64_e32 v[12:13], v[10:11]
	v_nop
	v_fma_f64 v[14:15], -v[10:11], v[12:13], 1.0
	s_delay_alu instid0(VALU_DEP_1) | instskip(NEXT) | instid1(VALU_DEP_1)
	v_fmac_f64_e32 v[12:13], v[12:13], v[14:15]
	v_fma_f64 v[14:15], -v[10:11], v[12:13], 1.0
	s_delay_alu instid0(VALU_DEP_1) | instskip(SKIP_1) | instid1(VALU_DEP_1)
	v_fmac_f64_e32 v[12:13], v[12:13], v[14:15]
	v_div_scale_f64 v[14:15], vcc_lo, v[8:9], v[4:5], v[8:9]
	v_mul_f64_e32 v[16:17], v[14:15], v[12:13]
	s_delay_alu instid0(VALU_DEP_1) | instskip(NEXT) | instid1(VALU_DEP_1)
	v_fma_f64 v[10:11], -v[10:11], v[16:17], v[14:15]
	v_div_fmas_f64 v[10:11], v[10:11], v[12:13], v[16:17]
	s_delay_alu instid0(VALU_DEP_1)
	v_div_fixup_f64 v[8:9], v[10:11], v[4:5], v[8:9]
	global_store_b64 v[6:7], v[8:9], off
	s_branch .LBB4_51
.LBB4_54:
	s_endpgm
	.section	.rodata,"a",@progbits
	.p2align	6, 0x0
	.amdhsa_kernel _ZN2at6native12_GLOBAL__N_130segment_reduce_backward_kernelIdlEEvNS0_13ReductionTypeEPT_PKS4_S7_S7_PKT0_SA_llS4_lllllll
		.amdhsa_group_segment_fixed_size 0
		.amdhsa_private_segment_fixed_size 0
		.amdhsa_kernarg_size 392
		.amdhsa_user_sgpr_count 2
		.amdhsa_user_sgpr_dispatch_ptr 0
		.amdhsa_user_sgpr_queue_ptr 0
		.amdhsa_user_sgpr_kernarg_segment_ptr 1
		.amdhsa_user_sgpr_dispatch_id 0
		.amdhsa_user_sgpr_kernarg_preload_length 0
		.amdhsa_user_sgpr_kernarg_preload_offset 0
		.amdhsa_user_sgpr_private_segment_size 0
		.amdhsa_wavefront_size32 1
		.amdhsa_uses_dynamic_stack 0
		.amdhsa_enable_private_segment 0
		.amdhsa_system_sgpr_workgroup_id_x 1
		.amdhsa_system_sgpr_workgroup_id_y 0
		.amdhsa_system_sgpr_workgroup_id_z 0
		.amdhsa_system_sgpr_workgroup_info 0
		.amdhsa_system_vgpr_workitem_id 0
		.amdhsa_next_free_vgpr 36
		.amdhsa_next_free_sgpr 52
		.amdhsa_named_barrier_count 0
		.amdhsa_reserve_vcc 1
		.amdhsa_float_round_mode_32 0
		.amdhsa_float_round_mode_16_64 0
		.amdhsa_float_denorm_mode_32 3
		.amdhsa_float_denorm_mode_16_64 3
		.amdhsa_fp16_overflow 0
		.amdhsa_memory_ordered 1
		.amdhsa_forward_progress 1
		.amdhsa_inst_pref_size 28
		.amdhsa_round_robin_scheduling 0
		.amdhsa_exception_fp_ieee_invalid_op 0
		.amdhsa_exception_fp_denorm_src 0
		.amdhsa_exception_fp_ieee_div_zero 0
		.amdhsa_exception_fp_ieee_overflow 0
		.amdhsa_exception_fp_ieee_underflow 0
		.amdhsa_exception_fp_ieee_inexact 0
		.amdhsa_exception_int_div_zero 0
	.end_amdhsa_kernel
	.section	.text._ZN2at6native12_GLOBAL__N_130segment_reduce_backward_kernelIdlEEvNS0_13ReductionTypeEPT_PKS4_S7_S7_PKT0_SA_llS4_lllllll,"axG",@progbits,_ZN2at6native12_GLOBAL__N_130segment_reduce_backward_kernelIdlEEvNS0_13ReductionTypeEPT_PKS4_S7_S7_PKT0_SA_llS4_lllllll,comdat
.Lfunc_end4:
	.size	_ZN2at6native12_GLOBAL__N_130segment_reduce_backward_kernelIdlEEvNS0_13ReductionTypeEPT_PKS4_S7_S7_PKT0_SA_llS4_lllllll, .Lfunc_end4-_ZN2at6native12_GLOBAL__N_130segment_reduce_backward_kernelIdlEEvNS0_13ReductionTypeEPT_PKS4_S7_S7_PKT0_SA_llS4_lllllll
                                        ; -- End function
	.set _ZN2at6native12_GLOBAL__N_130segment_reduce_backward_kernelIdlEEvNS0_13ReductionTypeEPT_PKS4_S7_S7_PKT0_SA_llS4_lllllll.num_vgpr, 36
	.set _ZN2at6native12_GLOBAL__N_130segment_reduce_backward_kernelIdlEEvNS0_13ReductionTypeEPT_PKS4_S7_S7_PKT0_SA_llS4_lllllll.num_agpr, 0
	.set _ZN2at6native12_GLOBAL__N_130segment_reduce_backward_kernelIdlEEvNS0_13ReductionTypeEPT_PKS4_S7_S7_PKT0_SA_llS4_lllllll.numbered_sgpr, 52
	.set _ZN2at6native12_GLOBAL__N_130segment_reduce_backward_kernelIdlEEvNS0_13ReductionTypeEPT_PKS4_S7_S7_PKT0_SA_llS4_lllllll.num_named_barrier, 0
	.set _ZN2at6native12_GLOBAL__N_130segment_reduce_backward_kernelIdlEEvNS0_13ReductionTypeEPT_PKS4_S7_S7_PKT0_SA_llS4_lllllll.private_seg_size, 0
	.set _ZN2at6native12_GLOBAL__N_130segment_reduce_backward_kernelIdlEEvNS0_13ReductionTypeEPT_PKS4_S7_S7_PKT0_SA_llS4_lllllll.uses_vcc, 1
	.set _ZN2at6native12_GLOBAL__N_130segment_reduce_backward_kernelIdlEEvNS0_13ReductionTypeEPT_PKS4_S7_S7_PKT0_SA_llS4_lllllll.uses_flat_scratch, 0
	.set _ZN2at6native12_GLOBAL__N_130segment_reduce_backward_kernelIdlEEvNS0_13ReductionTypeEPT_PKS4_S7_S7_PKT0_SA_llS4_lllllll.has_dyn_sized_stack, 0
	.set _ZN2at6native12_GLOBAL__N_130segment_reduce_backward_kernelIdlEEvNS0_13ReductionTypeEPT_PKS4_S7_S7_PKT0_SA_llS4_lllllll.has_recursion, 0
	.set _ZN2at6native12_GLOBAL__N_130segment_reduce_backward_kernelIdlEEvNS0_13ReductionTypeEPT_PKS4_S7_S7_PKT0_SA_llS4_lllllll.has_indirect_call, 0
	.section	.AMDGPU.csdata,"",@progbits
; Kernel info:
; codeLenInByte = 3552
; TotalNumSgprs: 54
; NumVgprs: 36
; ScratchSize: 0
; MemoryBound: 1
; FloatMode: 240
; IeeeMode: 1
; LDSByteSize: 0 bytes/workgroup (compile time only)
; SGPRBlocks: 0
; VGPRBlocks: 2
; NumSGPRsForWavesPerEU: 54
; NumVGPRsForWavesPerEU: 36
; NamedBarCnt: 0
; Occupancy: 16
; WaveLimiterHint : 0
; COMPUTE_PGM_RSRC2:SCRATCH_EN: 0
; COMPUTE_PGM_RSRC2:USER_SGPR: 2
; COMPUTE_PGM_RSRC2:TRAP_HANDLER: 0
; COMPUTE_PGM_RSRC2:TGID_X_EN: 1
; COMPUTE_PGM_RSRC2:TGID_Y_EN: 0
; COMPUTE_PGM_RSRC2:TGID_Z_EN: 0
; COMPUTE_PGM_RSRC2:TIDIG_COMP_CNT: 0
	.section	.text._ZN2at6native12_GLOBAL__N_130segment_reduce_backward_kernelIflEEvNS0_13ReductionTypeEPT_PKS4_S7_S7_PKT0_SA_llS4_lllllll,"axG",@progbits,_ZN2at6native12_GLOBAL__N_130segment_reduce_backward_kernelIflEEvNS0_13ReductionTypeEPT_PKS4_S7_S7_PKT0_SA_llS4_lllllll,comdat
	.globl	_ZN2at6native12_GLOBAL__N_130segment_reduce_backward_kernelIflEEvNS0_13ReductionTypeEPT_PKS4_S7_S7_PKT0_SA_llS4_lllllll ; -- Begin function _ZN2at6native12_GLOBAL__N_130segment_reduce_backward_kernelIflEEvNS0_13ReductionTypeEPT_PKS4_S7_S7_PKT0_SA_llS4_lllllll
	.p2align	8
	.type	_ZN2at6native12_GLOBAL__N_130segment_reduce_backward_kernelIflEEvNS0_13ReductionTypeEPT_PKS4_S7_S7_PKT0_SA_llS4_lllllll,@function
_ZN2at6native12_GLOBAL__N_130segment_reduce_backward_kernelIflEEvNS0_13ReductionTypeEPT_PKS4_S7_S7_PKT0_SA_llS4_lllllll: ; @_ZN2at6native12_GLOBAL__N_130segment_reduce_backward_kernelIflEEvNS0_13ReductionTypeEPT_PKS4_S7_S7_PKT0_SA_llS4_lllllll
; %bb.0:
	s_clause 0x2
	s_load_b32 s2, s[0:1], 0x94
	s_load_b512 s[4:19], s[0:1], 0x8
	s_load_b256 s[20:27], s[0:1], 0x50
	s_bfe_u32 s3, ttmp6, 0x4000c
	v_mov_b32_e32 v2, 0
	s_add_co_i32 s3, s3, 1
	s_and_b32 s28, ttmp6, 15
	s_mul_i32 s3, ttmp9, s3
	s_getreg_b32 s29, hwreg(HW_REG_IB_STS2, 6, 4)
	v_mov_b32_e32 v1, v2
	s_add_co_i32 s28, s28, s3
	s_wait_kmcnt 0x0
	s_and_b32 s2, s2, 0xffff
	s_cmp_eq_u32 s29, 0
	s_cselect_b32 s3, ttmp9, s28
	s_delay_alu instid0(SALU_CYCLE_1) | instskip(SKIP_1) | instid1(SALU_CYCLE_1)
	v_mad_nc_u64_u32 v[4:5], s2, s3, v[0:1]
	s_mul_u64 s[2:3], s[20:21], s[16:17]
	s_mul_u64 s[2:3], s[2:3], s[22:23]
	s_delay_alu instid0(VALU_DEP_1) | instid1(SALU_CYCLE_1)
	v_cmp_gt_i64_e32 vcc_lo, s[2:3], v[4:5]
	s_and_saveexec_b32 s2, vcc_lo
	s_cbranch_execz .LBB5_75
; %bb.1:
	v_or_b32_e32 v3, s23, v5
                                        ; implicit-def: $vgpr6_vgpr7
	s_mov_b32 s2, exec_lo
	s_delay_alu instid0(VALU_DEP_1)
	v_cmpx_ne_u64_e32 0, v[2:3]
	s_xor_b32 s3, exec_lo, s2
	s_cbranch_execz .LBB5_3
; %bb.2:
	s_ashr_i32 s20, s23, 31
	s_mov_b32 s39, 0
	s_mov_b32 s21, s20
	v_dual_mov_b32 v7, 0 :: v_dual_ashrrev_i32 v0, 31, v5
	s_add_nc_u64 s[28:29], s[22:23], s[20:21]
	s_delay_alu instid0(SALU_CYCLE_1) | instskip(NEXT) | instid1(VALU_DEP_1)
	s_xor_b64 s[28:29], s[28:29], s[20:21]
	v_mov_b32_e32 v1, v0
	s_cvt_f32_u32 s2, s28
	s_cvt_f32_u32 s21, s29
	s_sub_nc_u64 s[34:35], 0, s[28:29]
	v_dual_mov_b32 v9, v7 :: v_dual_mov_b32 v15, v7
	s_delay_alu instid0(SALU_CYCLE_1) | instskip(SKIP_1) | instid1(SALU_CYCLE_2)
	s_fmamk_f32 s2, s21, 0x4f800000, s2
	v_add_nc_u64_e32 v[2:3], v[4:5], v[0:1]
	v_s_rcp_f32 s2, s2
	s_delay_alu instid0(VALU_DEP_1) | instskip(NEXT) | instid1(VALU_DEP_2)
	v_xor_b32_e32 v6, v2, v0
	v_xor_b32_e32 v8, v3, v0
	;; [unrolled: 1-line block ×3, first 2 shown]
	s_delay_alu instid0(TRANS32_DEP_1) | instskip(NEXT) | instid1(SALU_CYCLE_3)
	s_mul_f32 s2, s2, 0x5f7ffffc
	s_mul_f32 s21, s2, 0x2f800000
	s_delay_alu instid0(SALU_CYCLE_3) | instskip(NEXT) | instid1(SALU_CYCLE_3)
	s_trunc_f32 s21, s21
	s_fmamk_f32 s2, s21, 0xcf800000, s2
	s_cvt_u32_f32 s31, s21
	s_delay_alu instid0(SALU_CYCLE_2) | instskip(NEXT) | instid1(SALU_CYCLE_3)
	s_cvt_u32_f32 s30, s2
	s_mul_u64 s[36:37], s[34:35], s[30:31]
	s_delay_alu instid0(SALU_CYCLE_1)
	s_mul_hi_u32 s41, s30, s37
	s_mul_i32 s40, s30, s37
	s_mul_hi_u32 s38, s30, s36
	s_mul_i32 s21, s31, s36
	s_add_nc_u64 s[40:41], s[38:39], s[40:41]
	s_mul_hi_u32 s2, s31, s36
	s_mul_hi_u32 s33, s31, s37
	s_add_co_u32 s21, s40, s21
	s_add_co_ci_u32 s38, s41, s2
	s_mul_i32 s36, s31, s37
	s_add_co_ci_u32 s37, s33, 0
	s_delay_alu instid0(SALU_CYCLE_1) | instskip(NEXT) | instid1(SALU_CYCLE_1)
	s_add_nc_u64 s[36:37], s[38:39], s[36:37]
	s_add_co_u32 s30, s30, s36
	s_cselect_b32 s2, -1, 0
	s_delay_alu instid0(SALU_CYCLE_1) | instskip(SKIP_1) | instid1(SALU_CYCLE_1)
	s_cmp_lg_u32 s2, 0
	s_add_co_ci_u32 s31, s31, s37
	s_mul_u64 s[34:35], s[34:35], s[30:31]
	s_delay_alu instid0(SALU_CYCLE_1)
	s_mul_hi_u32 s37, s30, s35
	s_mul_i32 s36, s30, s35
	s_mul_hi_u32 s38, s30, s34
	s_mul_i32 s21, s31, s34
	s_add_nc_u64 s[36:37], s[38:39], s[36:37]
	s_mul_hi_u32 s2, s31, s34
	s_mul_hi_u32 s33, s31, s35
	s_add_co_u32 s21, s36, s21
	s_add_co_ci_u32 s38, s37, s2
	s_mul_i32 s34, s31, s35
	s_add_co_ci_u32 s35, s33, 0
	s_delay_alu instid0(SALU_CYCLE_1) | instskip(NEXT) | instid1(SALU_CYCLE_1)
	s_add_nc_u64 s[34:35], s[38:39], s[34:35]
	s_add_co_u32 s2, s30, s34
	s_cselect_b32 s21, -1, 0
	v_mul_hi_u32 v14, v6, s2
	s_cmp_lg_u32 s21, 0
	s_add_co_ci_u32 s38, s31, s35
	s_mov_b64 s[30:31], 0xffffffff
	v_mul_u64_e32 v[10:11], s[38:39], v[6:7]
	s_and_b64 s[30:31], s[2:3], s[30:31]
	v_mul_u64_e32 v[12:13], s[38:39], v[8:9]
	v_mul_u64_e32 v[2:3], s[30:31], v[8:9]
	s_delay_alu instid0(VALU_DEP_3) | instskip(NEXT) | instid1(VALU_DEP_1)
	v_add_nc_u64_e32 v[10:11], v[14:15], v[10:11]
	v_add_co_u32 v1, vcc_lo, v10, v2
	s_delay_alu instid0(VALU_DEP_2) | instskip(SKIP_1) | instid1(VALU_DEP_1)
	v_add_co_ci_u32_e32 v14, vcc_lo, v11, v3, vcc_lo
	v_add_co_ci_u32_e32 v13, vcc_lo, 0, v13, vcc_lo
	v_add_nc_u64_e32 v[2:3], v[14:15], v[12:13]
	s_delay_alu instid0(VALU_DEP_1) | instskip(NEXT) | instid1(VALU_DEP_1)
	v_mul_u64_e32 v[10:11], s[28:29], v[2:3]
	v_sub_nc_u32_e32 v1, v8, v11
	s_delay_alu instid0(VALU_DEP_2) | instskip(NEXT) | instid1(VALU_DEP_1)
	v_sub_co_u32 v6, vcc_lo, v6, v10
	v_sub_co_ci_u32_e64 v10, null, v8, v11, vcc_lo
	s_delay_alu instid0(VALU_DEP_3) | instskip(NEXT) | instid1(VALU_DEP_3)
	v_subrev_co_ci_u32_e64 v1, null, s29, v1, vcc_lo
	v_sub_co_u32 v7, s2, v6, s28
	s_delay_alu instid0(VALU_DEP_1) | instskip(NEXT) | instid1(VALU_DEP_2)
	v_subrev_co_ci_u32_e64 v1, null, 0, v1, s2
	v_cmp_le_u32_e32 vcc_lo, s28, v7
	v_cndmask_b32_e64 v7, 0, -1, vcc_lo
	s_delay_alu instid0(VALU_DEP_3)
	v_cmp_le_u32_e32 vcc_lo, s29, v1
	v_cndmask_b32_e64 v8, 0, -1, vcc_lo
	v_cmp_le_u32_e32 vcc_lo, s28, v6
	v_cndmask_b32_e64 v11, 0, -1, vcc_lo
	v_cmp_le_u32_e32 vcc_lo, s29, v10
	v_cndmask_b32_e64 v12, 0, -1, vcc_lo
	v_cmp_eq_u32_e32 vcc_lo, s29, v1
	v_cndmask_b32_e32 v1, v8, v7, vcc_lo
	v_cmp_eq_u32_e32 vcc_lo, s29, v10
	v_add_nc_u64_e32 v[6:7], 2, v[2:3]
	v_add_nc_u64_e32 v[8:9], 1, v[2:3]
	v_cndmask_b32_e32 v10, v12, v11, vcc_lo
	v_cmp_ne_u32_e32 vcc_lo, 0, v1
	s_delay_alu instid0(VALU_DEP_2) | instskip(NEXT) | instid1(VALU_DEP_4)
	v_cmp_ne_u32_e64 s2, 0, v10
	v_dual_cndmask_b32 v6, v8, v6 :: v_dual_cndmask_b32 v1, v9, v7
	s_delay_alu instid0(VALU_DEP_1) | instskip(NEXT) | instid1(VALU_DEP_1)
	v_dual_cndmask_b32 v2, v2, v6, s2 :: v_dual_cndmask_b32 v3, v3, v1, s2
	v_dual_mov_b32 v1, v0 :: v_dual_bitop2_b32 v2, v2, v0 bitop3:0x14
	s_delay_alu instid0(VALU_DEP_2) | instskip(NEXT) | instid1(VALU_DEP_1)
	v_xor_b32_e32 v3, v3, v0
	v_sub_nc_u64_e32 v[6:7], v[2:3], v[0:1]
.LBB5_3:
	s_and_not1_saveexec_b32 s2, s3
	s_cbranch_execz .LBB5_5
; %bb.4:
	v_cvt_f32_u32_e32 v0, s22
	s_sub_co_i32 s3, 0, s22
	v_mov_b32_e32 v7, 0
	s_delay_alu instid0(VALU_DEP_2) | instskip(SKIP_1) | instid1(TRANS32_DEP_1)
	v_rcp_iflag_f32_e32 v0, v0
	v_nop
	v_mul_f32_e32 v0, 0x4f7ffffe, v0
	s_delay_alu instid0(VALU_DEP_1) | instskip(NEXT) | instid1(VALU_DEP_1)
	v_cvt_u32_f32_e32 v0, v0
	v_mul_lo_u32 v1, s3, v0
	s_delay_alu instid0(VALU_DEP_1) | instskip(NEXT) | instid1(VALU_DEP_1)
	v_mul_hi_u32 v1, v0, v1
	v_add_nc_u32_e32 v0, v0, v1
	s_delay_alu instid0(VALU_DEP_1) | instskip(NEXT) | instid1(VALU_DEP_1)
	v_mul_hi_u32 v0, v4, v0
	v_mul_lo_u32 v1, v0, s22
	s_delay_alu instid0(VALU_DEP_1) | instskip(NEXT) | instid1(VALU_DEP_1)
	v_dual_add_nc_u32 v2, 1, v0 :: v_dual_sub_nc_u32 v1, v4, v1
	v_subrev_nc_u32_e32 v3, s22, v1
	v_cmp_le_u32_e32 vcc_lo, s22, v1
	s_delay_alu instid0(VALU_DEP_2) | instskip(NEXT) | instid1(VALU_DEP_1)
	v_dual_cndmask_b32 v1, v1, v3 :: v_dual_cndmask_b32 v0, v0, v2
	v_cmp_le_u32_e32 vcc_lo, s22, v1
	s_delay_alu instid0(VALU_DEP_2) | instskip(NEXT) | instid1(VALU_DEP_1)
	v_add_nc_u32_e32 v2, 1, v0
	v_cndmask_b32_e32 v6, v0, v2, vcc_lo
.LBB5_5:
	s_or_b32 exec_lo, exec_lo, s2
	s_delay_alu instid0(VALU_DEP_1) | instskip(SKIP_1) | instid1(VALU_DEP_1)
	v_dual_mov_b32 v0, 0 :: v_dual_bitop2_b32 v1, s17, v7 bitop3:0x54
                                        ; implicit-def: $vgpr8_vgpr9
	s_mov_b32 s2, exec_lo
	v_cmpx_ne_u64_e32 0, v[0:1]
	s_xor_b32 s3, exec_lo, s2
	s_cbranch_execz .LBB5_7
; %bb.6:
	s_ashr_i32 s20, s17, 31
	s_mov_b32 s39, 0
	s_mov_b32 s21, s20
	v_dual_mov_b32 v11, v0 :: v_dual_ashrrev_i32 v2, 31, v7
	s_add_nc_u64 s[28:29], s[16:17], s[20:21]
	v_dual_mov_b32 v19, v0 :: v_dual_mov_b32 v1, v0
	s_xor_b64 s[28:29], s[28:29], s[20:21]
	s_delay_alu instid0(VALU_DEP_2) | instskip(SKIP_3) | instid1(VALU_DEP_1)
	v_mov_b32_e32 v3, v2
	s_cvt_f32_u32 s2, s28
	s_cvt_f32_u32 s21, s29
	s_sub_nc_u64 s[34:35], 0, s[28:29]
	v_add_nc_u64_e32 v[8:9], v[6:7], v[2:3]
	s_delay_alu instid0(SALU_CYCLE_1) | instskip(SKIP_1) | instid1(SALU_CYCLE_2)
	s_fmamk_f32 s2, s21, 0x4f800000, s2
	v_mov_b32_e32 v13, v0
	v_s_rcp_f32 s2, s2
	s_delay_alu instid0(VALU_DEP_2) | instskip(NEXT) | instid1(VALU_DEP_3)
	v_xor_b32_e32 v10, v8, v2
	v_xor_b32_e32 v12, v9, v2
	;; [unrolled: 1-line block ×3, first 2 shown]
	s_delay_alu instid0(TRANS32_DEP_1) | instskip(NEXT) | instid1(SALU_CYCLE_3)
	s_mul_f32 s2, s2, 0x5f7ffffc
	s_mul_f32 s21, s2, 0x2f800000
	s_delay_alu instid0(SALU_CYCLE_3) | instskip(NEXT) | instid1(SALU_CYCLE_3)
	s_trunc_f32 s21, s21
	s_fmamk_f32 s2, s21, 0xcf800000, s2
	s_cvt_u32_f32 s31, s21
	s_delay_alu instid0(SALU_CYCLE_2) | instskip(NEXT) | instid1(SALU_CYCLE_3)
	s_cvt_u32_f32 s30, s2
	s_mul_u64 s[36:37], s[34:35], s[30:31]
	s_delay_alu instid0(SALU_CYCLE_1)
	s_mul_hi_u32 s41, s30, s37
	s_mul_i32 s40, s30, s37
	s_mul_hi_u32 s38, s30, s36
	s_mul_i32 s21, s31, s36
	s_add_nc_u64 s[40:41], s[38:39], s[40:41]
	s_mul_hi_u32 s2, s31, s36
	s_mul_hi_u32 s33, s31, s37
	s_add_co_u32 s21, s40, s21
	s_add_co_ci_u32 s38, s41, s2
	s_mul_i32 s36, s31, s37
	s_add_co_ci_u32 s37, s33, 0
	s_delay_alu instid0(SALU_CYCLE_1) | instskip(NEXT) | instid1(SALU_CYCLE_1)
	s_add_nc_u64 s[36:37], s[38:39], s[36:37]
	s_add_co_u32 s30, s30, s36
	s_cselect_b32 s2, -1, 0
	s_delay_alu instid0(SALU_CYCLE_1) | instskip(SKIP_1) | instid1(SALU_CYCLE_1)
	s_cmp_lg_u32 s2, 0
	s_add_co_ci_u32 s31, s31, s37
	s_mul_u64 s[34:35], s[34:35], s[30:31]
	s_delay_alu instid0(SALU_CYCLE_1)
	s_mul_hi_u32 s37, s30, s35
	s_mul_i32 s36, s30, s35
	s_mul_hi_u32 s38, s30, s34
	s_mul_i32 s21, s31, s34
	s_add_nc_u64 s[36:37], s[38:39], s[36:37]
	s_mul_hi_u32 s2, s31, s34
	s_mul_hi_u32 s33, s31, s35
	s_add_co_u32 s21, s36, s21
	s_add_co_ci_u32 s38, s37, s2
	s_mul_i32 s34, s31, s35
	s_add_co_ci_u32 s35, s33, 0
	s_delay_alu instid0(SALU_CYCLE_1) | instskip(NEXT) | instid1(SALU_CYCLE_1)
	s_add_nc_u64 s[34:35], s[38:39], s[34:35]
	s_add_co_u32 s2, s30, s34
	s_cselect_b32 s21, -1, 0
	v_mul_hi_u32 v18, v10, s2
	s_cmp_lg_u32 s21, 0
	s_add_co_ci_u32 s38, s31, s35
	s_mov_b64 s[30:31], 0xffffffff
	v_mul_u64_e32 v[14:15], s[38:39], v[10:11]
	s_and_b64 s[30:31], s[2:3], s[30:31]
	v_mul_u64_e32 v[16:17], s[38:39], v[12:13]
	v_mul_u64_e32 v[8:9], s[30:31], v[12:13]
	s_delay_alu instid0(VALU_DEP_3) | instskip(NEXT) | instid1(VALU_DEP_1)
	v_add_nc_u64_e32 v[14:15], v[18:19], v[14:15]
	v_add_co_u32 v0, vcc_lo, v14, v8
	s_delay_alu instid0(VALU_DEP_2) | instskip(SKIP_1) | instid1(VALU_DEP_1)
	v_add_co_ci_u32_e32 v0, vcc_lo, v15, v9, vcc_lo
	v_add_co_ci_u32_e32 v17, vcc_lo, 0, v17, vcc_lo
	v_add_nc_u64_e32 v[0:1], v[0:1], v[16:17]
	s_delay_alu instid0(VALU_DEP_1) | instskip(NEXT) | instid1(VALU_DEP_1)
	v_mul_u64_e32 v[8:9], s[28:29], v[0:1]
	v_sub_nc_u32_e32 v3, v12, v9
	s_delay_alu instid0(VALU_DEP_2) | instskip(NEXT) | instid1(VALU_DEP_1)
	v_sub_co_u32 v8, vcc_lo, v10, v8
	v_sub_co_ci_u32_e64 v12, null, v12, v9, vcc_lo
	s_delay_alu instid0(VALU_DEP_3) | instskip(NEXT) | instid1(VALU_DEP_3)
	v_subrev_co_ci_u32_e64 v3, null, s29, v3, vcc_lo
	v_sub_co_u32 v10, s2, v8, s28
	s_delay_alu instid0(VALU_DEP_1) | instskip(NEXT) | instid1(VALU_DEP_2)
	v_subrev_co_ci_u32_e64 v3, null, 0, v3, s2
	v_cmp_le_u32_e32 vcc_lo, s28, v10
	v_cndmask_b32_e64 v9, 0, -1, vcc_lo
	s_delay_alu instid0(VALU_DEP_3)
	v_cmp_le_u32_e32 vcc_lo, s29, v3
	v_cndmask_b32_e64 v10, 0, -1, vcc_lo
	v_cmp_le_u32_e32 vcc_lo, s28, v8
	v_cndmask_b32_e64 v13, 0, -1, vcc_lo
	;; [unrolled: 2-line block ×3, first 2 shown]
	v_cmp_eq_u32_e32 vcc_lo, s29, v3
	v_cndmask_b32_e32 v3, v10, v9, vcc_lo
	v_cmp_eq_u32_e32 vcc_lo, s29, v12
	v_add_nc_u64_e32 v[8:9], 2, v[0:1]
	v_add_nc_u64_e32 v[10:11], 1, v[0:1]
	v_cndmask_b32_e32 v12, v14, v13, vcc_lo
	v_cmp_ne_u32_e32 vcc_lo, 0, v3
	s_delay_alu instid0(VALU_DEP_2) | instskip(NEXT) | instid1(VALU_DEP_4)
	v_cmp_ne_u32_e64 s2, 0, v12
	v_dual_cndmask_b32 v8, v10, v8 :: v_dual_cndmask_b32 v3, v11, v9
	s_delay_alu instid0(VALU_DEP_1) | instskip(NEXT) | instid1(VALU_DEP_1)
	v_dual_cndmask_b32 v0, v0, v8, s2 :: v_dual_cndmask_b32 v1, v1, v3, s2
	v_dual_mov_b32 v3, v2 :: v_dual_bitop2_b32 v0, v0, v2 bitop3:0x14
	s_delay_alu instid0(VALU_DEP_2) | instskip(NEXT) | instid1(VALU_DEP_1)
	v_xor_b32_e32 v1, v1, v2
	v_sub_nc_u64_e32 v[8:9], v[0:1], v[2:3]
.LBB5_7:
	s_and_not1_saveexec_b32 s2, s3
	s_cbranch_execz .LBB5_9
; %bb.8:
	v_cvt_f32_u32_e32 v0, s16
	s_sub_co_i32 s3, 0, s16
	v_mov_b32_e32 v9, 0
	s_delay_alu instid0(VALU_DEP_2) | instskip(SKIP_1) | instid1(TRANS32_DEP_1)
	v_rcp_iflag_f32_e32 v0, v0
	v_nop
	v_mul_f32_e32 v0, 0x4f7ffffe, v0
	s_delay_alu instid0(VALU_DEP_1) | instskip(NEXT) | instid1(VALU_DEP_1)
	v_cvt_u32_f32_e32 v0, v0
	v_mul_lo_u32 v1, s3, v0
	s_delay_alu instid0(VALU_DEP_1) | instskip(NEXT) | instid1(VALU_DEP_1)
	v_mul_hi_u32 v1, v0, v1
	v_add_nc_u32_e32 v0, v0, v1
	s_delay_alu instid0(VALU_DEP_1) | instskip(NEXT) | instid1(VALU_DEP_1)
	v_mul_hi_u32 v0, v6, v0
	v_mul_lo_u32 v1, v0, s16
	s_delay_alu instid0(VALU_DEP_1) | instskip(NEXT) | instid1(VALU_DEP_1)
	v_dual_add_nc_u32 v2, 1, v0 :: v_dual_sub_nc_u32 v1, v6, v1
	v_subrev_nc_u32_e32 v3, s16, v1
	v_cmp_le_u32_e32 vcc_lo, s16, v1
	s_delay_alu instid0(VALU_DEP_2) | instskip(NEXT) | instid1(VALU_DEP_1)
	v_dual_cndmask_b32 v1, v1, v3 :: v_dual_cndmask_b32 v0, v0, v2
	v_cmp_le_u32_e32 vcc_lo, s16, v1
	s_delay_alu instid0(VALU_DEP_2) | instskip(NEXT) | instid1(VALU_DEP_1)
	v_add_nc_u32_e32 v2, 1, v0
	v_cndmask_b32_e32 v8, v0, v2, vcc_lo
.LBB5_9:
	s_or_b32 exec_lo, exec_lo, s2
	s_delay_alu instid0(VALU_DEP_1) | instskip(NEXT) | instid1(VALU_DEP_1)
	v_mul_u64_e32 v[0:1], s[16:17], v[8:9]
	v_mul_u64_e32 v[2:3], s[18:19], v[0:1]
	v_sub_nc_u64_e32 v[10:11], v[6:7], v[0:1]
	s_delay_alu instid0(VALU_DEP_2) | instskip(NEXT) | instid1(VALU_DEP_1)
	v_lshl_add_u64 v[0:1], v[2:3], 3, s[12:13]
	v_lshl_add_u64 v[0:1], v[10:11], 3, v[0:1]
	global_load_b64 v[14:15], v[0:1], off
	s_wait_loadcnt 0x0
	v_cmp_ne_u64_e32 vcc_lo, 0, v[14:15]
	s_and_b32 exec_lo, exec_lo, vcc_lo
	s_cbranch_execz .LBB5_75
; %bb.10:
	s_load_b256 s[36:43], s[0:1], 0x70
	s_add_nc_u64 s[2:3], s[16:17], 1
	v_mul_u64_e32 v[6:7], s[22:23], v[6:7]
	s_wait_kmcnt 0x0
	s_mul_u64 s[2:3], s[40:41], s[2:3]
	v_mad_nc_u64_u32 v[16:17], v8, s38, v[10:11]
	v_mul_u64_e32 v[0:1], s[2:3], v[8:9]
	s_delay_alu instid0(VALU_DEP_2) | instskip(NEXT) | instid1(VALU_DEP_1)
	v_mad_u32 v12, v9, s38, v17
	v_mad_u32 v17, v8, s39, v12
	s_delay_alu instid0(VALU_DEP_3) | instskip(SKIP_1) | instid1(VALU_DEP_1)
	v_lshl_add_u64 v[0:1], v[0:1], 3, s[14:15]
	s_load_b32 s14, s[0:1], 0x0
	v_lshl_add_u64 v[0:1], v[10:11], 3, v[0:1]
	v_sub_nc_u64_e32 v[10:11], v[4:5], v[6:7]
	global_load_b128 v[0:3], v[0:1], off
	v_mad_nc_u64_u32 v[12:13], v16, s36, v[10:11]
	s_wait_kmcnt 0x0
	s_and_b32 s2, s14, -3
	s_delay_alu instid0(SALU_CYCLE_1) | instskip(NEXT) | instid1(VALU_DEP_1)
	s_cmp_lg_u32 s2, 0
	v_mad_u32 v13, v17, s36, v13
	s_delay_alu instid0(VALU_DEP_1)
	v_mad_u32 v13, v16, s37, v13
	s_cbranch_scc0 .LBB5_25
; %bb.11:
	s_cmp_lt_i32 s14, 3
	s_mov_b32 s2, -1
	s_cbranch_scc1 .LBB5_39
; %bb.12:
	s_cmp_lt_i32 s14, 4
	s_cbranch_scc1 .LBB5_28
; %bb.13:
	s_cmp_eq_u32 s14, 4
	s_cbranch_scc0 .LBB5_27
; %bb.14:
	s_mov_b32 s15, exec_lo
	s_wait_loadcnt 0x0
	v_cmpx_gt_i64_e64 v[2:3], v[0:1]
	s_cbranch_execz .LBB5_26
; %bb.15:
	v_lshlrev_b64_e32 v[18:19], 2, v[12:13]
	v_mul_u64_e32 v[20:21], s[26:27], v[8:9]
	v_lshlrev_b64_e32 v[22:23], 2, v[4:5]
	s_load_b32 s16, s[0:1], 0x48
	s_wait_xcnt 0x0
	s_lshl_b64 s[0:1], s[24:25], 2
	s_mov_b64 s[2:3], 0
	s_mov_b32 s17, 0
	v_add_nc_u64_e32 v[16:17], s[6:7], v[18:19]
	v_add_nc_u64_e32 v[18:19], s[8:9], v[18:19]
	global_load_b32 v26, v[16:17], off
	global_load_b32 v27, v[18:19], off
	s_wait_xcnt 0x0
	v_lshlrev_b64_e32 v[18:19], 2, v[0:1]
	s_delay_alu instid0(VALU_DEP_1) | instskip(SKIP_1) | instid1(VALU_DEP_2)
	v_lshl_add_u64 v[24:25], v[20:21], 2, v[18:19]
	v_mad_nc_u64_u32 v[18:19], v20, s24, v[10:11]
	v_mad_nc_u64_u32 v[22:23], s24, v24, v[22:23]
	s_delay_alu instid0(VALU_DEP_2) | instskip(NEXT) | instid1(VALU_DEP_2)
	v_mad_u32 v19, v21, s24, v19
	v_mad_u32 v23, s25, v24, v23
	s_delay_alu instid0(VALU_DEP_2) | instskip(NEXT) | instid1(VALU_DEP_2)
	v_mad_u32 v19, v20, s25, v19
	v_mad_u32 v23, s24, v25, v23
	v_lshlrev_b64_e32 v[24:25], 2, v[6:7]
	s_delay_alu instid0(VALU_DEP_1) | instskip(NEXT) | instid1(VALU_DEP_1)
	v_sub_nc_u64_e32 v[22:23], v[22:23], v[24:25]
	v_add_nc_u64_e32 v[20:21], s[10:11], v[22:23]
	v_mov_b64_e32 v[22:23], v[0:1]
	s_wait_loadcnt 0x0
	v_mul_f32_e32 v30, v26, v27
	s_branch .LBB5_18
.LBB5_16:                               ;   in Loop: Header=BB5_18 Depth=1
	s_or_b32 exec_lo, exec_lo, s19
	global_load_b32 v26, v[16:17], off
	s_wait_loadcnt 0x0
	v_mul_f32_e32 v26, v31, v26
.LBB5_17:                               ;   in Loop: Header=BB5_18 Depth=1
	s_wait_xcnt 0x0
	s_or_b32 exec_lo, exec_lo, s18
	v_add_nc_u64_e32 v[22:23], 1, v[22:23]
	v_lshl_add_u64 v[24:25], v[24:25], 2, s[4:5]
	s_add_nc_u64 s[2:3], s[2:3], 1
	global_store_b32 v[24:25], v26, off
	v_cmp_ge_i64_e32 vcc_lo, v[22:23], v[2:3]
	s_or_b32 s17, vcc_lo, s17
	s_wait_xcnt 0x0
	s_and_not1_b32 exec_lo, exec_lo, s17
	s_cbranch_execz .LBB5_26
.LBB5_18:                               ; =>This Loop Header: Depth=1
                                        ;     Child Loop BB5_23 Depth 2
	s_delay_alu instid0(VALU_DEP_2) | instskip(SKIP_1) | instid1(VALU_DEP_1)
	v_mad_nc_u64_u32 v[24:25], v22, s24, v[18:19]
	s_mov_b32 s12, exec_lo
	v_mad_u32 v25, v23, s24, v25
	s_delay_alu instid0(VALU_DEP_1) | instskip(NEXT) | instid1(VALU_DEP_1)
	v_mad_u32 v25, v22, s25, v25
	v_lshl_add_u64 v[26:27], v[24:25], 2, s[10:11]
	global_load_b32 v27, v[26:27], off
                                        ; implicit-def: $vgpr26
	s_wait_loadcnt 0x0
	s_wait_xcnt 0x0
	v_cmpx_lg_f32_e32 0, v27
	s_xor_b32 s12, exec_lo, s12
	s_cbranch_execz .LBB5_20
; %bb.19:                               ;   in Loop: Header=BB5_18 Depth=1
	v_div_scale_f32 v26, null, v27, v27, v30
	s_delay_alu instid0(VALU_DEP_1) | instskip(SKIP_1) | instid1(TRANS32_DEP_1)
	v_rcp_f32_e32 v28, v26
	v_nop
	v_fma_f32 v29, -v26, v28, 1.0
	s_delay_alu instid0(VALU_DEP_1) | instskip(SKIP_1) | instid1(VALU_DEP_1)
	v_fmac_f32_e32 v28, v29, v28
	v_div_scale_f32 v29, vcc_lo, v30, v27, v30
	v_mul_f32_e32 v31, v29, v28
	s_delay_alu instid0(VALU_DEP_1) | instskip(NEXT) | instid1(VALU_DEP_1)
	v_fma_f32 v32, -v26, v31, v29
	v_fmac_f32_e32 v31, v32, v28
	s_delay_alu instid0(VALU_DEP_1) | instskip(NEXT) | instid1(VALU_DEP_1)
	v_fma_f32 v26, -v26, v31, v29
	v_div_fmas_f32 v26, v26, v28, v31
	s_delay_alu instid0(VALU_DEP_1)
	v_div_fixup_f32 v26, v26, v27, v30
.LBB5_20:                               ;   in Loop: Header=BB5_18 Depth=1
	s_and_not1_saveexec_b32 s18, s12
	s_cbranch_execz .LBB5_17
; %bb.21:                               ;   in Loop: Header=BB5_18 Depth=1
	v_mov_b64_e32 v[26:27], v[20:21]
	v_mov_b64_e32 v[28:29], v[0:1]
	s_wait_kmcnt 0x0
	v_mov_b32_e32 v31, s16
	s_mov_b32 s19, 0
	s_mov_b64 s[12:13], s[2:3]
	s_branch .LBB5_23
.LBB5_22:                               ;   in Loop: Header=BB5_23 Depth=2
	v_add_nc_u64_e32 v[28:29], 1, v[28:29]
	s_wait_xcnt 0x0
	v_add_nc_u64_e32 v[26:27], s[0:1], v[26:27]
	s_add_nc_u64 s[12:13], s[12:13], -1
	s_delay_alu instid0(VALU_DEP_2) | instskip(SKIP_1) | instid1(SALU_CYCLE_1)
	v_cmp_ge_i64_e32 vcc_lo, v[28:29], v[2:3]
	s_or_b32 s19, vcc_lo, s19
	s_and_not1_b32 exec_lo, exec_lo, s19
	s_cbranch_execz .LBB5_16
.LBB5_23:                               ;   Parent Loop BB5_18 Depth=1
                                        ; =>  This Inner Loop Header: Depth=2
	s_cmp_eq_u64 s[12:13], 0
	s_cbranch_scc1 .LBB5_22
; %bb.24:                               ;   in Loop: Header=BB5_23 Depth=2
	global_load_b32 v32, v[26:27], off
	s_wait_loadcnt 0x0
	v_mul_f32_e32 v31, v31, v32
	s_branch .LBB5_22
.LBB5_25:
	s_cbranch_execnz .LBB5_51
	s_branch .LBB5_75
.LBB5_26:
	s_or_b32 exec_lo, exec_lo, s15
.LBB5_27:
	s_mov_b32 s2, 0
.LBB5_28:
	s_delay_alu instid0(SALU_CYCLE_1)
	s_and_not1_b32 vcc_lo, exec_lo, s2
	s_cbranch_vccnz .LBB5_38
; %bb.29:
	s_mov_b32 s2, exec_lo
	s_wait_loadcnt 0x0
	v_cmpx_gt_i64_e64 v[2:3], v[0:1]
	s_cbranch_execz .LBB5_37
; %bb.30:
	v_lshl_add_u64 v[16:17], v[12:13], 2, s[6:7]
	v_mul_u64_e32 v[18:19], s[26:27], v[8:9]
	v_sub_nc_u64_e32 v[22:23], v[2:3], v[0:1]
	v_mov_b64_e32 v[20:21], v[0:1]
	s_cmp_eq_u64 s[24:25], 1
	global_load_b32 v16, v[16:17], off
	s_cselect_b32 s0, -1, 0
	s_mov_b32 s1, -1
	v_cmp_lt_u64_e32 vcc_lo, 1, v[22:23]
	s_and_b32 s3, vcc_lo, s0
	s_wait_xcnt 0x0
	s_and_saveexec_b32 s0, s3
	s_cbranch_execz .LBB5_34
; %bb.31:
	v_mul_u64_e32 v[20:21], s[24:25], v[18:19]
	s_wait_loadcnt 0x0
	v_mov_b32_e32 v17, v16
	s_mov_b32 s1, 0
	s_delay_alu instid0(VALU_DEP_2) | instskip(SKIP_1) | instid1(VALU_DEP_2)
	v_lshl_add_u64 v[24:25], v[20:21], 2, s[4:5]
	v_dual_mov_b32 v21, v23 :: v_dual_bitop2_b32 v20, -2, v22 bitop3:0x40
	v_lshl_add_u64 v[24:25], v[10:11], 2, v[24:25]
	s_delay_alu instid0(VALU_DEP_2) | instskip(NEXT) | instid1(VALU_DEP_2)
	v_mov_b64_e32 v[26:27], v[20:21]
	v_lshl_add_u64 v[24:25], v[0:1], 2, v[24:25]
.LBB5_32:                               ; =>This Inner Loop Header: Depth=1
	s_delay_alu instid0(VALU_DEP_2)
	v_add_nc_u64_e32 v[26:27], -2, v[26:27]
	global_store_b64 v[24:25], v[16:17], off
	s_wait_xcnt 0x0
	v_add_nc_u64_e32 v[24:25], 8, v[24:25]
	v_cmp_eq_u64_e32 vcc_lo, 0, v[26:27]
	s_or_b32 s1, vcc_lo, s1
	s_delay_alu instid0(SALU_CYCLE_1)
	s_and_not1_b32 exec_lo, exec_lo, s1
	s_cbranch_execnz .LBB5_32
; %bb.33:
	s_or_b32 exec_lo, exec_lo, s1
	v_cmp_ne_u64_e32 vcc_lo, v[22:23], v[20:21]
	v_add_nc_u64_e32 v[20:21], v[0:1], v[20:21]
	s_or_not1_b32 s1, vcc_lo, exec_lo
.LBB5_34:
	s_or_b32 exec_lo, exec_lo, s0
	s_delay_alu instid0(SALU_CYCLE_1)
	s_and_b32 exec_lo, exec_lo, s1
	s_cbranch_execz .LBB5_37
; %bb.35:
	s_delay_alu instid0(VALU_DEP_1) | instskip(SKIP_3) | instid1(VALU_DEP_2)
	v_lshlrev_b64_e32 v[22:23], 2, v[20:21]
	v_lshlrev_b64_e32 v[24:25], 2, v[4:5]
	s_lshl_b64 s[0:1], s[24:25], 2
	s_mov_b32 s3, 0
	v_lshl_add_u64 v[18:19], v[18:19], 2, v[22:23]
	s_delay_alu instid0(VALU_DEP_1) | instskip(NEXT) | instid1(VALU_DEP_1)
	v_mad_nc_u64_u32 v[22:23], s24, v18, v[24:25]
	v_mad_u32 v17, s25, v18, v23
	s_delay_alu instid0(VALU_DEP_1) | instskip(SKIP_1) | instid1(VALU_DEP_1)
	v_mad_u32 v23, s24, v19, v17
	v_lshlrev_b64_e32 v[18:19], 2, v[6:7]
	v_sub_nc_u64_e32 v[18:19], v[22:23], v[18:19]
	s_delay_alu instid0(VALU_DEP_1)
	v_add_nc_u64_e32 v[18:19], s[4:5], v[18:19]
.LBB5_36:                               ; =>This Inner Loop Header: Depth=1
	v_add_nc_u64_e32 v[20:21], 1, v[20:21]
	s_wait_loadcnt 0x0
	global_store_b32 v[18:19], v16, off
	s_wait_xcnt 0x0
	v_add_nc_u64_e32 v[18:19], s[0:1], v[18:19]
	v_cmp_ge_i64_e32 vcc_lo, v[20:21], v[2:3]
	s_or_b32 s3, vcc_lo, s3
	s_delay_alu instid0(SALU_CYCLE_1)
	s_and_not1_b32 exec_lo, exec_lo, s3
	s_cbranch_execnz .LBB5_36
.LBB5_37:
	s_or_b32 exec_lo, exec_lo, s2
.LBB5_38:
	s_mov_b32 s2, 0
.LBB5_39:
	s_delay_alu instid0(SALU_CYCLE_1)
	s_and_not1_b32 vcc_lo, exec_lo, s2
	s_cbranch_vccnz .LBB5_50
; %bb.40:
	s_cmp_lg_u32 s14, 1
	s_cbranch_scc1 .LBB5_50
; %bb.41:
	s_mov_b32 s2, exec_lo
	s_wait_loadcnt 0x0
	v_cmpx_gt_i64_e64 v[2:3], v[0:1]
	s_cbranch_execz .LBB5_49
; %bb.42:
	v_lshl_add_u64 v[16:17], v[12:13], 2, s[6:7]
	s_cmp_eq_u64 s[24:25], 1
	s_mov_b32 s1, -1
	s_cselect_b32 s0, -1, 0
	global_load_b32 v18, v[16:17], off
	s_wait_xcnt 0x0
	v_xor_b32_e32 v16, v14, v15
	v_cls_i32_e32 v17, v15
	s_delay_alu instid0(VALU_DEP_2) | instskip(NEXT) | instid1(VALU_DEP_1)
	v_ashrrev_i32_e32 v16, 31, v16
	v_add_nc_u32_e32 v16, 32, v16
	s_delay_alu instid0(VALU_DEP_1) | instskip(NEXT) | instid1(VALU_DEP_1)
	v_add_min_u32_e64 v16, v17, -1, v16
	v_lshlrev_b64_e32 v[14:15], v16, v[14:15]
	s_delay_alu instid0(VALU_DEP_1) | instskip(NEXT) | instid1(VALU_DEP_1)
	v_min_u32_e32 v14, 1, v14
	v_dual_sub_nc_u32 v15, 32, v16 :: v_dual_bitop2_b32 v14, v15, v14 bitop3:0x54
	s_delay_alu instid0(VALU_DEP_1) | instskip(NEXT) | instid1(VALU_DEP_1)
	v_cvt_f32_i32_e32 v14, v14
	v_ldexp_f32 v14, v14, v15
	s_wait_loadcnt 0x0
	s_delay_alu instid0(VALU_DEP_1) | instskip(SKIP_1) | instid1(VALU_DEP_2)
	v_div_scale_f32 v15, null, v14, v14, v18
	v_div_scale_f32 v22, vcc_lo, v18, v14, v18
	v_rcp_f32_e32 v19, v15
	v_nop
	s_delay_alu instid0(TRANS32_DEP_1) | instskip(NEXT) | instid1(VALU_DEP_1)
	v_fma_f32 v16, -v15, v19, 1.0
	v_fmac_f32_e32 v19, v16, v19
	v_mul_u64_e32 v[16:17], s[26:27], v[8:9]
	s_delay_alu instid0(VALU_DEP_2) | instskip(NEXT) | instid1(VALU_DEP_1)
	v_mul_f32_e32 v23, v22, v19
	v_fma_f32 v20, -v15, v23, v22
	s_delay_alu instid0(VALU_DEP_1) | instskip(SKIP_1) | instid1(VALU_DEP_2)
	v_fmac_f32_e32 v23, v20, v19
	v_sub_nc_u64_e32 v[20:21], v[2:3], v[0:1]
	v_fma_f32 v15, -v15, v23, v22
	s_delay_alu instid0(VALU_DEP_1) | instskip(NEXT) | instid1(VALU_DEP_3)
	v_div_fmas_f32 v15, v15, v19, v23
	v_cmp_lt_u64_e32 vcc_lo, 1, v[20:21]
	s_delay_alu instid0(VALU_DEP_2) | instskip(SKIP_2) | instid1(SALU_CYCLE_1)
	v_div_fixup_f32 v14, v15, v14, v18
	v_mov_b64_e32 v[18:19], v[0:1]
	s_and_b32 s3, vcc_lo, s0
	s_and_saveexec_b32 s0, s3
	s_cbranch_execz .LBB5_46
; %bb.43:
	v_mul_u64_e32 v[18:19], s[24:25], v[16:17]
	v_mov_b32_e32 v15, v14
	s_mov_b32 s1, 0
	s_delay_alu instid0(VALU_DEP_2) | instskip(SKIP_1) | instid1(VALU_DEP_2)
	v_lshl_add_u64 v[22:23], v[18:19], 2, s[4:5]
	v_dual_mov_b32 v19, v21 :: v_dual_bitop2_b32 v18, -2, v20 bitop3:0x40
	v_lshl_add_u64 v[22:23], v[10:11], 2, v[22:23]
	s_delay_alu instid0(VALU_DEP_2) | instskip(NEXT) | instid1(VALU_DEP_2)
	v_mov_b64_e32 v[24:25], v[18:19]
	v_lshl_add_u64 v[22:23], v[0:1], 2, v[22:23]
.LBB5_44:                               ; =>This Inner Loop Header: Depth=1
	s_delay_alu instid0(VALU_DEP_2)
	v_add_nc_u64_e32 v[24:25], -2, v[24:25]
	global_store_b64 v[22:23], v[14:15], off
	s_wait_xcnt 0x0
	v_add_nc_u64_e32 v[22:23], 8, v[22:23]
	v_cmp_eq_u64_e32 vcc_lo, 0, v[24:25]
	s_or_b32 s1, vcc_lo, s1
	s_delay_alu instid0(SALU_CYCLE_1)
	s_and_not1_b32 exec_lo, exec_lo, s1
	s_cbranch_execnz .LBB5_44
; %bb.45:
	s_or_b32 exec_lo, exec_lo, s1
	v_cmp_ne_u64_e32 vcc_lo, v[20:21], v[18:19]
	v_add_nc_u64_e32 v[18:19], v[0:1], v[18:19]
	s_or_not1_b32 s1, vcc_lo, exec_lo
.LBB5_46:
	s_or_b32 exec_lo, exec_lo, s0
	s_delay_alu instid0(SALU_CYCLE_1)
	s_and_b32 exec_lo, exec_lo, s1
	s_cbranch_execz .LBB5_49
; %bb.47:
	s_delay_alu instid0(VALU_DEP_1) | instskip(SKIP_3) | instid1(VALU_DEP_2)
	v_lshlrev_b64_e32 v[20:21], 2, v[18:19]
	v_lshlrev_b64_e32 v[22:23], 2, v[4:5]
	s_lshl_b64 s[0:1], s[24:25], 2
	s_mov_b32 s3, 0
	v_lshl_add_u64 v[16:17], v[16:17], 2, v[20:21]
	s_delay_alu instid0(VALU_DEP_1) | instskip(NEXT) | instid1(VALU_DEP_1)
	v_mad_nc_u64_u32 v[20:21], s24, v16, v[22:23]
	v_mad_u32 v15, s25, v16, v21
	s_delay_alu instid0(VALU_DEP_1) | instskip(SKIP_1) | instid1(VALU_DEP_1)
	v_mad_u32 v21, s24, v17, v15
	v_lshlrev_b64_e32 v[16:17], 2, v[6:7]
	v_sub_nc_u64_e32 v[16:17], v[20:21], v[16:17]
	s_delay_alu instid0(VALU_DEP_1)
	v_add_nc_u64_e32 v[16:17], s[4:5], v[16:17]
.LBB5_48:                               ; =>This Inner Loop Header: Depth=1
	v_add_nc_u64_e32 v[18:19], 1, v[18:19]
	global_store_b32 v[16:17], v14, off
	s_wait_xcnt 0x0
	v_add_nc_u64_e32 v[16:17], s[0:1], v[16:17]
	v_cmp_ge_i64_e32 vcc_lo, v[18:19], v[2:3]
	s_or_b32 s3, vcc_lo, s3
	s_delay_alu instid0(SALU_CYCLE_1)
	s_and_not1_b32 exec_lo, exec_lo, s3
	s_cbranch_execnz .LBB5_48
.LBB5_49:
	s_or_b32 exec_lo, exec_lo, s2
.LBB5_50:
	s_branch .LBB5_75
.LBB5_51:
	v_mov_b64_e32 v[14:15], 0
	s_mov_b32 s1, exec_lo
	s_wait_loadcnt 0x0
	v_cmp_le_i64_e32 vcc_lo, v[2:3], v[0:1]
	s_wait_xcnt 0x0
	v_cmpx_gt_i64_e64 v[2:3], v[0:1]
	s_cbranch_execz .LBB5_59
; %bb.52:
	v_mad_nc_u64_u32 v[14:15], v8, s26, v[0:1]
	v_mov_b64_e32 v[20:21], v[0:1]
	s_lshl_b64 s[2:3], s[24:25], 2
	s_delay_alu instid0(VALU_DEP_2) | instskip(NEXT) | instid1(VALU_DEP_3)
	v_mad_u32 v15, v9, s26, v15
	v_mad_nc_u64_u32 v[16:17], s24, v14, v[4:5]
	s_delay_alu instid0(VALU_DEP_2) | instskip(NEXT) | instid1(VALU_DEP_2)
	v_mad_u32 v15, v8, s27, v15
	v_mad_u32 v14, s25, v14, v17
	s_delay_alu instid0(VALU_DEP_1) | instskip(SKIP_1) | instid1(VALU_DEP_1)
	v_mad_u32 v17, s24, v15, v14
	v_lshlrev_b64_e32 v[14:15], 2, v[12:13]
	v_add_nc_u64_e32 v[12:13], s[8:9], v[14:15]
	s_delay_alu instid0(VALU_DEP_3) | instskip(SKIP_3) | instid1(VALU_DEP_3)
	v_sub_nc_u64_e32 v[18:19], v[16:17], v[6:7]
	v_add_nc_u64_e32 v[16:17], s[6:7], v[14:15]
	v_mov_b64_e32 v[14:15], 0
	s_mov_b32 s6, 0
	v_lshlrev_b64_e32 v[18:19], 2, v[18:19]
	s_branch .LBB5_54
.LBB5_53:                               ;   in Loop: Header=BB5_54 Depth=1
	s_wait_xcnt 0x0
	s_or_b32 exec_lo, exec_lo, s0
	v_add_nc_u64_e32 v[20:21], 1, v[20:21]
	v_add_nc_u64_e32 v[18:19], s[2:3], v[18:19]
	s_delay_alu instid0(VALU_DEP_2) | instskip(SKIP_1) | instid1(SALU_CYCLE_1)
	v_cmp_ge_i64_e64 s0, v[20:21], v[2:3]
	s_or_b32 s6, s0, s6
	s_and_not1_b32 exec_lo, exec_lo, s6
	s_cbranch_execz .LBB5_58
.LBB5_54:                               ; =>This Inner Loop Header: Depth=1
	s_delay_alu instid0(VALU_DEP_1)
	v_add_nc_u64_e32 v[22:23], s[10:11], v[18:19]
	s_mov_b32 s8, exec_lo
	global_load_b32 v22, v[22:23], off
	s_wait_loadcnt 0x0
	v_cmp_u_f32_e64 s7, v22, v22
	s_wait_xcnt 0x0
	v_cmpx_o_f32_e32 v22, v22
	s_cbranch_execz .LBB5_56
; %bb.55:                               ;   in Loop: Header=BB5_54 Depth=1
	global_load_b32 v23, v[12:13], off
	s_and_not1_b32 s7, s7, exec_lo
	s_wait_loadcnt 0x0
	v_cmp_eq_f32_e64 s0, v22, v23
	s_and_b32 s0, s0, exec_lo
	s_delay_alu instid0(SALU_CYCLE_1)
	s_or_b32 s7, s7, s0
.LBB5_56:                               ;   in Loop: Header=BB5_54 Depth=1
	s_wait_xcnt 0x0
	s_or_b32 exec_lo, exec_lo, s8
	s_and_saveexec_b32 s0, s7
	s_cbranch_execz .LBB5_53
; %bb.57:                               ;   in Loop: Header=BB5_54 Depth=1
	global_load_b32 v24, v[16:17], off
	v_add_nc_u64_e32 v[22:23], s[4:5], v[18:19]
	v_add_nc_u64_e32 v[14:15], 1, v[14:15]
	s_wait_loadcnt 0x0
	global_store_b32 v[22:23], v24, off
	s_branch .LBB5_53
.LBB5_58:
	s_or_b32 exec_lo, exec_lo, s6
.LBB5_59:
	s_delay_alu instid0(SALU_CYCLE_1) | instskip(SKIP_2) | instid1(SALU_CYCLE_1)
	s_or_b32 exec_lo, exec_lo, s1
	v_cmp_lt_i64_e64 s0, 1, v[14:15]
	s_xor_b32 s1, vcc_lo, -1
	s_and_b32 s0, s0, s1
	s_delay_alu instid0(SALU_CYCLE_1)
	s_and_b32 exec_lo, exec_lo, s0
	s_cbranch_execz .LBB5_75
; %bb.60:
	v_clz_i32_u32_e32 v12, v15
	v_mul_u64_e32 v[8:9], s[26:27], v[8:9]
	s_mov_b32 s2, exec_lo
	s_delay_alu instid0(VALU_DEP_2) | instskip(NEXT) | instid1(VALU_DEP_1)
	v_min_u32_e32 v16, 32, v12
	v_lshlrev_b64_e32 v[12:13], v16, v[14:15]
	v_sub_nc_u32_e32 v15, 32, v16
	s_delay_alu instid0(VALU_DEP_2) | instskip(NEXT) | instid1(VALU_DEP_1)
	v_min_u32_e32 v12, 1, v12
	v_or_b32_e32 v14, v13, v12
	v_sub_nc_u64_e32 v[12:13], v[2:3], v[0:1]
	s_delay_alu instid0(VALU_DEP_2) | instskip(NEXT) | instid1(VALU_DEP_2)
	v_cvt_f32_u32_e32 v14, v14
	v_cmp_gt_u64_e64 s1, 16, v[12:13]
	s_delay_alu instid0(VALU_DEP_2)
	v_ldexp_f32 v20, v14, v15
	v_cmpx_lt_u64_e32 15, v[12:13]
	s_cbranch_execz .LBB5_70
; %bb.61:
	v_add_nc_u64_e32 v[14:15], v[8:9], v[0:1]
	v_not_b32_e32 v17, v1
	v_not_b32_e32 v16, v0
	s_cmp_eq_u64 s[24:25], 1
	s_cselect_b32 s3, -1, 0
	s_delay_alu instid0(VALU_DEP_3) | instskip(NEXT) | instid1(VALU_DEP_2)
	v_add_nc_u64_e32 v[10:11], v[14:15], v[10:11]
	v_add_nc_u64_e32 v[14:15], v[2:3], v[16:17]
	s_delay_alu instid0(VALU_DEP_2) | instskip(NEXT) | instid1(VALU_DEP_2)
	v_lshl_add_u64 v[10:11], v[10:11], 2, s[4:5]
	v_cmp_gt_u64_e32 vcc_lo, 2.0, v[14:15]
	s_delay_alu instid0(VALU_DEP_2) | instskip(NEXT) | instid1(VALU_DEP_1)
	v_lshl_add_u64 v[16:17], v[14:15], 2, v[10:11]
	v_cmp_ge_u64_e64 s0, v[16:17], v[10:11]
	s_and_b32 s0, s0, vcc_lo
	s_delay_alu instid0(SALU_CYCLE_1)
	s_and_b32 s6, s3, s0
	s_mov_b32 s0, -1
	s_and_saveexec_b32 s3, s6
	s_cbranch_execz .LBB5_69
; %bb.62:
	v_lshlrev_b64_e32 v[10:11], 2, v[4:5]
	v_lshlrev_b64_e32 v[14:15], 2, v[6:7]
	s_mov_b32 s6, 0
	s_delay_alu instid0(VALU_DEP_2) | instskip(NEXT) | instid1(VALU_DEP_1)
	v_lshl_add_u64 v[10:11], v[8:9], 2, v[10:11]
	v_lshl_add_u64 v[10:11], v[0:1], 2, v[10:11]
	s_delay_alu instid0(VALU_DEP_1) | instskip(NEXT) | instid1(VALU_DEP_1)
	v_sub_nc_u64_e32 v[10:11], v[10:11], v[14:15]
	v_add_nc_u64_e32 v[14:15], s[4:5], v[10:11]
	v_dual_mov_b32 v11, v13 :: v_dual_bitop2_b32 v10, -2, v12 bitop3:0x40
	s_delay_alu instid0(VALU_DEP_1) | instskip(NEXT) | instid1(VALU_DEP_3)
	v_mov_b64_e32 v[16:17], v[10:11]
	v_add_nc_u64_e32 v[14:15], 4, v[14:15]
	s_branch .LBB5_64
.LBB5_63:                               ;   in Loop: Header=BB5_64 Depth=1
	s_wait_xcnt 0x0
	s_or_b32 exec_lo, exec_lo, s7
	v_add_nc_u64_e32 v[16:17], -2, v[16:17]
	v_add_nc_u64_e32 v[14:15], 8, v[14:15]
	s_delay_alu instid0(VALU_DEP_2) | instskip(SKIP_1) | instid1(SALU_CYCLE_1)
	v_cmp_eq_u64_e32 vcc_lo, 0, v[16:17]
	s_or_b32 s6, vcc_lo, s6
	s_and_not1_b32 exec_lo, exec_lo, s6
	s_cbranch_execz .LBB5_68
.LBB5_64:                               ; =>This Inner Loop Header: Depth=1
	global_load_b64 v[18:19], v[14:15], off offset:-4
	s_mov_b32 s7, exec_lo
	s_wait_loadcnt 0x0
	v_cmp_lt_f32_e64 s0, 0, v19
	s_wait_xcnt 0x0
	v_cmpx_lt_f32_e32 0, v18
	s_cbranch_execz .LBB5_66
; %bb.65:                               ;   in Loop: Header=BB5_64 Depth=1
	v_div_scale_f32 v21, null, v20, v20, v18
	s_delay_alu instid0(VALU_DEP_1) | instskip(SKIP_1) | instid1(TRANS32_DEP_1)
	v_rcp_f32_e32 v22, v21
	v_nop
	v_fma_f32 v23, -v21, v22, 1.0
	s_delay_alu instid0(VALU_DEP_1) | instskip(SKIP_1) | instid1(VALU_DEP_1)
	v_fmac_f32_e32 v22, v23, v22
	v_div_scale_f32 v23, vcc_lo, v18, v20, v18
	v_mul_f32_e32 v24, v23, v22
	s_delay_alu instid0(VALU_DEP_1) | instskip(NEXT) | instid1(VALU_DEP_1)
	v_fma_f32 v25, -v21, v24, v23
	v_fmac_f32_e32 v24, v25, v22
	s_delay_alu instid0(VALU_DEP_1) | instskip(NEXT) | instid1(VALU_DEP_1)
	v_fma_f32 v21, -v21, v24, v23
	v_div_fmas_f32 v21, v21, v22, v24
	s_delay_alu instid0(VALU_DEP_1)
	v_div_fixup_f32 v18, v21, v20, v18
	global_store_b32 v[14:15], v18, off offset:-4
.LBB5_66:                               ;   in Loop: Header=BB5_64 Depth=1
	s_wait_xcnt 0x0
	s_or_b32 exec_lo, exec_lo, s7
	s_and_saveexec_b32 s7, s0
	s_cbranch_execz .LBB5_63
; %bb.67:                               ;   in Loop: Header=BB5_64 Depth=1
	v_div_scale_f32 v18, null, v20, v20, v19
	s_delay_alu instid0(VALU_DEP_1) | instskip(SKIP_1) | instid1(TRANS32_DEP_1)
	v_rcp_f32_e32 v21, v18
	v_nop
	v_fma_f32 v22, -v18, v21, 1.0
	s_delay_alu instid0(VALU_DEP_1) | instskip(SKIP_1) | instid1(VALU_DEP_1)
	v_fmac_f32_e32 v21, v22, v21
	v_div_scale_f32 v22, vcc_lo, v19, v20, v19
	v_mul_f32_e32 v23, v22, v21
	s_delay_alu instid0(VALU_DEP_1) | instskip(NEXT) | instid1(VALU_DEP_1)
	v_fma_f32 v24, -v18, v23, v22
	v_fmac_f32_e32 v23, v24, v21
	s_delay_alu instid0(VALU_DEP_1) | instskip(NEXT) | instid1(VALU_DEP_1)
	v_fma_f32 v18, -v18, v23, v22
	v_div_fmas_f32 v18, v18, v21, v23
	s_delay_alu instid0(VALU_DEP_1)
	v_div_fixup_f32 v18, v18, v20, v19
	global_store_b32 v[14:15], v18, off
	s_branch .LBB5_63
.LBB5_68:
	s_or_b32 exec_lo, exec_lo, s6
	v_cmp_ne_u64_e32 vcc_lo, v[12:13], v[10:11]
	v_add_nc_u64_e32 v[0:1], v[0:1], v[10:11]
	s_or_not1_b32 s0, vcc_lo, exec_lo
.LBB5_69:
	s_or_b32 exec_lo, exec_lo, s3
	s_delay_alu instid0(SALU_CYCLE_1) | instskip(SKIP_1) | instid1(SALU_CYCLE_1)
	s_and_not1_b32 s1, s1, exec_lo
	s_and_b32 s0, s0, exec_lo
	s_or_b32 s1, s1, s0
.LBB5_70:
	s_or_b32 exec_lo, exec_lo, s2
	s_delay_alu instid0(SALU_CYCLE_1)
	s_and_b32 exec_lo, exec_lo, s1
	s_cbranch_execz .LBB5_75
; %bb.71:
	v_lshlrev_b64_e32 v[10:11], 2, v[0:1]
	v_lshlrev_b64_e32 v[4:5], 2, v[4:5]
	;; [unrolled: 1-line block ×3, first 2 shown]
	s_lshl_b64 s[0:1], s[24:25], 2
	s_mov_b32 s2, 0
	s_delay_alu instid0(VALU_DEP_3) | instskip(NEXT) | instid1(VALU_DEP_1)
	v_lshl_add_u64 v[8:9], v[8:9], 2, v[10:11]
	v_mad_nc_u64_u32 v[4:5], s24, v8, v[4:5]
	s_delay_alu instid0(VALU_DEP_1) | instskip(NEXT) | instid1(VALU_DEP_1)
	v_mad_u32 v5, s25, v8, v5
	v_mad_u32 v5, s24, v9, v5
	s_delay_alu instid0(VALU_DEP_1) | instskip(NEXT) | instid1(VALU_DEP_1)
	v_sub_nc_u64_e32 v[4:5], v[4:5], v[6:7]
	v_add_nc_u64_e32 v[4:5], s[4:5], v[4:5]
	s_branch .LBB5_73
.LBB5_72:                               ;   in Loop: Header=BB5_73 Depth=1
	s_wait_xcnt 0x0
	s_or_b32 exec_lo, exec_lo, s3
	v_add_nc_u64_e32 v[0:1], 1, v[0:1]
	v_add_nc_u64_e32 v[4:5], s[0:1], v[4:5]
	s_delay_alu instid0(VALU_DEP_2) | instskip(SKIP_1) | instid1(SALU_CYCLE_1)
	v_cmp_ge_i64_e32 vcc_lo, v[0:1], v[2:3]
	s_or_b32 s2, vcc_lo, s2
	s_and_not1_b32 exec_lo, exec_lo, s2
	s_cbranch_execz .LBB5_75
.LBB5_73:                               ; =>This Inner Loop Header: Depth=1
	global_load_b32 v6, v[4:5], off
	s_mov_b32 s3, exec_lo
	s_wait_loadcnt 0x0
	v_cmpx_lt_f32_e32 0, v6
	s_cbranch_execz .LBB5_72
; %bb.74:                               ;   in Loop: Header=BB5_73 Depth=1
	v_div_scale_f32 v7, null, v20, v20, v6
	s_delay_alu instid0(VALU_DEP_1) | instskip(SKIP_1) | instid1(TRANS32_DEP_1)
	v_rcp_f32_e32 v8, v7
	v_nop
	v_fma_f32 v9, -v7, v8, 1.0
	s_delay_alu instid0(VALU_DEP_1) | instskip(SKIP_1) | instid1(VALU_DEP_1)
	v_fmac_f32_e32 v8, v9, v8
	v_div_scale_f32 v9, vcc_lo, v6, v20, v6
	v_mul_f32_e32 v10, v9, v8
	s_delay_alu instid0(VALU_DEP_1) | instskip(NEXT) | instid1(VALU_DEP_1)
	v_fma_f32 v11, -v7, v10, v9
	v_fmac_f32_e32 v10, v11, v8
	s_delay_alu instid0(VALU_DEP_1) | instskip(NEXT) | instid1(VALU_DEP_1)
	v_fma_f32 v7, -v7, v10, v9
	v_div_fmas_f32 v7, v7, v8, v10
	s_delay_alu instid0(VALU_DEP_1)
	v_div_fixup_f32 v6, v7, v20, v6
	global_store_b32 v[4:5], v6, off
	s_branch .LBB5_72
.LBB5_75:
	s_endpgm
	.section	.rodata,"a",@progbits
	.p2align	6, 0x0
	.amdhsa_kernel _ZN2at6native12_GLOBAL__N_130segment_reduce_backward_kernelIflEEvNS0_13ReductionTypeEPT_PKS4_S7_S7_PKT0_SA_llS4_lllllll
		.amdhsa_group_segment_fixed_size 0
		.amdhsa_private_segment_fixed_size 0
		.amdhsa_kernarg_size 392
		.amdhsa_user_sgpr_count 2
		.amdhsa_user_sgpr_dispatch_ptr 0
		.amdhsa_user_sgpr_queue_ptr 0
		.amdhsa_user_sgpr_kernarg_segment_ptr 1
		.amdhsa_user_sgpr_dispatch_id 0
		.amdhsa_user_sgpr_kernarg_preload_length 0
		.amdhsa_user_sgpr_kernarg_preload_offset 0
		.amdhsa_user_sgpr_private_segment_size 0
		.amdhsa_wavefront_size32 1
		.amdhsa_uses_dynamic_stack 0
		.amdhsa_enable_private_segment 0
		.amdhsa_system_sgpr_workgroup_id_x 1
		.amdhsa_system_sgpr_workgroup_id_y 0
		.amdhsa_system_sgpr_workgroup_id_z 0
		.amdhsa_system_sgpr_workgroup_info 0
		.amdhsa_system_vgpr_workitem_id 0
		.amdhsa_next_free_vgpr 33
		.amdhsa_next_free_sgpr 44
		.amdhsa_named_barrier_count 0
		.amdhsa_reserve_vcc 1
		.amdhsa_float_round_mode_32 0
		.amdhsa_float_round_mode_16_64 0
		.amdhsa_float_denorm_mode_32 3
		.amdhsa_float_denorm_mode_16_64 3
		.amdhsa_fp16_overflow 0
		.amdhsa_memory_ordered 1
		.amdhsa_forward_progress 1
		.amdhsa_inst_pref_size 36
		.amdhsa_round_robin_scheduling 0
		.amdhsa_exception_fp_ieee_invalid_op 0
		.amdhsa_exception_fp_denorm_src 0
		.amdhsa_exception_fp_ieee_div_zero 0
		.amdhsa_exception_fp_ieee_overflow 0
		.amdhsa_exception_fp_ieee_underflow 0
		.amdhsa_exception_fp_ieee_inexact 0
		.amdhsa_exception_int_div_zero 0
	.end_amdhsa_kernel
	.section	.text._ZN2at6native12_GLOBAL__N_130segment_reduce_backward_kernelIflEEvNS0_13ReductionTypeEPT_PKS4_S7_S7_PKT0_SA_llS4_lllllll,"axG",@progbits,_ZN2at6native12_GLOBAL__N_130segment_reduce_backward_kernelIflEEvNS0_13ReductionTypeEPT_PKS4_S7_S7_PKT0_SA_llS4_lllllll,comdat
.Lfunc_end5:
	.size	_ZN2at6native12_GLOBAL__N_130segment_reduce_backward_kernelIflEEvNS0_13ReductionTypeEPT_PKS4_S7_S7_PKT0_SA_llS4_lllllll, .Lfunc_end5-_ZN2at6native12_GLOBAL__N_130segment_reduce_backward_kernelIflEEvNS0_13ReductionTypeEPT_PKS4_S7_S7_PKT0_SA_llS4_lllllll
                                        ; -- End function
	.set _ZN2at6native12_GLOBAL__N_130segment_reduce_backward_kernelIflEEvNS0_13ReductionTypeEPT_PKS4_S7_S7_PKT0_SA_llS4_lllllll.num_vgpr, 33
	.set _ZN2at6native12_GLOBAL__N_130segment_reduce_backward_kernelIflEEvNS0_13ReductionTypeEPT_PKS4_S7_S7_PKT0_SA_llS4_lllllll.num_agpr, 0
	.set _ZN2at6native12_GLOBAL__N_130segment_reduce_backward_kernelIflEEvNS0_13ReductionTypeEPT_PKS4_S7_S7_PKT0_SA_llS4_lllllll.numbered_sgpr, 44
	.set _ZN2at6native12_GLOBAL__N_130segment_reduce_backward_kernelIflEEvNS0_13ReductionTypeEPT_PKS4_S7_S7_PKT0_SA_llS4_lllllll.num_named_barrier, 0
	.set _ZN2at6native12_GLOBAL__N_130segment_reduce_backward_kernelIflEEvNS0_13ReductionTypeEPT_PKS4_S7_S7_PKT0_SA_llS4_lllllll.private_seg_size, 0
	.set _ZN2at6native12_GLOBAL__N_130segment_reduce_backward_kernelIflEEvNS0_13ReductionTypeEPT_PKS4_S7_S7_PKT0_SA_llS4_lllllll.uses_vcc, 1
	.set _ZN2at6native12_GLOBAL__N_130segment_reduce_backward_kernelIflEEvNS0_13ReductionTypeEPT_PKS4_S7_S7_PKT0_SA_llS4_lllllll.uses_flat_scratch, 0
	.set _ZN2at6native12_GLOBAL__N_130segment_reduce_backward_kernelIflEEvNS0_13ReductionTypeEPT_PKS4_S7_S7_PKT0_SA_llS4_lllllll.has_dyn_sized_stack, 0
	.set _ZN2at6native12_GLOBAL__N_130segment_reduce_backward_kernelIflEEvNS0_13ReductionTypeEPT_PKS4_S7_S7_PKT0_SA_llS4_lllllll.has_recursion, 0
	.set _ZN2at6native12_GLOBAL__N_130segment_reduce_backward_kernelIflEEvNS0_13ReductionTypeEPT_PKS4_S7_S7_PKT0_SA_llS4_lllllll.has_indirect_call, 0
	.section	.AMDGPU.csdata,"",@progbits
; Kernel info:
; codeLenInByte = 4572
; TotalNumSgprs: 46
; NumVgprs: 33
; ScratchSize: 0
; MemoryBound: 0
; FloatMode: 240
; IeeeMode: 1
; LDSByteSize: 0 bytes/workgroup (compile time only)
; SGPRBlocks: 0
; VGPRBlocks: 2
; NumSGPRsForWavesPerEU: 46
; NumVGPRsForWavesPerEU: 33
; NamedBarCnt: 0
; Occupancy: 16
; WaveLimiterHint : 1
; COMPUTE_PGM_RSRC2:SCRATCH_EN: 0
; COMPUTE_PGM_RSRC2:USER_SGPR: 2
; COMPUTE_PGM_RSRC2:TRAP_HANDLER: 0
; COMPUTE_PGM_RSRC2:TGID_X_EN: 1
; COMPUTE_PGM_RSRC2:TGID_Y_EN: 0
; COMPUTE_PGM_RSRC2:TGID_Z_EN: 0
; COMPUTE_PGM_RSRC2:TIDIG_COMP_CNT: 0
	.section	.text._ZN2at6native12_GLOBAL__N_130segment_reduce_backward_kernelIN3c108BFloat16ElEEvNS0_13ReductionTypeEPT_PKS6_S9_S9_PKT0_SC_llS6_lllllll,"axG",@progbits,_ZN2at6native12_GLOBAL__N_130segment_reduce_backward_kernelIN3c108BFloat16ElEEvNS0_13ReductionTypeEPT_PKS6_S9_S9_PKT0_SC_llS6_lllllll,comdat
	.globl	_ZN2at6native12_GLOBAL__N_130segment_reduce_backward_kernelIN3c108BFloat16ElEEvNS0_13ReductionTypeEPT_PKS6_S9_S9_PKT0_SC_llS6_lllllll ; -- Begin function _ZN2at6native12_GLOBAL__N_130segment_reduce_backward_kernelIN3c108BFloat16ElEEvNS0_13ReductionTypeEPT_PKS6_S9_S9_PKT0_SC_llS6_lllllll
	.p2align	8
	.type	_ZN2at6native12_GLOBAL__N_130segment_reduce_backward_kernelIN3c108BFloat16ElEEvNS0_13ReductionTypeEPT_PKS6_S9_S9_PKT0_SC_llS6_lllllll,@function
_ZN2at6native12_GLOBAL__N_130segment_reduce_backward_kernelIN3c108BFloat16ElEEvNS0_13ReductionTypeEPT_PKS6_S9_S9_PKT0_SC_llS6_lllllll: ; @_ZN2at6native12_GLOBAL__N_130segment_reduce_backward_kernelIN3c108BFloat16ElEEvNS0_13ReductionTypeEPT_PKS6_S9_S9_PKT0_SC_llS6_lllllll
; %bb.0:
	s_clause 0x2
	s_load_b32 s2, s[0:1], 0x94
	s_load_b512 s[8:23], s[0:1], 0x8
	s_load_b256 s[24:31], s[0:1], 0x50
	s_bfe_u32 s3, ttmp6, 0x4000c
	v_mov_b32_e32 v2, 0
	s_add_co_i32 s3, s3, 1
	s_and_b32 s4, ttmp6, 15
	s_mul_i32 s3, ttmp9, s3
	s_getreg_b32 s5, hwreg(HW_REG_IB_STS2, 6, 4)
	v_mov_b32_e32 v1, v2
	s_add_co_i32 s4, s4, s3
	s_wait_kmcnt 0x0
	s_and_b32 s2, s2, 0xffff
	s_cmp_eq_u32 s5, 0
	s_cselect_b32 s3, ttmp9, s4
	s_delay_alu instid0(SALU_CYCLE_1) | instskip(SKIP_1) | instid1(SALU_CYCLE_1)
	v_mad_nc_u64_u32 v[12:13], s2, s3, v[0:1]
	s_mul_u64 s[2:3], s[24:25], s[20:21]
	s_mul_u64 s[2:3], s[2:3], s[26:27]
	s_delay_alu instid0(VALU_DEP_1) | instid1(SALU_CYCLE_1)
	v_cmp_gt_i64_e32 vcc_lo, s[2:3], v[12:13]
	s_and_saveexec_b32 s2, vcc_lo
	s_cbranch_execz .LBB6_79
; %bb.1:
	v_or_b32_e32 v3, s27, v13
                                        ; implicit-def: $vgpr6_vgpr7
	s_mov_b32 s2, exec_lo
	s_delay_alu instid0(VALU_DEP_1)
	v_cmpx_ne_u64_e32 0, v[2:3]
	s_xor_b32 s3, exec_lo, s2
	s_cbranch_execz .LBB6_3
; %bb.2:
	s_ashr_i32 s4, s27, 31
	s_mov_b32 s39, 0
	s_mov_b32 s5, s4
	v_dual_mov_b32 v5, 0 :: v_dual_ashrrev_i32 v0, 31, v13
	s_add_nc_u64 s[6:7], s[26:27], s[4:5]
	s_delay_alu instid0(SALU_CYCLE_1) | instskip(NEXT) | instid1(VALU_DEP_1)
	s_xor_b64 s[6:7], s[6:7], s[4:5]
	v_mov_b32_e32 v1, v0
	s_cvt_f32_u32 s2, s6
	s_cvt_f32_u32 s5, s7
	s_sub_nc_u64 s[34:35], 0, s[6:7]
	s_delay_alu instid0(VALU_DEP_1) | instskip(NEXT) | instid1(SALU_CYCLE_1)
	v_add_nc_u64_e32 v[2:3], v[12:13], v[0:1]
	s_fmamk_f32 s2, s5, 0x4f800000, s2
	v_mov_b32_e32 v7, v5
	s_delay_alu instid0(SALU_CYCLE_2) | instskip(NEXT) | instid1(VALU_DEP_2)
	v_s_rcp_f32 s2, s2
	v_xor_b32_e32 v4, v2, v0
	s_delay_alu instid0(VALU_DEP_3) | instskip(SKIP_1) | instid1(TRANS32_DEP_1)
	v_dual_mov_b32 v15, v5 :: v_dual_bitop2_b32 v6, v3, v0 bitop3:0x14
	v_xor_b32_e32 v0, s4, v0
	s_mul_f32 s2, s2, 0x5f7ffffc
	s_delay_alu instid0(SALU_CYCLE_3) | instskip(NEXT) | instid1(SALU_CYCLE_3)
	s_mul_f32 s5, s2, 0x2f800000
	s_trunc_f32 s5, s5
	s_delay_alu instid0(SALU_CYCLE_3) | instskip(SKIP_1) | instid1(SALU_CYCLE_2)
	s_fmamk_f32 s2, s5, 0xcf800000, s2
	s_cvt_u32_f32 s25, s5
	s_cvt_u32_f32 s24, s2
	s_delay_alu instid0(SALU_CYCLE_3) | instskip(NEXT) | instid1(SALU_CYCLE_1)
	s_mul_u64 s[36:37], s[34:35], s[24:25]
	s_mul_hi_u32 s41, s24, s37
	s_mul_i32 s40, s24, s37
	s_mul_hi_u32 s38, s24, s36
	s_mul_i32 s5, s25, s36
	s_add_nc_u64 s[40:41], s[38:39], s[40:41]
	s_mul_hi_u32 s2, s25, s36
	s_mul_hi_u32 s33, s25, s37
	s_add_co_u32 s5, s40, s5
	s_add_co_ci_u32 s38, s41, s2
	s_mul_i32 s36, s25, s37
	s_add_co_ci_u32 s37, s33, 0
	s_delay_alu instid0(SALU_CYCLE_1) | instskip(NEXT) | instid1(SALU_CYCLE_1)
	s_add_nc_u64 s[36:37], s[38:39], s[36:37]
	s_add_co_u32 s24, s24, s36
	s_cselect_b32 s2, -1, 0
	s_delay_alu instid0(SALU_CYCLE_1) | instskip(SKIP_1) | instid1(SALU_CYCLE_1)
	s_cmp_lg_u32 s2, 0
	s_add_co_ci_u32 s25, s25, s37
	s_mul_u64 s[34:35], s[34:35], s[24:25]
	s_delay_alu instid0(SALU_CYCLE_1)
	s_mul_hi_u32 s37, s24, s35
	s_mul_i32 s36, s24, s35
	s_mul_hi_u32 s38, s24, s34
	s_mul_i32 s5, s25, s34
	s_add_nc_u64 s[36:37], s[38:39], s[36:37]
	s_mul_hi_u32 s2, s25, s34
	s_mul_hi_u32 s33, s25, s35
	s_add_co_u32 s5, s36, s5
	s_add_co_ci_u32 s38, s37, s2
	s_mul_i32 s34, s25, s35
	s_add_co_ci_u32 s35, s33, 0
	s_delay_alu instid0(SALU_CYCLE_1) | instskip(NEXT) | instid1(SALU_CYCLE_1)
	s_add_nc_u64 s[34:35], s[38:39], s[34:35]
	s_add_co_u32 s2, s24, s34
	s_cselect_b32 s5, -1, 0
	v_mul_hi_u32 v14, v4, s2
	s_cmp_lg_u32 s5, 0
	s_add_co_ci_u32 s38, s25, s35
	s_mov_b64 s[24:25], 0xffffffff
	v_mul_u64_e32 v[8:9], s[38:39], v[4:5]
	s_and_b64 s[24:25], s[2:3], s[24:25]
	v_mul_u64_e32 v[10:11], s[38:39], v[6:7]
	v_mul_u64_e32 v[2:3], s[24:25], v[6:7]
	s_delay_alu instid0(VALU_DEP_3) | instskip(NEXT) | instid1(VALU_DEP_1)
	v_add_nc_u64_e32 v[8:9], v[14:15], v[8:9]
	v_add_co_u32 v1, vcc_lo, v8, v2
	s_delay_alu instid0(VALU_DEP_2) | instskip(SKIP_1) | instid1(VALU_DEP_1)
	v_add_co_ci_u32_e32 v14, vcc_lo, v9, v3, vcc_lo
	v_add_co_ci_u32_e32 v11, vcc_lo, 0, v11, vcc_lo
	v_add_nc_u64_e32 v[2:3], v[14:15], v[10:11]
	s_delay_alu instid0(VALU_DEP_1) | instskip(NEXT) | instid1(VALU_DEP_1)
	v_mul_u64_e32 v[8:9], s[6:7], v[2:3]
	v_sub_nc_u32_e32 v1, v6, v9
	s_delay_alu instid0(VALU_DEP_2) | instskip(NEXT) | instid1(VALU_DEP_1)
	v_sub_co_u32 v4, vcc_lo, v4, v8
	v_sub_co_ci_u32_e64 v8, null, v6, v9, vcc_lo
	s_delay_alu instid0(VALU_DEP_3) | instskip(NEXT) | instid1(VALU_DEP_3)
	v_subrev_co_ci_u32_e64 v1, null, s7, v1, vcc_lo
	v_sub_co_u32 v5, s2, v4, s6
	s_delay_alu instid0(VALU_DEP_1) | instskip(NEXT) | instid1(VALU_DEP_2)
	v_subrev_co_ci_u32_e64 v1, null, 0, v1, s2
	v_cmp_le_u32_e32 vcc_lo, s6, v5
	v_cndmask_b32_e64 v5, 0, -1, vcc_lo
	s_delay_alu instid0(VALU_DEP_3)
	v_cmp_le_u32_e32 vcc_lo, s7, v1
	v_cndmask_b32_e64 v6, 0, -1, vcc_lo
	v_cmp_le_u32_e32 vcc_lo, s6, v4
	v_cndmask_b32_e64 v9, 0, -1, vcc_lo
	;; [unrolled: 2-line block ×3, first 2 shown]
	v_cmp_eq_u32_e32 vcc_lo, s7, v1
	v_cndmask_b32_e32 v1, v6, v5, vcc_lo
	v_cmp_eq_u32_e32 vcc_lo, s7, v8
	v_add_nc_u64_e32 v[4:5], 2, v[2:3]
	v_add_nc_u64_e32 v[6:7], 1, v[2:3]
	v_cndmask_b32_e32 v8, v10, v9, vcc_lo
	v_cmp_ne_u32_e32 vcc_lo, 0, v1
	s_delay_alu instid0(VALU_DEP_2) | instskip(NEXT) | instid1(VALU_DEP_4)
	v_cmp_ne_u32_e64 s2, 0, v8
	v_dual_cndmask_b32 v4, v6, v4 :: v_dual_cndmask_b32 v1, v7, v5
	s_delay_alu instid0(VALU_DEP_1) | instskip(NEXT) | instid1(VALU_DEP_1)
	v_dual_cndmask_b32 v2, v2, v4, s2 :: v_dual_cndmask_b32 v3, v3, v1, s2
	v_dual_mov_b32 v1, v0 :: v_dual_bitop2_b32 v2, v2, v0 bitop3:0x14
	s_delay_alu instid0(VALU_DEP_2) | instskip(NEXT) | instid1(VALU_DEP_1)
	v_xor_b32_e32 v3, v3, v0
	v_sub_nc_u64_e32 v[6:7], v[2:3], v[0:1]
.LBB6_3:
	s_and_not1_saveexec_b32 s2, s3
	s_cbranch_execz .LBB6_5
; %bb.4:
	v_cvt_f32_u32_e32 v0, s26
	s_sub_co_i32 s3, 0, s26
	v_mov_b32_e32 v7, 0
	s_delay_alu instid0(VALU_DEP_2) | instskip(SKIP_1) | instid1(TRANS32_DEP_1)
	v_rcp_iflag_f32_e32 v0, v0
	v_nop
	v_mul_f32_e32 v0, 0x4f7ffffe, v0
	s_delay_alu instid0(VALU_DEP_1) | instskip(NEXT) | instid1(VALU_DEP_1)
	v_cvt_u32_f32_e32 v0, v0
	v_mul_lo_u32 v1, s3, v0
	s_delay_alu instid0(VALU_DEP_1) | instskip(NEXT) | instid1(VALU_DEP_1)
	v_mul_hi_u32 v1, v0, v1
	v_add_nc_u32_e32 v0, v0, v1
	s_delay_alu instid0(VALU_DEP_1) | instskip(NEXT) | instid1(VALU_DEP_1)
	v_mul_hi_u32 v0, v12, v0
	v_mul_lo_u32 v1, v0, s26
	s_delay_alu instid0(VALU_DEP_1) | instskip(NEXT) | instid1(VALU_DEP_1)
	v_dual_add_nc_u32 v2, 1, v0 :: v_dual_sub_nc_u32 v1, v12, v1
	v_subrev_nc_u32_e32 v3, s26, v1
	v_cmp_le_u32_e32 vcc_lo, s26, v1
	s_delay_alu instid0(VALU_DEP_2) | instskip(NEXT) | instid1(VALU_DEP_1)
	v_dual_cndmask_b32 v1, v1, v3 :: v_dual_cndmask_b32 v0, v0, v2
	v_cmp_le_u32_e32 vcc_lo, s26, v1
	s_delay_alu instid0(VALU_DEP_2) | instskip(NEXT) | instid1(VALU_DEP_1)
	v_add_nc_u32_e32 v2, 1, v0
	v_cndmask_b32_e32 v6, v0, v2, vcc_lo
.LBB6_5:
	s_or_b32 exec_lo, exec_lo, s2
	s_delay_alu instid0(VALU_DEP_1) | instskip(SKIP_1) | instid1(VALU_DEP_1)
	v_dual_mov_b32 v0, 0 :: v_dual_bitop2_b32 v1, s21, v7 bitop3:0x54
                                        ; implicit-def: $vgpr4_vgpr5
	s_mov_b32 s2, exec_lo
	v_cmpx_ne_u64_e32 0, v[0:1]
	s_xor_b32 s3, exec_lo, s2
	s_cbranch_execz .LBB6_7
; %bb.6:
	s_ashr_i32 s4, s21, 31
	s_mov_b32 s39, 0
	s_mov_b32 s5, s4
	v_dual_mov_b32 v9, v0 :: v_dual_ashrrev_i32 v2, 31, v7
	s_add_nc_u64 s[6:7], s[20:21], s[4:5]
	v_dual_mov_b32 v19, v0 :: v_dual_mov_b32 v1, v0
	s_xor_b64 s[6:7], s[6:7], s[4:5]
	s_delay_alu instid0(VALU_DEP_2) | instskip(SKIP_3) | instid1(VALU_DEP_1)
	v_mov_b32_e32 v3, v2
	s_cvt_f32_u32 s2, s6
	s_cvt_f32_u32 s5, s7
	s_sub_nc_u64 s[34:35], 0, s[6:7]
	v_add_nc_u64_e32 v[4:5], v[6:7], v[2:3]
	s_delay_alu instid0(SALU_CYCLE_1) | instskip(SKIP_1) | instid1(SALU_CYCLE_2)
	s_fmamk_f32 s2, s5, 0x4f800000, s2
	v_mov_b32_e32 v11, v0
	v_s_rcp_f32 s2, s2
	s_delay_alu instid0(VALU_DEP_2) | instskip(NEXT) | instid1(VALU_DEP_3)
	v_xor_b32_e32 v8, v4, v2
	v_xor_b32_e32 v10, v5, v2
	;; [unrolled: 1-line block ×3, first 2 shown]
	s_delay_alu instid0(TRANS32_DEP_1) | instskip(NEXT) | instid1(SALU_CYCLE_3)
	s_mul_f32 s2, s2, 0x5f7ffffc
	s_mul_f32 s5, s2, 0x2f800000
	s_delay_alu instid0(SALU_CYCLE_3) | instskip(NEXT) | instid1(SALU_CYCLE_3)
	s_trunc_f32 s5, s5
	s_fmamk_f32 s2, s5, 0xcf800000, s2
	s_cvt_u32_f32 s25, s5
	s_delay_alu instid0(SALU_CYCLE_2) | instskip(NEXT) | instid1(SALU_CYCLE_3)
	s_cvt_u32_f32 s24, s2
	s_mul_u64 s[36:37], s[34:35], s[24:25]
	s_delay_alu instid0(SALU_CYCLE_1)
	s_mul_hi_u32 s41, s24, s37
	s_mul_i32 s40, s24, s37
	s_mul_hi_u32 s38, s24, s36
	s_mul_i32 s5, s25, s36
	s_add_nc_u64 s[40:41], s[38:39], s[40:41]
	s_mul_hi_u32 s2, s25, s36
	s_mul_hi_u32 s33, s25, s37
	s_add_co_u32 s5, s40, s5
	s_add_co_ci_u32 s38, s41, s2
	s_mul_i32 s36, s25, s37
	s_add_co_ci_u32 s37, s33, 0
	s_delay_alu instid0(SALU_CYCLE_1) | instskip(NEXT) | instid1(SALU_CYCLE_1)
	s_add_nc_u64 s[36:37], s[38:39], s[36:37]
	s_add_co_u32 s24, s24, s36
	s_cselect_b32 s2, -1, 0
	s_delay_alu instid0(SALU_CYCLE_1) | instskip(SKIP_1) | instid1(SALU_CYCLE_1)
	s_cmp_lg_u32 s2, 0
	s_add_co_ci_u32 s25, s25, s37
	s_mul_u64 s[34:35], s[34:35], s[24:25]
	s_delay_alu instid0(SALU_CYCLE_1)
	s_mul_hi_u32 s37, s24, s35
	s_mul_i32 s36, s24, s35
	s_mul_hi_u32 s38, s24, s34
	s_mul_i32 s5, s25, s34
	s_add_nc_u64 s[36:37], s[38:39], s[36:37]
	s_mul_hi_u32 s2, s25, s34
	s_mul_hi_u32 s33, s25, s35
	s_add_co_u32 s5, s36, s5
	s_add_co_ci_u32 s38, s37, s2
	s_mul_i32 s34, s25, s35
	s_add_co_ci_u32 s35, s33, 0
	s_delay_alu instid0(SALU_CYCLE_1) | instskip(NEXT) | instid1(SALU_CYCLE_1)
	s_add_nc_u64 s[34:35], s[38:39], s[34:35]
	s_add_co_u32 s2, s24, s34
	s_cselect_b32 s5, -1, 0
	v_mul_hi_u32 v18, v8, s2
	s_cmp_lg_u32 s5, 0
	s_add_co_ci_u32 s38, s25, s35
	s_mov_b64 s[24:25], 0xffffffff
	v_mul_u64_e32 v[14:15], s[38:39], v[8:9]
	s_and_b64 s[24:25], s[2:3], s[24:25]
	v_mul_u64_e32 v[16:17], s[38:39], v[10:11]
	v_mul_u64_e32 v[4:5], s[24:25], v[10:11]
	s_delay_alu instid0(VALU_DEP_3) | instskip(NEXT) | instid1(VALU_DEP_1)
	v_add_nc_u64_e32 v[14:15], v[18:19], v[14:15]
	v_add_co_u32 v0, vcc_lo, v14, v4
	s_delay_alu instid0(VALU_DEP_2) | instskip(SKIP_1) | instid1(VALU_DEP_1)
	v_add_co_ci_u32_e32 v0, vcc_lo, v15, v5, vcc_lo
	v_add_co_ci_u32_e32 v17, vcc_lo, 0, v17, vcc_lo
	v_add_nc_u64_e32 v[0:1], v[0:1], v[16:17]
	s_delay_alu instid0(VALU_DEP_1) | instskip(NEXT) | instid1(VALU_DEP_1)
	v_mul_u64_e32 v[4:5], s[6:7], v[0:1]
	v_sub_nc_u32_e32 v3, v10, v5
	s_delay_alu instid0(VALU_DEP_2) | instskip(NEXT) | instid1(VALU_DEP_1)
	v_sub_co_u32 v4, vcc_lo, v8, v4
	v_sub_co_ci_u32_e64 v10, null, v10, v5, vcc_lo
	s_delay_alu instid0(VALU_DEP_3) | instskip(NEXT) | instid1(VALU_DEP_3)
	v_subrev_co_ci_u32_e64 v3, null, s7, v3, vcc_lo
	v_sub_co_u32 v8, s2, v4, s6
	s_delay_alu instid0(VALU_DEP_1) | instskip(NEXT) | instid1(VALU_DEP_2)
	v_subrev_co_ci_u32_e64 v3, null, 0, v3, s2
	v_cmp_le_u32_e32 vcc_lo, s6, v8
	v_cndmask_b32_e64 v5, 0, -1, vcc_lo
	s_delay_alu instid0(VALU_DEP_3)
	v_cmp_le_u32_e32 vcc_lo, s7, v3
	v_cndmask_b32_e64 v8, 0, -1, vcc_lo
	v_cmp_le_u32_e32 vcc_lo, s6, v4
	v_cndmask_b32_e64 v11, 0, -1, vcc_lo
	;; [unrolled: 2-line block ×3, first 2 shown]
	v_cmp_eq_u32_e32 vcc_lo, s7, v3
	v_cndmask_b32_e32 v3, v8, v5, vcc_lo
	v_cmp_eq_u32_e32 vcc_lo, s7, v10
	v_add_nc_u64_e32 v[4:5], 2, v[0:1]
	v_add_nc_u64_e32 v[8:9], 1, v[0:1]
	v_cndmask_b32_e32 v10, v14, v11, vcc_lo
	v_cmp_ne_u32_e32 vcc_lo, 0, v3
	s_delay_alu instid0(VALU_DEP_2) | instskip(NEXT) | instid1(VALU_DEP_4)
	v_cmp_ne_u32_e64 s2, 0, v10
	v_dual_cndmask_b32 v3, v9, v5 :: v_dual_cndmask_b32 v4, v8, v4
	s_delay_alu instid0(VALU_DEP_1) | instskip(NEXT) | instid1(VALU_DEP_1)
	v_dual_cndmask_b32 v1, v1, v3, s2 :: v_dual_cndmask_b32 v0, v0, v4, s2
	v_dual_mov_b32 v3, v2 :: v_dual_bitop2_b32 v1, v1, v2 bitop3:0x14
	s_delay_alu instid0(VALU_DEP_2) | instskip(NEXT) | instid1(VALU_DEP_1)
	v_xor_b32_e32 v0, v0, v2
	v_sub_nc_u64_e32 v[4:5], v[0:1], v[2:3]
.LBB6_7:
	s_and_not1_saveexec_b32 s2, s3
	s_cbranch_execz .LBB6_9
; %bb.8:
	v_cvt_f32_u32_e32 v0, s20
	s_sub_co_i32 s3, 0, s20
	v_mov_b32_e32 v5, 0
	s_delay_alu instid0(VALU_DEP_2) | instskip(SKIP_1) | instid1(TRANS32_DEP_1)
	v_rcp_iflag_f32_e32 v0, v0
	v_nop
	v_mul_f32_e32 v0, 0x4f7ffffe, v0
	s_delay_alu instid0(VALU_DEP_1) | instskip(NEXT) | instid1(VALU_DEP_1)
	v_cvt_u32_f32_e32 v0, v0
	v_mul_lo_u32 v1, s3, v0
	s_delay_alu instid0(VALU_DEP_1) | instskip(NEXT) | instid1(VALU_DEP_1)
	v_mul_hi_u32 v1, v0, v1
	v_add_nc_u32_e32 v0, v0, v1
	s_delay_alu instid0(VALU_DEP_1) | instskip(NEXT) | instid1(VALU_DEP_1)
	v_mul_hi_u32 v0, v6, v0
	v_mul_lo_u32 v1, v0, s20
	s_delay_alu instid0(VALU_DEP_1) | instskip(NEXT) | instid1(VALU_DEP_1)
	v_dual_add_nc_u32 v2, 1, v0 :: v_dual_sub_nc_u32 v1, v6, v1
	v_subrev_nc_u32_e32 v3, s20, v1
	v_cmp_le_u32_e32 vcc_lo, s20, v1
	s_delay_alu instid0(VALU_DEP_2) | instskip(NEXT) | instid1(VALU_DEP_1)
	v_dual_cndmask_b32 v1, v1, v3 :: v_dual_cndmask_b32 v0, v0, v2
	v_cmp_le_u32_e32 vcc_lo, s20, v1
	s_delay_alu instid0(VALU_DEP_2) | instskip(NEXT) | instid1(VALU_DEP_1)
	v_add_nc_u32_e32 v2, 1, v0
	v_cndmask_b32_e32 v4, v0, v2, vcc_lo
.LBB6_9:
	s_or_b32 exec_lo, exec_lo, s2
	s_delay_alu instid0(VALU_DEP_1) | instskip(NEXT) | instid1(VALU_DEP_1)
	v_mul_u64_e32 v[0:1], s[20:21], v[4:5]
	v_mul_u64_e32 v[2:3], s[22:23], v[0:1]
	v_sub_nc_u64_e32 v[8:9], v[6:7], v[0:1]
	s_delay_alu instid0(VALU_DEP_2) | instskip(NEXT) | instid1(VALU_DEP_1)
	v_lshl_add_u64 v[0:1], v[2:3], 3, s[16:17]
	v_lshl_add_u64 v[0:1], v[8:9], 3, v[0:1]
	global_load_b64 v[10:11], v[0:1], off
	s_wait_loadcnt 0x0
	v_cmp_ne_u64_e32 vcc_lo, 0, v[10:11]
	s_and_b32 exec_lo, exec_lo, vcc_lo
	s_cbranch_execz .LBB6_79
; %bb.10:
	s_load_b256 s[36:43], s[0:1], 0x70
	s_add_nc_u64 s[2:3], s[20:21], 1
	v_mul_u64_e32 v[14:15], s[26:27], v[6:7]
	s_load_b32 s6, s[0:1], 0x0
	s_wait_kmcnt 0x0
	s_mul_u64 s[2:3], s[40:41], s[2:3]
	v_mad_nc_u64_u32 v[16:17], v4, s38, v[8:9]
	v_mul_u64_e32 v[0:1], s[2:3], v[4:5]
	s_and_b32 s2, s6, -3
	s_delay_alu instid0(SALU_CYCLE_1) | instskip(NEXT) | instid1(VALU_DEP_3)
	s_cmp_lg_u32 s2, 0
	v_sub_nc_u64_e32 v[6:7], v[12:13], v[14:15]
	s_delay_alu instid0(VALU_DEP_2) | instskip(NEXT) | instid1(VALU_DEP_1)
	v_lshl_add_u64 v[0:1], v[0:1], 3, s[18:19]
	v_lshl_add_u64 v[0:1], v[8:9], 3, v[0:1]
	v_mad_u32 v8, v5, s38, v17
	global_load_b128 v[0:3], v[0:1], off
	v_mad_u32 v17, v4, s39, v8
	v_mad_nc_u64_u32 v[8:9], v16, s36, v[6:7]
	s_delay_alu instid0(VALU_DEP_1) | instskip(NEXT) | instid1(VALU_DEP_1)
	v_mad_u32 v9, v17, s36, v9
	v_mad_u32 v9, v16, s37, v9
	s_cbranch_scc0 .LBB6_25
; %bb.11:
	s_cmp_lt_i32 s6, 3
	s_mov_b32 s2, -1
	s_cbranch_scc1 .LBB6_39
; %bb.12:
	s_cmp_lt_i32 s6, 4
	s_cbranch_scc1 .LBB6_28
; %bb.13:
	s_cmp_eq_u32 s6, 4
	s_cbranch_scc0 .LBB6_27
; %bb.14:
	s_mov_b32 s7, exec_lo
	s_wait_loadcnt 0x0
	v_cmpx_gt_i64_e64 v[2:3], v[0:1]
	s_cbranch_execz .LBB6_26
; %bb.15:
	v_lshlrev_b64_e32 v[18:19], 1, v[8:9]
	v_mul_u64_e32 v[20:21], s[30:31], v[4:5]
	v_lshlrev_b64_e32 v[22:23], 1, v[12:13]
	s_load_b32 s16, s[0:1], 0x48
	s_lshl_b64 s[2:3], s[28:29], 1
	s_mov_b64 s[4:5], 0
	s_mov_b32 s17, 0
	v_add_nc_u64_e32 v[16:17], s[10:11], v[18:19]
	v_add_nc_u64_e32 v[18:19], s[12:13], v[18:19]
	global_load_u16 v26, v[16:17], off
	global_load_u16 v27, v[18:19], off
	s_wait_xcnt 0x0
	v_lshlrev_b64_e32 v[18:19], 1, v[0:1]
	s_delay_alu instid0(VALU_DEP_1) | instskip(SKIP_1) | instid1(VALU_DEP_2)
	v_lshl_add_u64 v[24:25], v[20:21], 1, v[18:19]
	v_mad_nc_u64_u32 v[18:19], v20, s28, v[6:7]
	v_mad_nc_u64_u32 v[22:23], s28, v24, v[22:23]
	s_delay_alu instid0(VALU_DEP_2) | instskip(NEXT) | instid1(VALU_DEP_2)
	v_mad_u32 v19, v21, s28, v19
	v_mad_u32 v23, s29, v24, v23
	s_delay_alu instid0(VALU_DEP_2) | instskip(NEXT) | instid1(VALU_DEP_2)
	v_mad_u32 v19, v20, s29, v19
	v_mad_u32 v23, s28, v25, v23
	s_wait_loadcnt 0x0
	v_dual_lshlrev_b32 v24, 16, v26 :: v_dual_lshlrev_b32 v26, 16, v27
	s_delay_alu instid0(VALU_DEP_1) | instskip(SKIP_1) | instid1(VALU_DEP_2)
	v_mul_f32_e32 v26, v26, v24
	v_lshlrev_b64_e32 v[24:25], 1, v[14:15]
	v_bfe_u32 v21, v26, 16, 1
	v_cmp_o_f32_e32 vcc_lo, v26, v26
	s_delay_alu instid0(VALU_DEP_3) | instskip(NEXT) | instid1(VALU_DEP_3)
	v_sub_nc_u64_e32 v[22:23], v[22:23], v[24:25]
	v_add3_u32 v21, v26, v21, 0x7fff
	s_delay_alu instid0(VALU_DEP_1) | instskip(NEXT) | instid1(VALU_DEP_3)
	v_and_b32_e32 v24, 0xffff0000, v21
	v_add_nc_u64_e32 v[20:21], s[14:15], v[22:23]
	v_mov_b64_e32 v[22:23], v[0:1]
	s_delay_alu instid0(VALU_DEP_3)
	v_cndmask_b32_e32 v30, 0x7fc00000, v24, vcc_lo
	s_branch .LBB6_18
.LBB6_16:                               ;   in Loop: Header=BB6_18 Depth=1
	s_or_b32 exec_lo, exec_lo, s19
	global_load_u16 v26, v[16:17], off
	s_wait_loadcnt 0x0
	v_dual_lshlrev_b32 v27, 16, v31 :: v_dual_lshlrev_b32 v26, 16, v26
	s_delay_alu instid0(VALU_DEP_1)
	v_mul_f32_e32 v26, v26, v27
.LBB6_17:                               ;   in Loop: Header=BB6_18 Depth=1
	s_wait_xcnt 0x0
	s_or_b32 exec_lo, exec_lo, s18
	s_delay_alu instid0(VALU_DEP_1)
	v_bfe_u32 v27, v26, 16, 1
	v_add_nc_u64_e32 v[22:23], 1, v[22:23]
	v_cmp_o_f32_e64 s0, v26, v26
	v_lshl_add_u64 v[24:25], v[24:25], 1, s[8:9]
	s_add_nc_u64 s[4:5], s[4:5], 1
	v_add3_u32 v27, v26, v27, 0x7fff
	v_cmp_ge_i64_e32 vcc_lo, v[22:23], v[2:3]
	s_delay_alu instid0(VALU_DEP_2) | instskip(SKIP_1) | instid1(VALU_DEP_1)
	v_lshrrev_b32_e32 v27, 16, v27
	s_or_b32 s17, vcc_lo, s17
	v_cndmask_b32_e64 v26, 0x7fc0, v27, s0
	global_store_b16 v[24:25], v26, off
	s_wait_xcnt 0x0
	s_and_not1_b32 exec_lo, exec_lo, s17
	s_cbranch_execz .LBB6_26
.LBB6_18:                               ; =>This Loop Header: Depth=1
                                        ;     Child Loop BB6_23 Depth 2
	s_delay_alu instid0(VALU_DEP_2) | instskip(SKIP_1) | instid1(VALU_DEP_1)
	v_mad_nc_u64_u32 v[24:25], v22, s28, v[18:19]
	s_mov_b32 s0, exec_lo
	v_mad_u32 v25, v23, s28, v25
	s_delay_alu instid0(VALU_DEP_1) | instskip(NEXT) | instid1(VALU_DEP_1)
	v_mad_u32 v25, v22, s29, v25
	v_lshl_add_u64 v[26:27], v[24:25], 1, s[14:15]
	global_load_u16 v26, v[26:27], off
	s_wait_loadcnt 0x0
	s_wait_xcnt 0x0
	v_lshlrev_b32_e32 v27, 16, v26
                                        ; implicit-def: $vgpr26
	s_delay_alu instid0(VALU_DEP_1)
	v_cmpx_lg_f32_e32 0, v27
	s_xor_b32 s0, exec_lo, s0
	s_cbranch_execz .LBB6_20
; %bb.19:                               ;   in Loop: Header=BB6_18 Depth=1
	v_div_scale_f32 v26, null, v27, v27, v30
	s_delay_alu instid0(VALU_DEP_1) | instskip(SKIP_1) | instid1(TRANS32_DEP_1)
	v_rcp_f32_e32 v28, v26
	v_nop
	v_fma_f32 v29, -v26, v28, 1.0
	s_delay_alu instid0(VALU_DEP_1) | instskip(SKIP_1) | instid1(VALU_DEP_1)
	v_fmac_f32_e32 v28, v29, v28
	v_div_scale_f32 v29, vcc_lo, v30, v27, v30
	v_mul_f32_e32 v31, v29, v28
	s_delay_alu instid0(VALU_DEP_1) | instskip(NEXT) | instid1(VALU_DEP_1)
	v_fma_f32 v32, -v26, v31, v29
	v_fmac_f32_e32 v31, v32, v28
	s_delay_alu instid0(VALU_DEP_1) | instskip(NEXT) | instid1(VALU_DEP_1)
	v_fma_f32 v26, -v26, v31, v29
	v_div_fmas_f32 v26, v26, v28, v31
	s_delay_alu instid0(VALU_DEP_1)
	v_div_fixup_f32 v26, v26, v27, v30
.LBB6_20:                               ;   in Loop: Header=BB6_18 Depth=1
	s_and_not1_saveexec_b32 s18, s0
	s_cbranch_execz .LBB6_17
; %bb.21:                               ;   in Loop: Header=BB6_18 Depth=1
	v_mov_b64_e32 v[26:27], v[20:21]
	v_mov_b64_e32 v[28:29], v[0:1]
	s_wait_kmcnt 0x0
	v_mov_b32_e32 v31, s16
	s_mov_b32 s19, 0
	s_mov_b64 s[0:1], s[4:5]
	s_branch .LBB6_23
.LBB6_22:                               ;   in Loop: Header=BB6_23 Depth=2
	v_add_nc_u64_e32 v[28:29], 1, v[28:29]
	s_wait_xcnt 0x0
	v_add_nc_u64_e32 v[26:27], s[2:3], v[26:27]
	s_add_nc_u64 s[0:1], s[0:1], -1
	s_delay_alu instid0(VALU_DEP_2) | instskip(SKIP_1) | instid1(SALU_CYCLE_1)
	v_cmp_ge_i64_e32 vcc_lo, v[28:29], v[2:3]
	s_or_b32 s19, vcc_lo, s19
	s_and_not1_b32 exec_lo, exec_lo, s19
	s_cbranch_execz .LBB6_16
.LBB6_23:                               ;   Parent Loop BB6_18 Depth=1
                                        ; =>  This Inner Loop Header: Depth=2
	s_cmp_eq_u64 s[0:1], 0
	s_cbranch_scc1 .LBB6_22
; %bb.24:                               ;   in Loop: Header=BB6_23 Depth=2
	global_load_u16 v32, v[26:27], off
	s_wait_loadcnt 0x0
	v_dual_lshlrev_b32 v31, 16, v31 :: v_dual_lshlrev_b32 v32, 16, v32
	s_delay_alu instid0(VALU_DEP_1) | instskip(NEXT) | instid1(VALU_DEP_1)
	v_mul_f32_e32 v31, v32, v31
	v_bfe_u32 v32, v31, 16, 1
	s_delay_alu instid0(VALU_DEP_1) | instskip(NEXT) | instid1(VALU_DEP_1)
	v_add3_u32 v32, v31, v32, 0x7fff
	v_lshrrev_b32_e32 v32, 16, v32
	v_cmp_o_f32_e32 vcc_lo, v31, v31
	s_delay_alu instid0(VALU_DEP_2)
	v_cndmask_b32_e32 v31, 0x7fc0, v32, vcc_lo
	s_branch .LBB6_22
.LBB6_25:
	s_cbranch_execnz .LBB6_51
	s_branch .LBB6_79
.LBB6_26:
	s_or_b32 exec_lo, exec_lo, s7
.LBB6_27:
	s_mov_b32 s2, 0
.LBB6_28:
	s_delay_alu instid0(SALU_CYCLE_1)
	s_and_not1_b32 vcc_lo, exec_lo, s2
	s_cbranch_vccnz .LBB6_38
; %bb.29:
	s_mov_b32 s2, exec_lo
	s_wait_loadcnt 0x0
	v_cmpx_gt_i64_e64 v[2:3], v[0:1]
	s_cbranch_execz .LBB6_37
; %bb.30:
	v_lshl_add_u64 v[16:17], v[8:9], 1, s[10:11]
	v_sub_nc_u64_e32 v[20:21], v[2:3], v[0:1]
	v_mov_b64_e32 v[18:19], v[0:1]
	s_cmp_eq_u64 s[28:29], 1
	s_mov_b32 s1, -1
	global_load_u16 v28, v[16:17], off
	s_wait_xcnt 0x0
	v_mul_u64_e32 v[16:17], s[30:31], v[4:5]
	s_cselect_b32 s0, -1, 0
	v_cmp_lt_u64_e32 vcc_lo, 3, v[20:21]
	s_and_b32 s3, vcc_lo, s0
	s_delay_alu instid0(SALU_CYCLE_1)
	s_and_saveexec_b32 s0, s3
	s_cbranch_execz .LBB6_34
; %bb.31:
	s_delay_alu instid0(VALU_DEP_2) | instskip(SKIP_3) | instid1(VALU_DEP_1)
	v_mul_u64_e32 v[18:19], s[28:29], v[16:17]
	s_wait_loadcnt 0x0
	v_perm_b32 v22, v28, v28, 0x5040100
	s_mov_b32 s1, 0
	v_mov_b32_e32 v23, v22
	s_delay_alu instid0(VALU_DEP_3) | instskip(SKIP_1) | instid1(VALU_DEP_2)
	v_lshl_add_u64 v[24:25], v[18:19], 1, s[8:9]
	v_dual_mov_b32 v19, v21 :: v_dual_bitop2_b32 v18, -4, v20 bitop3:0x40
	v_lshl_add_u64 v[24:25], v[6:7], 1, v[24:25]
	s_delay_alu instid0(VALU_DEP_2) | instskip(NEXT) | instid1(VALU_DEP_2)
	v_mov_b64_e32 v[26:27], v[18:19]
	v_lshl_add_u64 v[24:25], v[0:1], 1, v[24:25]
.LBB6_32:                               ; =>This Inner Loop Header: Depth=1
	s_delay_alu instid0(VALU_DEP_2)
	v_add_nc_u64_e32 v[26:27], -4, v[26:27]
	global_store_b64 v[24:25], v[22:23], off
	s_wait_xcnt 0x0
	v_add_nc_u64_e32 v[24:25], 8, v[24:25]
	v_cmp_eq_u64_e32 vcc_lo, 0, v[26:27]
	s_or_b32 s1, vcc_lo, s1
	s_delay_alu instid0(SALU_CYCLE_1)
	s_and_not1_b32 exec_lo, exec_lo, s1
	s_cbranch_execnz .LBB6_32
; %bb.33:
	s_or_b32 exec_lo, exec_lo, s1
	v_cmp_ne_u64_e32 vcc_lo, v[20:21], v[18:19]
	v_add_nc_u64_e32 v[18:19], v[0:1], v[18:19]
	s_or_not1_b32 s1, vcc_lo, exec_lo
.LBB6_34:
	s_or_b32 exec_lo, exec_lo, s0
	s_delay_alu instid0(SALU_CYCLE_1)
	s_and_b32 exec_lo, exec_lo, s1
	s_cbranch_execz .LBB6_37
; %bb.35:
	s_delay_alu instid0(VALU_DEP_1) | instskip(SKIP_3) | instid1(VALU_DEP_2)
	v_lshlrev_b64_e32 v[20:21], 1, v[18:19]
	v_lshlrev_b64_e32 v[22:23], 1, v[12:13]
	s_lshl_b64 s[0:1], s[28:29], 1
	s_mov_b32 s3, 0
	v_lshl_add_u64 v[16:17], v[16:17], 1, v[20:21]
	s_delay_alu instid0(VALU_DEP_1) | instskip(NEXT) | instid1(VALU_DEP_1)
	v_mad_nc_u64_u32 v[20:21], s28, v16, v[22:23]
	v_mad_u32 v16, s29, v16, v21
	s_delay_alu instid0(VALU_DEP_1) | instskip(SKIP_1) | instid1(VALU_DEP_1)
	v_mad_u32 v21, s28, v17, v16
	v_lshlrev_b64_e32 v[16:17], 1, v[14:15]
	v_sub_nc_u64_e32 v[16:17], v[20:21], v[16:17]
	s_delay_alu instid0(VALU_DEP_1)
	v_add_nc_u64_e32 v[16:17], s[8:9], v[16:17]
.LBB6_36:                               ; =>This Inner Loop Header: Depth=1
	v_add_nc_u64_e32 v[18:19], 1, v[18:19]
	s_wait_loadcnt 0x0
	global_store_b16 v[16:17], v28, off
	s_wait_xcnt 0x0
	v_add_nc_u64_e32 v[16:17], s[0:1], v[16:17]
	v_cmp_ge_i64_e32 vcc_lo, v[18:19], v[2:3]
	s_or_b32 s3, vcc_lo, s3
	s_delay_alu instid0(SALU_CYCLE_1)
	s_and_not1_b32 exec_lo, exec_lo, s3
	s_cbranch_execnz .LBB6_36
.LBB6_37:
	s_or_b32 exec_lo, exec_lo, s2
.LBB6_38:
	s_mov_b32 s2, 0
.LBB6_39:
	s_delay_alu instid0(SALU_CYCLE_1)
	s_and_not1_b32 vcc_lo, exec_lo, s2
	s_cbranch_vccnz .LBB6_50
; %bb.40:
	s_cmp_lg_u32 s6, 1
	s_cbranch_scc1 .LBB6_50
; %bb.41:
	s_mov_b32 s2, exec_lo
	s_wait_loadcnt 0x0
	v_cmpx_gt_i64_e64 v[2:3], v[0:1]
	s_cbranch_execz .LBB6_49
; %bb.42:
	v_lshl_add_u64 v[16:17], v[8:9], 1, s[10:11]
	v_cls_i32_e32 v18, v11
	s_cmp_eq_u64 s[28:29], 1
	s_mov_b32 s1, -1
	global_load_u16 v16, v[16:17], off
	s_wait_loadcnt 0x0
	v_dual_lshlrev_b32 v16, 16, v16 :: v_dual_bitop2_b32 v17, v10, v11 bitop3:0x14
	s_delay_alu instid0(VALU_DEP_1) | instskip(NEXT) | instid1(VALU_DEP_1)
	v_ashrrev_i32_e32 v17, 31, v17
	v_add_nc_u32_e32 v17, 32, v17
	s_delay_alu instid0(VALU_DEP_1) | instskip(NEXT) | instid1(VALU_DEP_1)
	v_add_min_u32_e64 v17, v18, -1, v17
	v_lshlrev_b64_e32 v[10:11], v17, v[10:11]
	s_delay_alu instid0(VALU_DEP_1) | instskip(NEXT) | instid1(VALU_DEP_1)
	v_min_u32_e32 v10, 1, v10
	v_dual_sub_nc_u32 v11, 32, v17 :: v_dual_bitop2_b32 v10, v11, v10 bitop3:0x54
	s_delay_alu instid0(VALU_DEP_1) | instskip(NEXT) | instid1(VALU_DEP_1)
	v_cvt_f32_i32_e32 v10, v10
	v_ldexp_f32 v10, v10, v11
	s_delay_alu instid0(VALU_DEP_1) | instskip(NEXT) | instid1(VALU_DEP_1)
	v_bfe_u32 v11, v10, 16, 1
	v_add3_u32 v10, v10, v11, 0x7fff
	s_delay_alu instid0(VALU_DEP_1) | instskip(NEXT) | instid1(VALU_DEP_1)
	v_and_b32_e32 v17, 0xffff0000, v10
	v_div_scale_f32 v10, null, v17, v17, v16
	v_div_scale_f32 v19, vcc_lo, v16, v17, v16
	s_delay_alu instid0(VALU_DEP_2) | instskip(SKIP_1) | instid1(TRANS32_DEP_1)
	v_rcp_f32_e32 v18, v10
	v_nop
	v_fma_f32 v11, -v10, v18, 1.0
	s_delay_alu instid0(VALU_DEP_1) | instskip(NEXT) | instid1(VALU_DEP_1)
	v_fmac_f32_e32 v18, v11, v18
	v_mul_f32_e32 v20, v19, v18
	s_delay_alu instid0(VALU_DEP_1) | instskip(NEXT) | instid1(VALU_DEP_1)
	v_fma_f32 v11, -v10, v20, v19
	v_fmac_f32_e32 v20, v11, v18
	s_delay_alu instid0(VALU_DEP_1) | instskip(SKIP_1) | instid1(VALU_DEP_2)
	v_fma_f32 v19, -v10, v20, v19
	v_mul_u64_e32 v[10:11], s[30:31], v[4:5]
	v_div_fmas_f32 v18, v19, v18, v20
	s_delay_alu instid0(VALU_DEP_1) | instskip(SKIP_1) | instid1(VALU_DEP_2)
	v_div_fixup_f32 v18, v18, v17, v16
	v_sub_nc_u64_e32 v[16:17], v[2:3], v[0:1]
	v_bfe_u32 v19, v18, 16, 1
	v_cmp_o_f32_e64 s0, v18, v18
	s_delay_alu instid0(VALU_DEP_3) | instskip(NEXT) | instid1(VALU_DEP_3)
	v_cmp_lt_u64_e32 vcc_lo, 3, v[16:17]
	v_add3_u32 v19, v18, v19, 0x7fff
	s_delay_alu instid0(VALU_DEP_1) | instskip(NEXT) | instid1(VALU_DEP_1)
	v_lshrrev_b32_e32 v19, 16, v19
	v_cndmask_b32_e64 v26, 0x7fc0, v19, s0
	v_mov_b64_e32 v[18:19], v[0:1]
	s_cselect_b32 s0, -1, 0
	s_delay_alu instid0(SALU_CYCLE_1) | instskip(NEXT) | instid1(SALU_CYCLE_1)
	s_and_b32 s3, vcc_lo, s0
	s_and_saveexec_b32 s0, s3
	s_cbranch_execz .LBB6_46
; %bb.43:
	v_mul_u64_e32 v[18:19], s[28:29], v[10:11]
	v_perm_b32 v20, v26, v26, 0x5040100
	s_mov_b32 s1, 0
	s_delay_alu instid0(VALU_DEP_1) | instskip(NEXT) | instid1(VALU_DEP_3)
	v_mov_b32_e32 v21, v20
	v_lshl_add_u64 v[22:23], v[18:19], 1, s[8:9]
	v_dual_mov_b32 v19, v17 :: v_dual_bitop2_b32 v18, -4, v16 bitop3:0x40
	s_delay_alu instid0(VALU_DEP_2) | instskip(NEXT) | instid1(VALU_DEP_2)
	v_lshl_add_u64 v[22:23], v[6:7], 1, v[22:23]
	v_mov_b64_e32 v[24:25], v[18:19]
	s_delay_alu instid0(VALU_DEP_2)
	v_lshl_add_u64 v[22:23], v[0:1], 1, v[22:23]
.LBB6_44:                               ; =>This Inner Loop Header: Depth=1
	s_delay_alu instid0(VALU_DEP_2)
	v_add_nc_u64_e32 v[24:25], -4, v[24:25]
	global_store_b64 v[22:23], v[20:21], off
	s_wait_xcnt 0x0
	v_add_nc_u64_e32 v[22:23], 8, v[22:23]
	v_cmp_eq_u64_e32 vcc_lo, 0, v[24:25]
	s_or_b32 s1, vcc_lo, s1
	s_delay_alu instid0(SALU_CYCLE_1)
	s_and_not1_b32 exec_lo, exec_lo, s1
	s_cbranch_execnz .LBB6_44
; %bb.45:
	s_or_b32 exec_lo, exec_lo, s1
	v_cmp_ne_u64_e32 vcc_lo, v[16:17], v[18:19]
	v_add_nc_u64_e32 v[18:19], v[0:1], v[18:19]
	s_or_not1_b32 s1, vcc_lo, exec_lo
.LBB6_46:
	s_or_b32 exec_lo, exec_lo, s0
	s_delay_alu instid0(SALU_CYCLE_1)
	s_and_b32 exec_lo, exec_lo, s1
	s_cbranch_execz .LBB6_49
; %bb.47:
	s_delay_alu instid0(VALU_DEP_1) | instskip(SKIP_3) | instid1(VALU_DEP_2)
	v_lshlrev_b64_e32 v[16:17], 1, v[18:19]
	v_lshlrev_b64_e32 v[20:21], 1, v[12:13]
	s_lshl_b64 s[0:1], s[28:29], 1
	s_mov_b32 s3, 0
	v_lshl_add_u64 v[10:11], v[10:11], 1, v[16:17]
	s_delay_alu instid0(VALU_DEP_1) | instskip(NEXT) | instid1(VALU_DEP_1)
	v_mad_nc_u64_u32 v[16:17], s28, v10, v[20:21]
	v_mad_u32 v10, s29, v10, v17
	s_delay_alu instid0(VALU_DEP_1) | instskip(SKIP_1) | instid1(VALU_DEP_1)
	v_mad_u32 v17, s28, v11, v10
	v_lshlrev_b64_e32 v[10:11], 1, v[14:15]
	v_sub_nc_u64_e32 v[10:11], v[16:17], v[10:11]
	s_delay_alu instid0(VALU_DEP_1)
	v_add_nc_u64_e32 v[10:11], s[8:9], v[10:11]
.LBB6_48:                               ; =>This Inner Loop Header: Depth=1
	v_add_nc_u64_e32 v[18:19], 1, v[18:19]
	global_store_b16 v[10:11], v26, off
	s_wait_xcnt 0x0
	v_add_nc_u64_e32 v[10:11], s[0:1], v[10:11]
	v_cmp_ge_i64_e32 vcc_lo, v[18:19], v[2:3]
	s_or_b32 s3, vcc_lo, s3
	s_delay_alu instid0(SALU_CYCLE_1)
	s_and_not1_b32 exec_lo, exec_lo, s3
	s_cbranch_execnz .LBB6_48
.LBB6_49:
	s_or_b32 exec_lo, exec_lo, s2
.LBB6_50:
	s_branch .LBB6_79
.LBB6_51:
	v_mov_b64_e32 v[10:11], 0
	s_mov_b32 s1, exec_lo
	s_wait_loadcnt 0x0
	v_cmp_le_i64_e32 vcc_lo, v[2:3], v[0:1]
	s_wait_xcnt 0x0
	v_cmpx_gt_i64_e64 v[2:3], v[0:1]
	s_cbranch_execz .LBB6_59
; %bb.52:
	v_mad_nc_u64_u32 v[10:11], v4, s30, v[0:1]
	v_mov_b64_e32 v[20:21], v[0:1]
	s_lshl_b64 s[2:3], s[28:29], 1
	s_mov_b32 s4, 0
	s_delay_alu instid0(VALU_DEP_2) | instskip(NEXT) | instid1(VALU_DEP_3)
	v_mad_u32 v11, v5, s30, v11
	v_mad_nc_u64_u32 v[16:17], s28, v10, v[12:13]
	s_delay_alu instid0(VALU_DEP_2) | instskip(NEXT) | instid1(VALU_DEP_2)
	v_mad_u32 v11, v4, s31, v11
	v_mad_u32 v10, s29, v10, v17
	s_delay_alu instid0(VALU_DEP_1) | instskip(SKIP_1) | instid1(VALU_DEP_1)
	v_mad_u32 v17, s28, v11, v10
	v_lshlrev_b64_e32 v[10:11], 1, v[8:9]
	v_add_nc_u64_e32 v[8:9], s[12:13], v[10:11]
	s_delay_alu instid0(VALU_DEP_3) | instskip(SKIP_2) | instid1(VALU_DEP_3)
	v_sub_nc_u64_e32 v[18:19], v[16:17], v[14:15]
	v_add_nc_u64_e32 v[16:17], s[10:11], v[10:11]
	v_mov_b64_e32 v[10:11], 0
	v_lshlrev_b64_e32 v[18:19], 1, v[18:19]
	s_branch .LBB6_54
.LBB6_53:                               ;   in Loop: Header=BB6_54 Depth=1
	s_wait_xcnt 0x0
	s_or_b32 exec_lo, exec_lo, s0
	v_add_nc_u64_e32 v[20:21], 1, v[20:21]
	v_add_nc_u64_e32 v[18:19], s[2:3], v[18:19]
	s_delay_alu instid0(VALU_DEP_2) | instskip(SKIP_1) | instid1(SALU_CYCLE_1)
	v_cmp_ge_i64_e64 s0, v[20:21], v[2:3]
	s_or_b32 s4, s0, s4
	s_and_not1_b32 exec_lo, exec_lo, s4
	s_cbranch_execz .LBB6_58
.LBB6_54:                               ; =>This Inner Loop Header: Depth=1
	s_delay_alu instid0(VALU_DEP_1) | instskip(SKIP_4) | instid1(VALU_DEP_1)
	v_add_nc_u64_e32 v[22:23], s[14:15], v[18:19]
	s_mov_b32 s6, exec_lo
	global_load_u16 v22, v[22:23], off
	s_wait_loadcnt 0x0
	v_lshlrev_b32_e32 v22, 16, v22
	v_cmp_u_f32_e64 s5, v22, v22
	v_cmpx_o_f32_e32 v22, v22
	s_cbranch_execz .LBB6_56
; %bb.55:                               ;   in Loop: Header=BB6_54 Depth=1
	global_load_u16 v23, v[8:9], off
	s_and_not1_b32 s5, s5, exec_lo
	s_wait_loadcnt 0x0
	v_lshlrev_b32_e32 v23, 16, v23
	s_delay_alu instid0(VALU_DEP_1) | instskip(SKIP_1) | instid1(SALU_CYCLE_1)
	v_cmp_eq_f32_e64 s0, v22, v23
	s_and_b32 s0, s0, exec_lo
	s_or_b32 s5, s5, s0
.LBB6_56:                               ;   in Loop: Header=BB6_54 Depth=1
	s_wait_xcnt 0x0
	s_or_b32 exec_lo, exec_lo, s6
	s_and_saveexec_b32 s0, s5
	s_cbranch_execz .LBB6_53
; %bb.57:                               ;   in Loop: Header=BB6_54 Depth=1
	global_load_u16 v24, v[16:17], off
	v_add_nc_u64_e32 v[22:23], s[8:9], v[18:19]
	v_add_nc_u64_e32 v[10:11], 1, v[10:11]
	s_wait_loadcnt 0x0
	global_store_b16 v[22:23], v24, off
	s_branch .LBB6_53
.LBB6_58:
	s_or_b32 exec_lo, exec_lo, s4
.LBB6_59:
	s_delay_alu instid0(SALU_CYCLE_1) | instskip(SKIP_2) | instid1(SALU_CYCLE_1)
	s_or_b32 exec_lo, exec_lo, s1
	v_cmp_lt_i64_e64 s0, 1, v[10:11]
	s_xor_b32 s1, vcc_lo, -1
	s_and_b32 s0, s0, s1
	s_delay_alu instid0(SALU_CYCLE_1)
	s_and_b32 exec_lo, exec_lo, s0
	s_cbranch_execz .LBB6_79
; %bb.60:
	v_clz_i32_u32_e32 v8, v11
	v_mul_u64_e32 v[16:17], s[30:31], v[4:5]
	s_mov_b32 s7, exec_lo
	s_delay_alu instid0(VALU_DEP_2) | instskip(NEXT) | instid1(VALU_DEP_1)
	v_min_u32_e32 v18, 32, v8
	v_lshlrev_b64_e32 v[8:9], v18, v[10:11]
	v_sub_nc_u32_e32 v5, 32, v18
	v_sub_nc_u64_e32 v[18:19], v[2:3], v[0:1]
	s_delay_alu instid0(VALU_DEP_3) | instskip(NEXT) | instid1(VALU_DEP_2)
	v_min_u32_e32 v8, 1, v8
	v_cmp_gt_u64_e64 s6, 16, v[18:19]
	s_delay_alu instid0(VALU_DEP_2) | instskip(NEXT) | instid1(VALU_DEP_1)
	v_or_b32_e32 v4, v9, v8
	v_cvt_f32_u32_e32 v4, v4
	s_delay_alu instid0(VALU_DEP_1) | instskip(NEXT) | instid1(VALU_DEP_1)
	v_ldexp_f32 v4, v4, v5
	v_bfe_u32 v5, v4, 16, 1
	s_delay_alu instid0(VALU_DEP_1) | instskip(NEXT) | instid1(VALU_DEP_1)
	v_add3_u32 v4, v4, v5, 0x7fff
	v_and_b32_e32 v4, 0xffff0000, v4
	v_cmpx_lt_u64_e32 15, v[18:19]
	s_cbranch_execz .LBB6_74
; %bb.61:
	v_add_nc_u64_e32 v[8:9], v[16:17], v[0:1]
	v_not_b32_e32 v11, v1
	v_not_b32_e32 v10, v0
	s_cmp_eq_u64 s[28:29], 1
	s_cselect_b32 s1, -1, 0
	s_delay_alu instid0(VALU_DEP_3) | instskip(NEXT) | instid1(VALU_DEP_2)
	v_add_nc_u64_e32 v[6:7], v[8:9], v[6:7]
	v_add_nc_u64_e32 v[8:9], v[2:3], v[10:11]
	s_delay_alu instid0(VALU_DEP_2) | instskip(NEXT) | instid1(VALU_DEP_2)
	v_lshl_add_u64 v[6:7], v[6:7], 1, s[8:9]
	v_cmp_lt_i64_e32 vcc_lo, -1, v[8:9]
	s_delay_alu instid0(VALU_DEP_2) | instskip(NEXT) | instid1(VALU_DEP_1)
	v_lshl_add_u64 v[10:11], v[8:9], 1, v[6:7]
	v_cmp_ge_u64_e64 s0, v[10:11], v[6:7]
	s_and_b32 s0, s0, vcc_lo
	s_delay_alu instid0(SALU_CYCLE_1)
	s_and_b32 s1, s1, s0
	s_mov_b32 s0, -1
	s_and_saveexec_b32 s10, s1
	s_cbranch_execz .LBB6_73
; %bb.62:
	v_lshlrev_b64_e32 v[6:7], 1, v[12:13]
	v_lshlrev_b64_e32 v[8:9], 1, v[14:15]
	v_dual_mov_b32 v21, v19 :: v_dual_bitop2_b32 v20, -4, v18 bitop3:0x40
	v_mov_b32_e32 v5, v4
	s_mov_b32 s11, 0
	s_delay_alu instid0(VALU_DEP_4) | instskip(NEXT) | instid1(VALU_DEP_3)
	v_lshl_add_u64 v[6:7], v[16:17], 1, v[6:7]
	v_mov_b64_e32 v[24:25], v[20:21]
	s_delay_alu instid0(VALU_DEP_2) | instskip(NEXT) | instid1(VALU_DEP_1)
	v_lshl_add_u64 v[6:7], v[0:1], 1, v[6:7]
	v_sub_nc_u64_e32 v[6:7], v[6:7], v[8:9]
	s_delay_alu instid0(VALU_DEP_1) | instskip(SKIP_1) | instid1(VALU_DEP_2)
	v_add_nc_u64_e32 v[8:9], s[8:9], v[6:7]
	v_dual_mov_b32 v6, v4 :: v_dual_mov_b32 v7, v4
	v_add_nc_u64_e32 v[22:23], 6, v[8:9]
	s_branch .LBB6_64
.LBB6_63:                               ;   in Loop: Header=BB6_64 Depth=1
	s_wait_xcnt 0x0
	s_or_b32 exec_lo, exec_lo, s1
	v_add_nc_u64_e32 v[24:25], -4, v[24:25]
	v_add_nc_u64_e32 v[22:23], 8, v[22:23]
	s_delay_alu instid0(VALU_DEP_2) | instskip(SKIP_1) | instid1(SALU_CYCLE_1)
	v_cmp_eq_u64_e32 vcc_lo, 0, v[24:25]
	s_or_b32 s11, vcc_lo, s11
	s_and_not1_b32 exec_lo, exec_lo, s11
	s_cbranch_execz .LBB6_72
.LBB6_64:                               ; =>This Inner Loop Header: Depth=1
	global_load_b64 v[8:9], v[22:23], off offset:-6
	s_wait_loadcnt 0x0
	v_and_b32_e32 v10, 0xffff0000, v9
	v_and_b32_e32 v11, 0xffff0000, v8
	v_dual_lshlrev_b32 v8, 16, v8 :: v_dual_lshlrev_b32 v26, 16, v9
	s_delay_alu instid0(VALU_DEP_3) | instskip(NEXT) | instid1(VALU_DEP_3)
	v_div_scale_f32 v9, null, v7, v7, v10
	v_div_scale_f32 v27, null, v5, v5, v11
	s_delay_alu instid0(VALU_DEP_3) | instskip(NEXT) | instid1(VALU_DEP_3)
	v_div_scale_f32 v28, null, v4, v4, v8
	v_rcp_f32_e32 v31, v9
	v_div_scale_f32 v29, null, v6, v6, v26
	s_delay_alu instid0(VALU_DEP_3) | instskip(NEXT) | instid1(VALU_DEP_2)
	v_rcp_f32_e32 v32, v27
	v_rcp_f32_e32 v33, v28
	v_div_scale_f32 v30, vcc_lo, v10, v7, v10
	s_delay_alu instid0(VALU_DEP_2) | instskip(SKIP_2) | instid1(TRANS32_DEP_3)
	v_rcp_f32_e32 v34, v29
	v_fma_f32 v37, -v9, v31, 1.0
	v_div_scale_f32 v35, s3, v11, v5, v11
	v_fma_f32 v38, -v27, v32, 1.0
	s_delay_alu instid0(TRANS32_DEP_2) | instskip(NEXT) | instid1(VALU_DEP_4)
	v_fma_f32 v39, -v28, v33, 1.0
	v_fmac_f32_e32 v31, v37, v31
	s_delay_alu instid0(TRANS32_DEP_1) | instskip(SKIP_1) | instid1(VALU_DEP_4)
	v_fma_f32 v40, -v29, v34, 1.0
	v_div_scale_f32 v36, s4, v8, v4, v8
	v_dual_fmac_f32 v32, v38, v32 :: v_dual_fmac_f32 v33, v39, v33
	s_delay_alu instid0(VALU_DEP_3) | instskip(SKIP_1) | instid1(VALU_DEP_3)
	v_dual_fmac_f32 v34, v40, v34 :: v_dual_mul_f32 v37, v30, v31
	v_div_scale_f32 v41, s5, v26, v6, v26
	v_dual_mul_f32 v38, v35, v32 :: v_dual_mul_f32 v39, v36, v33
	s_delay_alu instid0(VALU_DEP_3) | instskip(NEXT) | instid1(VALU_DEP_3)
	v_fma_f32 v42, -v9, v37, v30
	v_mul_f32_e32 v40, v41, v34
	v_cmp_lt_f32_e64 s0, 0, v10
	s_delay_alu instid0(VALU_DEP_4) | instskip(NEXT) | instid1(VALU_DEP_4)
	v_dual_fma_f32 v43, -v27, v38, v35 :: v_dual_fma_f32 v44, -v28, v39, v36
	v_fmac_f32_e32 v37, v42, v31
	s_delay_alu instid0(VALU_DEP_4) | instskip(SKIP_1) | instid1(VALU_DEP_4)
	v_fma_f32 v45, -v29, v40, v41
	v_cmp_lt_f32_e64 s2, 0, v11
	v_dual_fmac_f32 v38, v43, v32 :: v_dual_fmac_f32 v39, v44, v33
	s_delay_alu instid0(VALU_DEP_4) | instskip(NEXT) | instid1(VALU_DEP_4)
	v_fma_f32 v9, -v9, v37, v30
	v_fmac_f32_e32 v40, v45, v34
	v_cmp_lt_f32_e64 s1, 0, v26
	s_delay_alu instid0(VALU_DEP_4) | instskip(NEXT) | instid1(VALU_DEP_4)
	v_dual_fma_f32 v27, -v27, v38, v35 :: v_dual_fma_f32 v28, -v28, v39, v36
	v_div_fmas_f32 v9, v9, v31, v37
	s_mov_b32 vcc_lo, s3
	v_fma_f32 v29, -v29, v40, v41
	s_delay_alu instid0(VALU_DEP_3)
	v_div_fmas_f32 v27, v27, v32, v38
	s_mov_b32 vcc_lo, s4
	v_div_fixup_f32 v9, v9, v7, v10
	v_div_fmas_f32 v28, v28, v33, v39
	s_mov_b32 vcc_lo, s5
	v_div_fixup_f32 v11, v27, v5, v11
	v_div_fmas_f32 v29, v29, v34, v40
	v_cmp_lt_f32_e32 vcc_lo, 0, v8
	v_div_fixup_f32 v10, v28, v4, v8
	s_delay_alu instid0(VALU_DEP_3)
	v_div_fixup_f32 v8, v29, v6, v26
	s_wait_xcnt 0x0
	s_and_saveexec_b32 s3, vcc_lo
	s_cbranch_execnz .LBB6_68
; %bb.65:                               ;   in Loop: Header=BB6_64 Depth=1
	s_or_b32 exec_lo, exec_lo, s3
	s_and_saveexec_b32 s3, s2
	s_cbranch_execnz .LBB6_69
.LBB6_66:                               ;   in Loop: Header=BB6_64 Depth=1
	s_or_b32 exec_lo, exec_lo, s3
	s_and_saveexec_b32 s2, s1
	s_cbranch_execnz .LBB6_70
.LBB6_67:                               ;   in Loop: Header=BB6_64 Depth=1
	s_or_b32 exec_lo, exec_lo, s2
	s_and_saveexec_b32 s1, s0
	s_cbranch_execz .LBB6_63
	s_branch .LBB6_71
.LBB6_68:                               ;   in Loop: Header=BB6_64 Depth=1
	v_bfe_u32 v26, v10, 16, 1
	v_cmp_o_f32_e32 vcc_lo, v10, v10
	s_delay_alu instid0(VALU_DEP_2) | instskip(NEXT) | instid1(VALU_DEP_1)
	v_add3_u32 v26, v10, v26, 0x7fff
	v_lshrrev_b32_e32 v26, 16, v26
	s_delay_alu instid0(VALU_DEP_1)
	v_cndmask_b32_e32 v10, 0x7fc0, v26, vcc_lo
	global_store_b16 v[22:23], v10, off offset:-6
	s_wait_xcnt 0x0
	s_or_b32 exec_lo, exec_lo, s3
	s_and_saveexec_b32 s3, s2
	s_cbranch_execz .LBB6_66
.LBB6_69:                               ;   in Loop: Header=BB6_64 Depth=1
	v_bfe_u32 v10, v11, 16, 1
	v_cmp_o_f32_e32 vcc_lo, v11, v11
	s_delay_alu instid0(VALU_DEP_2) | instskip(NEXT) | instid1(VALU_DEP_1)
	v_add3_u32 v10, v11, v10, 0x7fff
	v_lshrrev_b32_e32 v10, 16, v10
	s_delay_alu instid0(VALU_DEP_1)
	v_cndmask_b32_e32 v10, 0x7fc0, v10, vcc_lo
	global_store_b16 v[22:23], v10, off offset:-4
	s_wait_xcnt 0x0
	s_or_b32 exec_lo, exec_lo, s3
	s_and_saveexec_b32 s2, s1
	s_cbranch_execz .LBB6_67
.LBB6_70:                               ;   in Loop: Header=BB6_64 Depth=1
	v_bfe_u32 v10, v8, 16, 1
	v_cmp_o_f32_e32 vcc_lo, v8, v8
	s_delay_alu instid0(VALU_DEP_2) | instskip(NEXT) | instid1(VALU_DEP_1)
	v_add3_u32 v10, v8, v10, 0x7fff
	v_lshrrev_b32_e32 v10, 16, v10
	s_delay_alu instid0(VALU_DEP_1)
	v_cndmask_b32_e32 v8, 0x7fc0, v10, vcc_lo
	global_store_b16 v[22:23], v8, off offset:-2
	s_wait_xcnt 0x0
	s_or_b32 exec_lo, exec_lo, s2
	s_and_saveexec_b32 s1, s0
	s_cbranch_execz .LBB6_63
.LBB6_71:                               ;   in Loop: Header=BB6_64 Depth=1
	v_bfe_u32 v8, v9, 16, 1
	v_cmp_o_f32_e32 vcc_lo, v9, v9
	s_delay_alu instid0(VALU_DEP_2) | instskip(NEXT) | instid1(VALU_DEP_1)
	v_add3_u32 v8, v9, v8, 0x7fff
	v_lshrrev_b32_e32 v8, 16, v8
	s_delay_alu instid0(VALU_DEP_1)
	v_cndmask_b32_e32 v8, 0x7fc0, v8, vcc_lo
	global_store_b16 v[22:23], v8, off
	s_branch .LBB6_63
.LBB6_72:
	s_or_b32 exec_lo, exec_lo, s11
	v_cmp_ne_u64_e32 vcc_lo, v[18:19], v[20:21]
	v_add_nc_u64_e32 v[0:1], v[0:1], v[20:21]
	s_or_not1_b32 s0, vcc_lo, exec_lo
.LBB6_73:
	s_or_b32 exec_lo, exec_lo, s10
	s_delay_alu instid0(SALU_CYCLE_1) | instskip(SKIP_1) | instid1(SALU_CYCLE_1)
	s_and_not1_b32 s1, s6, exec_lo
	s_and_b32 s0, s0, exec_lo
	s_or_b32 s6, s1, s0
.LBB6_74:
	s_or_b32 exec_lo, exec_lo, s7
	s_delay_alu instid0(SALU_CYCLE_1)
	s_and_b32 exec_lo, exec_lo, s6
	s_cbranch_execz .LBB6_79
; %bb.75:
	v_lshlrev_b64_e32 v[6:7], 1, v[0:1]
	v_lshlrev_b64_e32 v[8:9], 1, v[12:13]
	s_lshl_b64 s[0:1], s[28:29], 1
	s_mov_b32 s2, 0
	s_delay_alu instid0(VALU_DEP_2) | instskip(NEXT) | instid1(VALU_DEP_1)
	v_lshl_add_u64 v[6:7], v[16:17], 1, v[6:7]
	v_mad_nc_u64_u32 v[8:9], s28, v6, v[8:9]
	s_delay_alu instid0(VALU_DEP_1) | instskip(NEXT) | instid1(VALU_DEP_1)
	v_mad_u32 v5, s29, v6, v9
	v_mad_u32 v9, s28, v7, v5
	v_lshlrev_b64_e32 v[6:7], 1, v[14:15]
	s_delay_alu instid0(VALU_DEP_1) | instskip(NEXT) | instid1(VALU_DEP_1)
	v_sub_nc_u64_e32 v[6:7], v[8:9], v[6:7]
	v_add_nc_u64_e32 v[6:7], s[8:9], v[6:7]
	s_branch .LBB6_77
.LBB6_76:                               ;   in Loop: Header=BB6_77 Depth=1
	s_wait_xcnt 0x0
	s_or_b32 exec_lo, exec_lo, s3
	v_add_nc_u64_e32 v[0:1], 1, v[0:1]
	v_add_nc_u64_e32 v[6:7], s[0:1], v[6:7]
	s_delay_alu instid0(VALU_DEP_2) | instskip(SKIP_1) | instid1(SALU_CYCLE_1)
	v_cmp_ge_i64_e32 vcc_lo, v[0:1], v[2:3]
	s_or_b32 s2, vcc_lo, s2
	s_and_not1_b32 exec_lo, exec_lo, s2
	s_cbranch_execz .LBB6_79
.LBB6_77:                               ; =>This Inner Loop Header: Depth=1
	global_load_u16 v5, v[6:7], off
	s_mov_b32 s3, exec_lo
	s_wait_loadcnt 0x0
	v_lshlrev_b32_e32 v5, 16, v5
	s_wait_xcnt 0x0
	s_delay_alu instid0(VALU_DEP_1)
	v_cmpx_lt_f32_e32 0, v5
	s_cbranch_execz .LBB6_76
; %bb.78:                               ;   in Loop: Header=BB6_77 Depth=1
	v_div_scale_f32 v8, null, v4, v4, v5
	s_delay_alu instid0(VALU_DEP_1) | instskip(SKIP_1) | instid1(TRANS32_DEP_1)
	v_rcp_f32_e32 v9, v8
	v_nop
	v_fma_f32 v10, -v8, v9, 1.0
	s_delay_alu instid0(VALU_DEP_1) | instskip(SKIP_1) | instid1(VALU_DEP_1)
	v_fmac_f32_e32 v9, v10, v9
	v_div_scale_f32 v10, vcc_lo, v5, v4, v5
	v_mul_f32_e32 v11, v10, v9
	s_delay_alu instid0(VALU_DEP_1) | instskip(NEXT) | instid1(VALU_DEP_1)
	v_fma_f32 v12, -v8, v11, v10
	v_fmac_f32_e32 v11, v12, v9
	s_delay_alu instid0(VALU_DEP_1) | instskip(NEXT) | instid1(VALU_DEP_1)
	v_fma_f32 v8, -v8, v11, v10
	v_div_fmas_f32 v8, v8, v9, v11
	s_delay_alu instid0(VALU_DEP_1) | instskip(NEXT) | instid1(VALU_DEP_1)
	v_div_fixup_f32 v5, v8, v4, v5
	v_bfe_u32 v8, v5, 16, 1
	v_cmp_o_f32_e32 vcc_lo, v5, v5
	s_delay_alu instid0(VALU_DEP_2) | instskip(NEXT) | instid1(VALU_DEP_1)
	v_add3_u32 v8, v5, v8, 0x7fff
	v_lshrrev_b32_e32 v8, 16, v8
	s_delay_alu instid0(VALU_DEP_1)
	v_cndmask_b32_e32 v5, 0x7fc0, v8, vcc_lo
	global_store_b16 v[6:7], v5, off
	s_branch .LBB6_76
.LBB6_79:
	s_endpgm
	.section	.rodata,"a",@progbits
	.p2align	6, 0x0
	.amdhsa_kernel _ZN2at6native12_GLOBAL__N_130segment_reduce_backward_kernelIN3c108BFloat16ElEEvNS0_13ReductionTypeEPT_PKS6_S9_S9_PKT0_SC_llS6_lllllll
		.amdhsa_group_segment_fixed_size 0
		.amdhsa_private_segment_fixed_size 0
		.amdhsa_kernarg_size 392
		.amdhsa_user_sgpr_count 2
		.amdhsa_user_sgpr_dispatch_ptr 0
		.amdhsa_user_sgpr_queue_ptr 0
		.amdhsa_user_sgpr_kernarg_segment_ptr 1
		.amdhsa_user_sgpr_dispatch_id 0
		.amdhsa_user_sgpr_kernarg_preload_length 0
		.amdhsa_user_sgpr_kernarg_preload_offset 0
		.amdhsa_user_sgpr_private_segment_size 0
		.amdhsa_wavefront_size32 1
		.amdhsa_uses_dynamic_stack 0
		.amdhsa_enable_private_segment 0
		.amdhsa_system_sgpr_workgroup_id_x 1
		.amdhsa_system_sgpr_workgroup_id_y 0
		.amdhsa_system_sgpr_workgroup_id_z 0
		.amdhsa_system_sgpr_workgroup_info 0
		.amdhsa_system_vgpr_workitem_id 0
		.amdhsa_next_free_vgpr 46
		.amdhsa_next_free_sgpr 44
		.amdhsa_named_barrier_count 0
		.amdhsa_reserve_vcc 1
		.amdhsa_float_round_mode_32 0
		.amdhsa_float_round_mode_16_64 0
		.amdhsa_float_denorm_mode_32 3
		.amdhsa_float_denorm_mode_16_64 3
		.amdhsa_fp16_overflow 0
		.amdhsa_memory_ordered 1
		.amdhsa_forward_progress 1
		.amdhsa_inst_pref_size 43
		.amdhsa_round_robin_scheduling 0
		.amdhsa_exception_fp_ieee_invalid_op 0
		.amdhsa_exception_fp_denorm_src 0
		.amdhsa_exception_fp_ieee_div_zero 0
		.amdhsa_exception_fp_ieee_overflow 0
		.amdhsa_exception_fp_ieee_underflow 0
		.amdhsa_exception_fp_ieee_inexact 0
		.amdhsa_exception_int_div_zero 0
	.end_amdhsa_kernel
	.section	.text._ZN2at6native12_GLOBAL__N_130segment_reduce_backward_kernelIN3c108BFloat16ElEEvNS0_13ReductionTypeEPT_PKS6_S9_S9_PKT0_SC_llS6_lllllll,"axG",@progbits,_ZN2at6native12_GLOBAL__N_130segment_reduce_backward_kernelIN3c108BFloat16ElEEvNS0_13ReductionTypeEPT_PKS6_S9_S9_PKT0_SC_llS6_lllllll,comdat
.Lfunc_end6:
	.size	_ZN2at6native12_GLOBAL__N_130segment_reduce_backward_kernelIN3c108BFloat16ElEEvNS0_13ReductionTypeEPT_PKS6_S9_S9_PKT0_SC_llS6_lllllll, .Lfunc_end6-_ZN2at6native12_GLOBAL__N_130segment_reduce_backward_kernelIN3c108BFloat16ElEEvNS0_13ReductionTypeEPT_PKS6_S9_S9_PKT0_SC_llS6_lllllll
                                        ; -- End function
	.set _ZN2at6native12_GLOBAL__N_130segment_reduce_backward_kernelIN3c108BFloat16ElEEvNS0_13ReductionTypeEPT_PKS6_S9_S9_PKT0_SC_llS6_lllllll.num_vgpr, 46
	.set _ZN2at6native12_GLOBAL__N_130segment_reduce_backward_kernelIN3c108BFloat16ElEEvNS0_13ReductionTypeEPT_PKS6_S9_S9_PKT0_SC_llS6_lllllll.num_agpr, 0
	.set _ZN2at6native12_GLOBAL__N_130segment_reduce_backward_kernelIN3c108BFloat16ElEEvNS0_13ReductionTypeEPT_PKS6_S9_S9_PKT0_SC_llS6_lllllll.numbered_sgpr, 44
	.set _ZN2at6native12_GLOBAL__N_130segment_reduce_backward_kernelIN3c108BFloat16ElEEvNS0_13ReductionTypeEPT_PKS6_S9_S9_PKT0_SC_llS6_lllllll.num_named_barrier, 0
	.set _ZN2at6native12_GLOBAL__N_130segment_reduce_backward_kernelIN3c108BFloat16ElEEvNS0_13ReductionTypeEPT_PKS6_S9_S9_PKT0_SC_llS6_lllllll.private_seg_size, 0
	.set _ZN2at6native12_GLOBAL__N_130segment_reduce_backward_kernelIN3c108BFloat16ElEEvNS0_13ReductionTypeEPT_PKS6_S9_S9_PKT0_SC_llS6_lllllll.uses_vcc, 1
	.set _ZN2at6native12_GLOBAL__N_130segment_reduce_backward_kernelIN3c108BFloat16ElEEvNS0_13ReductionTypeEPT_PKS6_S9_S9_PKT0_SC_llS6_lllllll.uses_flat_scratch, 0
	.set _ZN2at6native12_GLOBAL__N_130segment_reduce_backward_kernelIN3c108BFloat16ElEEvNS0_13ReductionTypeEPT_PKS6_S9_S9_PKT0_SC_llS6_lllllll.has_dyn_sized_stack, 0
	.set _ZN2at6native12_GLOBAL__N_130segment_reduce_backward_kernelIN3c108BFloat16ElEEvNS0_13ReductionTypeEPT_PKS6_S9_S9_PKT0_SC_llS6_lllllll.has_recursion, 0
	.set _ZN2at6native12_GLOBAL__N_130segment_reduce_backward_kernelIN3c108BFloat16ElEEvNS0_13ReductionTypeEPT_PKS6_S9_S9_PKT0_SC_llS6_lllllll.has_indirect_call, 0
	.section	.AMDGPU.csdata,"",@progbits
; Kernel info:
; codeLenInByte = 5464
; TotalNumSgprs: 46
; NumVgprs: 46
; ScratchSize: 0
; MemoryBound: 0
; FloatMode: 240
; IeeeMode: 1
; LDSByteSize: 0 bytes/workgroup (compile time only)
; SGPRBlocks: 0
; VGPRBlocks: 2
; NumSGPRsForWavesPerEU: 46
; NumVGPRsForWavesPerEU: 46
; NamedBarCnt: 0
; Occupancy: 16
; WaveLimiterHint : 1
; COMPUTE_PGM_RSRC2:SCRATCH_EN: 0
; COMPUTE_PGM_RSRC2:USER_SGPR: 2
; COMPUTE_PGM_RSRC2:TRAP_HANDLER: 0
; COMPUTE_PGM_RSRC2:TGID_X_EN: 1
; COMPUTE_PGM_RSRC2:TGID_Y_EN: 0
; COMPUTE_PGM_RSRC2:TGID_Z_EN: 0
; COMPUTE_PGM_RSRC2:TIDIG_COMP_CNT: 0
	.section	.text._ZN2at6native12_GLOBAL__N_130segment_reduce_backward_kernelIN3c104HalfElEEvNS0_13ReductionTypeEPT_PKS6_S9_S9_PKT0_SC_llS6_lllllll,"axG",@progbits,_ZN2at6native12_GLOBAL__N_130segment_reduce_backward_kernelIN3c104HalfElEEvNS0_13ReductionTypeEPT_PKS6_S9_S9_PKT0_SC_llS6_lllllll,comdat
	.globl	_ZN2at6native12_GLOBAL__N_130segment_reduce_backward_kernelIN3c104HalfElEEvNS0_13ReductionTypeEPT_PKS6_S9_S9_PKT0_SC_llS6_lllllll ; -- Begin function _ZN2at6native12_GLOBAL__N_130segment_reduce_backward_kernelIN3c104HalfElEEvNS0_13ReductionTypeEPT_PKS6_S9_S9_PKT0_SC_llS6_lllllll
	.p2align	8
	.type	_ZN2at6native12_GLOBAL__N_130segment_reduce_backward_kernelIN3c104HalfElEEvNS0_13ReductionTypeEPT_PKS6_S9_S9_PKT0_SC_llS6_lllllll,@function
_ZN2at6native12_GLOBAL__N_130segment_reduce_backward_kernelIN3c104HalfElEEvNS0_13ReductionTypeEPT_PKS6_S9_S9_PKT0_SC_llS6_lllllll: ; @_ZN2at6native12_GLOBAL__N_130segment_reduce_backward_kernelIN3c104HalfElEEvNS0_13ReductionTypeEPT_PKS6_S9_S9_PKT0_SC_llS6_lllllll
; %bb.0:
	s_clause 0x2
	s_load_b32 s2, s[0:1], 0x94
	s_load_b512 s[4:19], s[0:1], 0x8
	s_load_b256 s[20:27], s[0:1], 0x50
	s_bfe_u32 s3, ttmp6, 0x4000c
	v_mov_b32_e32 v2, 0
	s_add_co_i32 s3, s3, 1
	s_and_b32 s28, ttmp6, 15
	s_mul_i32 s3, ttmp9, s3
	s_getreg_b32 s29, hwreg(HW_REG_IB_STS2, 6, 4)
	v_mov_b32_e32 v1, v2
	s_add_co_i32 s28, s28, s3
	s_wait_kmcnt 0x0
	s_and_b32 s2, s2, 0xffff
	s_cmp_eq_u32 s29, 0
	s_cselect_b32 s3, ttmp9, s28
	s_delay_alu instid0(SALU_CYCLE_1) | instskip(SKIP_1) | instid1(SALU_CYCLE_1)
	v_mad_nc_u64_u32 v[4:5], s2, s3, v[0:1]
	s_mul_u64 s[2:3], s[20:21], s[16:17]
	s_mul_u64 s[2:3], s[2:3], s[22:23]
	s_delay_alu instid0(VALU_DEP_1) | instid1(SALU_CYCLE_1)
	v_cmp_gt_i64_e32 vcc_lo, s[2:3], v[4:5]
	s_and_saveexec_b32 s2, vcc_lo
	s_cbranch_execz .LBB7_79
; %bb.1:
	v_or_b32_e32 v3, s23, v5
                                        ; implicit-def: $vgpr6_vgpr7
	s_mov_b32 s2, exec_lo
	s_delay_alu instid0(VALU_DEP_1)
	v_cmpx_ne_u64_e32 0, v[2:3]
	s_xor_b32 s3, exec_lo, s2
	s_cbranch_execz .LBB7_3
; %bb.2:
	s_ashr_i32 s20, s23, 31
	s_mov_b32 s39, 0
	s_mov_b32 s21, s20
	v_dual_mov_b32 v7, 0 :: v_dual_ashrrev_i32 v0, 31, v5
	s_add_nc_u64 s[28:29], s[22:23], s[20:21]
	s_delay_alu instid0(SALU_CYCLE_1) | instskip(NEXT) | instid1(VALU_DEP_1)
	s_xor_b64 s[28:29], s[28:29], s[20:21]
	v_mov_b32_e32 v1, v0
	s_cvt_f32_u32 s2, s28
	s_cvt_f32_u32 s21, s29
	s_sub_nc_u64 s[34:35], 0, s[28:29]
	v_dual_mov_b32 v9, v7 :: v_dual_mov_b32 v15, v7
	s_delay_alu instid0(SALU_CYCLE_1) | instskip(SKIP_1) | instid1(SALU_CYCLE_2)
	s_fmamk_f32 s2, s21, 0x4f800000, s2
	v_add_nc_u64_e32 v[2:3], v[4:5], v[0:1]
	v_s_rcp_f32 s2, s2
	s_delay_alu instid0(VALU_DEP_1) | instskip(NEXT) | instid1(VALU_DEP_2)
	v_xor_b32_e32 v6, v2, v0
	v_xor_b32_e32 v8, v3, v0
	;; [unrolled: 1-line block ×3, first 2 shown]
	s_delay_alu instid0(TRANS32_DEP_1) | instskip(NEXT) | instid1(SALU_CYCLE_3)
	s_mul_f32 s2, s2, 0x5f7ffffc
	s_mul_f32 s21, s2, 0x2f800000
	s_delay_alu instid0(SALU_CYCLE_3) | instskip(NEXT) | instid1(SALU_CYCLE_3)
	s_trunc_f32 s21, s21
	s_fmamk_f32 s2, s21, 0xcf800000, s2
	s_cvt_u32_f32 s31, s21
	s_delay_alu instid0(SALU_CYCLE_2) | instskip(NEXT) | instid1(SALU_CYCLE_3)
	s_cvt_u32_f32 s30, s2
	s_mul_u64 s[36:37], s[34:35], s[30:31]
	s_delay_alu instid0(SALU_CYCLE_1)
	s_mul_hi_u32 s41, s30, s37
	s_mul_i32 s40, s30, s37
	s_mul_hi_u32 s38, s30, s36
	s_mul_i32 s21, s31, s36
	s_add_nc_u64 s[40:41], s[38:39], s[40:41]
	s_mul_hi_u32 s2, s31, s36
	s_mul_hi_u32 s33, s31, s37
	s_add_co_u32 s21, s40, s21
	s_add_co_ci_u32 s38, s41, s2
	s_mul_i32 s36, s31, s37
	s_add_co_ci_u32 s37, s33, 0
	s_delay_alu instid0(SALU_CYCLE_1) | instskip(NEXT) | instid1(SALU_CYCLE_1)
	s_add_nc_u64 s[36:37], s[38:39], s[36:37]
	s_add_co_u32 s30, s30, s36
	s_cselect_b32 s2, -1, 0
	s_delay_alu instid0(SALU_CYCLE_1) | instskip(SKIP_1) | instid1(SALU_CYCLE_1)
	s_cmp_lg_u32 s2, 0
	s_add_co_ci_u32 s31, s31, s37
	s_mul_u64 s[34:35], s[34:35], s[30:31]
	s_delay_alu instid0(SALU_CYCLE_1)
	s_mul_hi_u32 s37, s30, s35
	s_mul_i32 s36, s30, s35
	s_mul_hi_u32 s38, s30, s34
	s_mul_i32 s21, s31, s34
	s_add_nc_u64 s[36:37], s[38:39], s[36:37]
	s_mul_hi_u32 s2, s31, s34
	s_mul_hi_u32 s33, s31, s35
	s_add_co_u32 s21, s36, s21
	s_add_co_ci_u32 s38, s37, s2
	s_mul_i32 s34, s31, s35
	s_add_co_ci_u32 s35, s33, 0
	s_delay_alu instid0(SALU_CYCLE_1) | instskip(NEXT) | instid1(SALU_CYCLE_1)
	s_add_nc_u64 s[34:35], s[38:39], s[34:35]
	s_add_co_u32 s2, s30, s34
	s_cselect_b32 s21, -1, 0
	v_mul_hi_u32 v14, v6, s2
	s_cmp_lg_u32 s21, 0
	s_add_co_ci_u32 s38, s31, s35
	s_mov_b64 s[30:31], 0xffffffff
	v_mul_u64_e32 v[10:11], s[38:39], v[6:7]
	s_and_b64 s[30:31], s[2:3], s[30:31]
	v_mul_u64_e32 v[12:13], s[38:39], v[8:9]
	v_mul_u64_e32 v[2:3], s[30:31], v[8:9]
	s_delay_alu instid0(VALU_DEP_3) | instskip(NEXT) | instid1(VALU_DEP_1)
	v_add_nc_u64_e32 v[10:11], v[14:15], v[10:11]
	v_add_co_u32 v1, vcc_lo, v10, v2
	s_delay_alu instid0(VALU_DEP_2) | instskip(SKIP_1) | instid1(VALU_DEP_1)
	v_add_co_ci_u32_e32 v14, vcc_lo, v11, v3, vcc_lo
	v_add_co_ci_u32_e32 v13, vcc_lo, 0, v13, vcc_lo
	v_add_nc_u64_e32 v[2:3], v[14:15], v[12:13]
	s_delay_alu instid0(VALU_DEP_1) | instskip(NEXT) | instid1(VALU_DEP_1)
	v_mul_u64_e32 v[10:11], s[28:29], v[2:3]
	v_sub_nc_u32_e32 v1, v8, v11
	s_delay_alu instid0(VALU_DEP_2) | instskip(NEXT) | instid1(VALU_DEP_1)
	v_sub_co_u32 v6, vcc_lo, v6, v10
	v_sub_co_ci_u32_e64 v10, null, v8, v11, vcc_lo
	s_delay_alu instid0(VALU_DEP_3) | instskip(NEXT) | instid1(VALU_DEP_3)
	v_subrev_co_ci_u32_e64 v1, null, s29, v1, vcc_lo
	v_sub_co_u32 v7, s2, v6, s28
	s_delay_alu instid0(VALU_DEP_1) | instskip(NEXT) | instid1(VALU_DEP_2)
	v_subrev_co_ci_u32_e64 v1, null, 0, v1, s2
	v_cmp_le_u32_e32 vcc_lo, s28, v7
	v_cndmask_b32_e64 v7, 0, -1, vcc_lo
	s_delay_alu instid0(VALU_DEP_3)
	v_cmp_le_u32_e32 vcc_lo, s29, v1
	v_cndmask_b32_e64 v8, 0, -1, vcc_lo
	v_cmp_le_u32_e32 vcc_lo, s28, v6
	v_cndmask_b32_e64 v11, 0, -1, vcc_lo
	;; [unrolled: 2-line block ×3, first 2 shown]
	v_cmp_eq_u32_e32 vcc_lo, s29, v1
	v_cndmask_b32_e32 v1, v8, v7, vcc_lo
	v_cmp_eq_u32_e32 vcc_lo, s29, v10
	v_add_nc_u64_e32 v[6:7], 2, v[2:3]
	v_add_nc_u64_e32 v[8:9], 1, v[2:3]
	v_cndmask_b32_e32 v10, v12, v11, vcc_lo
	v_cmp_ne_u32_e32 vcc_lo, 0, v1
	s_delay_alu instid0(VALU_DEP_2) | instskip(NEXT) | instid1(VALU_DEP_4)
	v_cmp_ne_u32_e64 s2, 0, v10
	v_dual_cndmask_b32 v6, v8, v6 :: v_dual_cndmask_b32 v1, v9, v7
	s_delay_alu instid0(VALU_DEP_1) | instskip(NEXT) | instid1(VALU_DEP_1)
	v_dual_cndmask_b32 v2, v2, v6, s2 :: v_dual_cndmask_b32 v3, v3, v1, s2
	v_dual_mov_b32 v1, v0 :: v_dual_bitop2_b32 v2, v2, v0 bitop3:0x14
	s_delay_alu instid0(VALU_DEP_2) | instskip(NEXT) | instid1(VALU_DEP_1)
	v_xor_b32_e32 v3, v3, v0
	v_sub_nc_u64_e32 v[6:7], v[2:3], v[0:1]
.LBB7_3:
	s_and_not1_saveexec_b32 s2, s3
	s_cbranch_execz .LBB7_5
; %bb.4:
	v_cvt_f32_u32_e32 v0, s22
	s_sub_co_i32 s3, 0, s22
	v_mov_b32_e32 v7, 0
	s_delay_alu instid0(VALU_DEP_2) | instskip(SKIP_1) | instid1(TRANS32_DEP_1)
	v_rcp_iflag_f32_e32 v0, v0
	v_nop
	v_mul_f32_e32 v0, 0x4f7ffffe, v0
	s_delay_alu instid0(VALU_DEP_1) | instskip(NEXT) | instid1(VALU_DEP_1)
	v_cvt_u32_f32_e32 v0, v0
	v_mul_lo_u32 v1, s3, v0
	s_delay_alu instid0(VALU_DEP_1) | instskip(NEXT) | instid1(VALU_DEP_1)
	v_mul_hi_u32 v1, v0, v1
	v_add_nc_u32_e32 v0, v0, v1
	s_delay_alu instid0(VALU_DEP_1) | instskip(NEXT) | instid1(VALU_DEP_1)
	v_mul_hi_u32 v0, v4, v0
	v_mul_lo_u32 v1, v0, s22
	s_delay_alu instid0(VALU_DEP_1) | instskip(NEXT) | instid1(VALU_DEP_1)
	v_dual_add_nc_u32 v2, 1, v0 :: v_dual_sub_nc_u32 v1, v4, v1
	v_subrev_nc_u32_e32 v3, s22, v1
	v_cmp_le_u32_e32 vcc_lo, s22, v1
	s_delay_alu instid0(VALU_DEP_2) | instskip(NEXT) | instid1(VALU_DEP_1)
	v_dual_cndmask_b32 v1, v1, v3 :: v_dual_cndmask_b32 v0, v0, v2
	v_cmp_le_u32_e32 vcc_lo, s22, v1
	s_delay_alu instid0(VALU_DEP_2) | instskip(NEXT) | instid1(VALU_DEP_1)
	v_add_nc_u32_e32 v2, 1, v0
	v_cndmask_b32_e32 v6, v0, v2, vcc_lo
.LBB7_5:
	s_or_b32 exec_lo, exec_lo, s2
	s_delay_alu instid0(VALU_DEP_1) | instskip(SKIP_1) | instid1(VALU_DEP_1)
	v_dual_mov_b32 v0, 0 :: v_dual_bitop2_b32 v1, s17, v7 bitop3:0x54
                                        ; implicit-def: $vgpr8_vgpr9
	s_mov_b32 s2, exec_lo
	v_cmpx_ne_u64_e32 0, v[0:1]
	s_xor_b32 s3, exec_lo, s2
	s_cbranch_execz .LBB7_7
; %bb.6:
	s_ashr_i32 s20, s17, 31
	s_mov_b32 s39, 0
	s_mov_b32 s21, s20
	v_dual_mov_b32 v11, v0 :: v_dual_ashrrev_i32 v2, 31, v7
	s_add_nc_u64 s[28:29], s[16:17], s[20:21]
	v_dual_mov_b32 v19, v0 :: v_dual_mov_b32 v1, v0
	s_xor_b64 s[28:29], s[28:29], s[20:21]
	s_delay_alu instid0(VALU_DEP_2) | instskip(SKIP_3) | instid1(VALU_DEP_1)
	v_mov_b32_e32 v3, v2
	s_cvt_f32_u32 s2, s28
	s_cvt_f32_u32 s21, s29
	s_sub_nc_u64 s[34:35], 0, s[28:29]
	v_add_nc_u64_e32 v[8:9], v[6:7], v[2:3]
	s_delay_alu instid0(SALU_CYCLE_1) | instskip(SKIP_1) | instid1(SALU_CYCLE_2)
	s_fmamk_f32 s2, s21, 0x4f800000, s2
	v_mov_b32_e32 v13, v0
	v_s_rcp_f32 s2, s2
	s_delay_alu instid0(VALU_DEP_2) | instskip(NEXT) | instid1(VALU_DEP_3)
	v_xor_b32_e32 v10, v8, v2
	v_xor_b32_e32 v12, v9, v2
	;; [unrolled: 1-line block ×3, first 2 shown]
	s_delay_alu instid0(TRANS32_DEP_1) | instskip(NEXT) | instid1(SALU_CYCLE_3)
	s_mul_f32 s2, s2, 0x5f7ffffc
	s_mul_f32 s21, s2, 0x2f800000
	s_delay_alu instid0(SALU_CYCLE_3) | instskip(NEXT) | instid1(SALU_CYCLE_3)
	s_trunc_f32 s21, s21
	s_fmamk_f32 s2, s21, 0xcf800000, s2
	s_cvt_u32_f32 s31, s21
	s_delay_alu instid0(SALU_CYCLE_2) | instskip(NEXT) | instid1(SALU_CYCLE_3)
	s_cvt_u32_f32 s30, s2
	s_mul_u64 s[36:37], s[34:35], s[30:31]
	s_delay_alu instid0(SALU_CYCLE_1)
	s_mul_hi_u32 s41, s30, s37
	s_mul_i32 s40, s30, s37
	s_mul_hi_u32 s38, s30, s36
	s_mul_i32 s21, s31, s36
	s_add_nc_u64 s[40:41], s[38:39], s[40:41]
	s_mul_hi_u32 s2, s31, s36
	s_mul_hi_u32 s33, s31, s37
	s_add_co_u32 s21, s40, s21
	s_add_co_ci_u32 s38, s41, s2
	s_mul_i32 s36, s31, s37
	s_add_co_ci_u32 s37, s33, 0
	s_delay_alu instid0(SALU_CYCLE_1) | instskip(NEXT) | instid1(SALU_CYCLE_1)
	s_add_nc_u64 s[36:37], s[38:39], s[36:37]
	s_add_co_u32 s30, s30, s36
	s_cselect_b32 s2, -1, 0
	s_delay_alu instid0(SALU_CYCLE_1) | instskip(SKIP_1) | instid1(SALU_CYCLE_1)
	s_cmp_lg_u32 s2, 0
	s_add_co_ci_u32 s31, s31, s37
	s_mul_u64 s[34:35], s[34:35], s[30:31]
	s_delay_alu instid0(SALU_CYCLE_1)
	s_mul_hi_u32 s37, s30, s35
	s_mul_i32 s36, s30, s35
	s_mul_hi_u32 s38, s30, s34
	s_mul_i32 s21, s31, s34
	s_add_nc_u64 s[36:37], s[38:39], s[36:37]
	s_mul_hi_u32 s2, s31, s34
	s_mul_hi_u32 s33, s31, s35
	s_add_co_u32 s21, s36, s21
	s_add_co_ci_u32 s38, s37, s2
	s_mul_i32 s34, s31, s35
	s_add_co_ci_u32 s35, s33, 0
	s_delay_alu instid0(SALU_CYCLE_1) | instskip(NEXT) | instid1(SALU_CYCLE_1)
	s_add_nc_u64 s[34:35], s[38:39], s[34:35]
	s_add_co_u32 s2, s30, s34
	s_cselect_b32 s21, -1, 0
	v_mul_hi_u32 v18, v10, s2
	s_cmp_lg_u32 s21, 0
	s_add_co_ci_u32 s38, s31, s35
	s_mov_b64 s[30:31], 0xffffffff
	v_mul_u64_e32 v[14:15], s[38:39], v[10:11]
	s_and_b64 s[30:31], s[2:3], s[30:31]
	v_mul_u64_e32 v[16:17], s[38:39], v[12:13]
	v_mul_u64_e32 v[8:9], s[30:31], v[12:13]
	s_delay_alu instid0(VALU_DEP_3) | instskip(NEXT) | instid1(VALU_DEP_1)
	v_add_nc_u64_e32 v[14:15], v[18:19], v[14:15]
	v_add_co_u32 v0, vcc_lo, v14, v8
	s_delay_alu instid0(VALU_DEP_2) | instskip(SKIP_1) | instid1(VALU_DEP_1)
	v_add_co_ci_u32_e32 v0, vcc_lo, v15, v9, vcc_lo
	v_add_co_ci_u32_e32 v17, vcc_lo, 0, v17, vcc_lo
	v_add_nc_u64_e32 v[0:1], v[0:1], v[16:17]
	s_delay_alu instid0(VALU_DEP_1) | instskip(NEXT) | instid1(VALU_DEP_1)
	v_mul_u64_e32 v[8:9], s[28:29], v[0:1]
	v_sub_nc_u32_e32 v3, v12, v9
	s_delay_alu instid0(VALU_DEP_2) | instskip(NEXT) | instid1(VALU_DEP_1)
	v_sub_co_u32 v8, vcc_lo, v10, v8
	v_sub_co_ci_u32_e64 v12, null, v12, v9, vcc_lo
	s_delay_alu instid0(VALU_DEP_3) | instskip(NEXT) | instid1(VALU_DEP_3)
	v_subrev_co_ci_u32_e64 v3, null, s29, v3, vcc_lo
	v_sub_co_u32 v10, s2, v8, s28
	s_delay_alu instid0(VALU_DEP_1) | instskip(NEXT) | instid1(VALU_DEP_2)
	v_subrev_co_ci_u32_e64 v3, null, 0, v3, s2
	v_cmp_le_u32_e32 vcc_lo, s28, v10
	v_cndmask_b32_e64 v9, 0, -1, vcc_lo
	s_delay_alu instid0(VALU_DEP_3)
	v_cmp_le_u32_e32 vcc_lo, s29, v3
	v_cndmask_b32_e64 v10, 0, -1, vcc_lo
	v_cmp_le_u32_e32 vcc_lo, s28, v8
	v_cndmask_b32_e64 v13, 0, -1, vcc_lo
	;; [unrolled: 2-line block ×3, first 2 shown]
	v_cmp_eq_u32_e32 vcc_lo, s29, v3
	v_cndmask_b32_e32 v3, v10, v9, vcc_lo
	v_cmp_eq_u32_e32 vcc_lo, s29, v12
	v_add_nc_u64_e32 v[8:9], 2, v[0:1]
	v_add_nc_u64_e32 v[10:11], 1, v[0:1]
	v_cndmask_b32_e32 v12, v14, v13, vcc_lo
	v_cmp_ne_u32_e32 vcc_lo, 0, v3
	s_delay_alu instid0(VALU_DEP_2) | instskip(NEXT) | instid1(VALU_DEP_4)
	v_cmp_ne_u32_e64 s2, 0, v12
	v_dual_cndmask_b32 v8, v10, v8 :: v_dual_cndmask_b32 v3, v11, v9
	s_delay_alu instid0(VALU_DEP_1) | instskip(NEXT) | instid1(VALU_DEP_1)
	v_dual_cndmask_b32 v0, v0, v8, s2 :: v_dual_cndmask_b32 v1, v1, v3, s2
	v_dual_mov_b32 v3, v2 :: v_dual_bitop2_b32 v0, v0, v2 bitop3:0x14
	s_delay_alu instid0(VALU_DEP_2) | instskip(NEXT) | instid1(VALU_DEP_1)
	v_xor_b32_e32 v1, v1, v2
	v_sub_nc_u64_e32 v[8:9], v[0:1], v[2:3]
.LBB7_7:
	s_and_not1_saveexec_b32 s2, s3
	s_cbranch_execz .LBB7_9
; %bb.8:
	v_cvt_f32_u32_e32 v0, s16
	s_sub_co_i32 s3, 0, s16
	v_mov_b32_e32 v9, 0
	s_delay_alu instid0(VALU_DEP_2) | instskip(SKIP_1) | instid1(TRANS32_DEP_1)
	v_rcp_iflag_f32_e32 v0, v0
	v_nop
	v_mul_f32_e32 v0, 0x4f7ffffe, v0
	s_delay_alu instid0(VALU_DEP_1) | instskip(NEXT) | instid1(VALU_DEP_1)
	v_cvt_u32_f32_e32 v0, v0
	v_mul_lo_u32 v1, s3, v0
	s_delay_alu instid0(VALU_DEP_1) | instskip(NEXT) | instid1(VALU_DEP_1)
	v_mul_hi_u32 v1, v0, v1
	v_add_nc_u32_e32 v0, v0, v1
	s_delay_alu instid0(VALU_DEP_1) | instskip(NEXT) | instid1(VALU_DEP_1)
	v_mul_hi_u32 v0, v6, v0
	v_mul_lo_u32 v1, v0, s16
	s_delay_alu instid0(VALU_DEP_1) | instskip(NEXT) | instid1(VALU_DEP_1)
	v_dual_add_nc_u32 v2, 1, v0 :: v_dual_sub_nc_u32 v1, v6, v1
	v_subrev_nc_u32_e32 v3, s16, v1
	v_cmp_le_u32_e32 vcc_lo, s16, v1
	s_delay_alu instid0(VALU_DEP_2) | instskip(NEXT) | instid1(VALU_DEP_1)
	v_dual_cndmask_b32 v1, v1, v3 :: v_dual_cndmask_b32 v0, v0, v2
	v_cmp_le_u32_e32 vcc_lo, s16, v1
	s_delay_alu instid0(VALU_DEP_2) | instskip(NEXT) | instid1(VALU_DEP_1)
	v_add_nc_u32_e32 v2, 1, v0
	v_cndmask_b32_e32 v8, v0, v2, vcc_lo
.LBB7_9:
	s_or_b32 exec_lo, exec_lo, s2
	s_delay_alu instid0(VALU_DEP_1) | instskip(NEXT) | instid1(VALU_DEP_1)
	v_mul_u64_e32 v[0:1], s[16:17], v[8:9]
	v_mul_u64_e32 v[2:3], s[18:19], v[0:1]
	v_sub_nc_u64_e32 v[10:11], v[6:7], v[0:1]
	s_delay_alu instid0(VALU_DEP_2) | instskip(NEXT) | instid1(VALU_DEP_1)
	v_lshl_add_u64 v[0:1], v[2:3], 3, s[12:13]
	v_lshl_add_u64 v[0:1], v[10:11], 3, v[0:1]
	global_load_b64 v[14:15], v[0:1], off
	s_wait_loadcnt 0x0
	v_cmp_ne_u64_e32 vcc_lo, 0, v[14:15]
	s_and_b32 exec_lo, exec_lo, vcc_lo
	s_cbranch_execz .LBB7_79
; %bb.10:
	s_load_b256 s[36:43], s[0:1], 0x70
	s_add_nc_u64 s[2:3], s[16:17], 1
	v_mul_u64_e32 v[6:7], s[22:23], v[6:7]
	s_wait_kmcnt 0x0
	s_mul_u64 s[2:3], s[40:41], s[2:3]
	v_mad_nc_u64_u32 v[16:17], v8, s38, v[10:11]
	v_mul_u64_e32 v[0:1], s[2:3], v[8:9]
	s_delay_alu instid0(VALU_DEP_2) | instskip(NEXT) | instid1(VALU_DEP_1)
	v_mad_u32 v12, v9, s38, v17
	v_mad_u32 v17, v8, s39, v12
	s_delay_alu instid0(VALU_DEP_3) | instskip(SKIP_1) | instid1(VALU_DEP_1)
	v_lshl_add_u64 v[0:1], v[0:1], 3, s[14:15]
	s_load_b32 s14, s[0:1], 0x0
	v_lshl_add_u64 v[0:1], v[10:11], 3, v[0:1]
	v_sub_nc_u64_e32 v[10:11], v[4:5], v[6:7]
	global_load_b128 v[0:3], v[0:1], off
	v_mad_nc_u64_u32 v[12:13], v16, s36, v[10:11]
	s_wait_kmcnt 0x0
	s_and_b32 s2, s14, -3
	s_delay_alu instid0(SALU_CYCLE_1) | instskip(NEXT) | instid1(VALU_DEP_1)
	s_cmp_lg_u32 s2, 0
	v_mad_u32 v13, v17, s36, v13
	s_delay_alu instid0(VALU_DEP_1)
	v_mad_u32 v13, v16, s37, v13
	s_cbranch_scc0 .LBB7_25
; %bb.11:
	s_cmp_lt_i32 s14, 3
	s_mov_b32 s2, -1
	s_cbranch_scc1 .LBB7_39
; %bb.12:
	s_cmp_lt_i32 s14, 4
	s_cbranch_scc1 .LBB7_28
; %bb.13:
	s_cmp_eq_u32 s14, 4
	s_cbranch_scc0 .LBB7_27
; %bb.14:
	s_mov_b32 s15, exec_lo
	s_wait_loadcnt 0x0
	v_cmpx_gt_i64_e64 v[2:3], v[0:1]
	s_cbranch_execz .LBB7_26
; %bb.15:
	v_lshlrev_b64_e32 v[18:19], 1, v[12:13]
	v_mul_u64_e32 v[20:21], s[26:27], v[8:9]
	v_lshlrev_b64_e32 v[22:23], 1, v[4:5]
	s_load_b32 s16, s[0:1], 0x48
	s_wait_xcnt 0x0
	s_lshl_b64 s[0:1], s[24:25], 1
	s_mov_b64 s[2:3], 0
	s_mov_b32 s17, 0
	v_add_nc_u64_e32 v[16:17], s[6:7], v[18:19]
	v_add_nc_u64_e32 v[18:19], s[8:9], v[18:19]
	global_load_u16 v26, v[16:17], off
	global_load_u16 v27, v[18:19], off
	s_wait_xcnt 0x0
	v_lshlrev_b64_e32 v[18:19], 1, v[0:1]
	s_delay_alu instid0(VALU_DEP_1) | instskip(SKIP_1) | instid1(VALU_DEP_2)
	v_lshl_add_u64 v[24:25], v[20:21], 1, v[18:19]
	v_mad_nc_u64_u32 v[18:19], v20, s24, v[10:11]
	v_mad_nc_u64_u32 v[22:23], s24, v24, v[22:23]
	s_delay_alu instid0(VALU_DEP_2) | instskip(NEXT) | instid1(VALU_DEP_2)
	v_mad_u32 v19, v21, s24, v19
	v_mad_u32 v23, s25, v24, v23
	s_delay_alu instid0(VALU_DEP_2) | instskip(NEXT) | instid1(VALU_DEP_2)
	v_mad_u32 v19, v20, s25, v19
	v_mad_u32 v23, s24, v25, v23
	v_lshlrev_b64_e32 v[24:25], 1, v[6:7]
	s_delay_alu instid0(VALU_DEP_1) | instskip(NEXT) | instid1(VALU_DEP_1)
	v_sub_nc_u64_e32 v[22:23], v[22:23], v[24:25]
	v_add_nc_u64_e32 v[20:21], s[10:11], v[22:23]
	v_mov_b64_e32 v[22:23], v[0:1]
	s_wait_loadcnt 0x0
	v_mul_f16_e32 v30, v26, v27
	s_delay_alu instid0(VALU_DEP_1)
	v_cvt_f32_f16_e32 v31, v30
	s_branch .LBB7_18
.LBB7_16:                               ;   in Loop: Header=BB7_18 Depth=1
	s_or_b32 exec_lo, exec_lo, s19
	global_load_u16 v26, v[16:17], off
	s_wait_loadcnt 0x0
	v_mul_f16_e32 v26, v26, v32
.LBB7_17:                               ;   in Loop: Header=BB7_18 Depth=1
	s_wait_xcnt 0x0
	s_or_b32 exec_lo, exec_lo, s18
	v_add_nc_u64_e32 v[22:23], 1, v[22:23]
	v_lshl_add_u64 v[24:25], v[24:25], 1, s[4:5]
	s_add_nc_u64 s[2:3], s[2:3], 1
	global_store_b16 v[24:25], v26, off
	v_cmp_ge_i64_e32 vcc_lo, v[22:23], v[2:3]
	s_or_b32 s17, vcc_lo, s17
	s_wait_xcnt 0x0
	s_and_not1_b32 exec_lo, exec_lo, s17
	s_cbranch_execz .LBB7_26
.LBB7_18:                               ; =>This Loop Header: Depth=1
                                        ;     Child Loop BB7_23 Depth 2
	s_delay_alu instid0(VALU_DEP_3) | instskip(SKIP_1) | instid1(VALU_DEP_1)
	v_mad_nc_u64_u32 v[24:25], v22, s24, v[18:19]
	s_mov_b32 s12, exec_lo
	v_mad_u32 v25, v23, s24, v25
	s_delay_alu instid0(VALU_DEP_1) | instskip(NEXT) | instid1(VALU_DEP_1)
	v_mad_u32 v25, v22, s25, v25
	v_lshl_add_u64 v[26:27], v[24:25], 1, s[10:11]
	global_load_u16 v27, v[26:27], off
                                        ; implicit-def: $vgpr26
	s_wait_loadcnt 0x0
	s_wait_xcnt 0x0
	v_cmpx_lg_f16_e32 0, v27
	s_xor_b32 s12, exec_lo, s12
	s_cbranch_execz .LBB7_20
; %bb.19:                               ;   in Loop: Header=BB7_18 Depth=1
	v_cvt_f32_f16_e32 v26, v27
	s_delay_alu instid0(VALU_DEP_1) | instskip(SKIP_1) | instid1(TRANS32_DEP_1)
	v_rcp_f32_e32 v26, v26
	v_nop
	v_mul_f32_e32 v28, v31, v26
	s_delay_alu instid0(VALU_DEP_1) | instskip(NEXT) | instid1(VALU_DEP_1)
	v_fma_mix_f32 v29, -v27, v28, v30 op_sel_hi:[1,0,1]
	v_fmac_f32_e32 v28, v29, v26
	s_delay_alu instid0(VALU_DEP_1) | instskip(NEXT) | instid1(VALU_DEP_1)
	v_fma_mix_f32 v29, -v27, v28, v30 op_sel_hi:[1,0,1]
	v_mul_f32_e32 v26, v29, v26
	s_delay_alu instid0(VALU_DEP_1) | instskip(NEXT) | instid1(VALU_DEP_1)
	v_and_b32_e32 v26, 0xff800000, v26
	v_add_f32_e32 v26, v26, v28
	s_delay_alu instid0(VALU_DEP_1) | instskip(NEXT) | instid1(VALU_DEP_1)
	v_cvt_f16_f32_e32 v26, v26
	v_div_fixup_f16 v26, v26, v27, v30
.LBB7_20:                               ;   in Loop: Header=BB7_18 Depth=1
	s_and_not1_saveexec_b32 s18, s12
	s_cbranch_execz .LBB7_17
; %bb.21:                               ;   in Loop: Header=BB7_18 Depth=1
	v_mov_b64_e32 v[26:27], v[20:21]
	v_mov_b64_e32 v[28:29], v[0:1]
	s_wait_kmcnt 0x0
	v_mov_b32_e32 v32, s16
	s_mov_b32 s19, 0
	s_mov_b64 s[12:13], s[2:3]
	s_branch .LBB7_23
.LBB7_22:                               ;   in Loop: Header=BB7_23 Depth=2
	v_add_nc_u64_e32 v[28:29], 1, v[28:29]
	s_wait_xcnt 0x0
	v_add_nc_u64_e32 v[26:27], s[0:1], v[26:27]
	s_add_nc_u64 s[12:13], s[12:13], -1
	s_delay_alu instid0(VALU_DEP_2) | instskip(SKIP_1) | instid1(SALU_CYCLE_1)
	v_cmp_ge_i64_e32 vcc_lo, v[28:29], v[2:3]
	s_or_b32 s19, vcc_lo, s19
	s_and_not1_b32 exec_lo, exec_lo, s19
	s_cbranch_execz .LBB7_16
.LBB7_23:                               ;   Parent Loop BB7_18 Depth=1
                                        ; =>  This Inner Loop Header: Depth=2
	s_cmp_eq_u64 s[12:13], 0
	s_cbranch_scc1 .LBB7_22
; %bb.24:                               ;   in Loop: Header=BB7_23 Depth=2
	global_load_u16 v33, v[26:27], off
	s_wait_loadcnt 0x0
	v_mul_f16_e32 v32, v33, v32
	s_branch .LBB7_22
.LBB7_25:
	s_cbranch_execnz .LBB7_51
	s_branch .LBB7_79
.LBB7_26:
	s_or_b32 exec_lo, exec_lo, s15
.LBB7_27:
	s_mov_b32 s2, 0
.LBB7_28:
	s_delay_alu instid0(SALU_CYCLE_1)
	s_and_not1_b32 vcc_lo, exec_lo, s2
	s_cbranch_vccnz .LBB7_38
; %bb.29:
	s_mov_b32 s2, exec_lo
	s_wait_loadcnt 0x0
	v_cmpx_gt_i64_e64 v[2:3], v[0:1]
	s_cbranch_execz .LBB7_37
; %bb.30:
	v_lshl_add_u64 v[16:17], v[12:13], 1, s[6:7]
	v_sub_nc_u64_e32 v[20:21], v[2:3], v[0:1]
	v_mov_b64_e32 v[18:19], v[0:1]
	s_cmp_eq_u64 s[24:25], 1
	s_mov_b32 s1, -1
	global_load_u16 v28, v[16:17], off
	s_wait_xcnt 0x0
	v_mul_u64_e32 v[16:17], s[26:27], v[8:9]
	s_cselect_b32 s0, -1, 0
	v_cmp_lt_u64_e32 vcc_lo, 3, v[20:21]
	s_and_b32 s3, vcc_lo, s0
	s_delay_alu instid0(SALU_CYCLE_1)
	s_and_saveexec_b32 s0, s3
	s_cbranch_execz .LBB7_34
; %bb.31:
	s_delay_alu instid0(VALU_DEP_2) | instskip(SKIP_3) | instid1(VALU_DEP_1)
	v_mul_u64_e32 v[18:19], s[24:25], v[16:17]
	s_wait_loadcnt 0x0
	v_perm_b32 v22, v28, v28, 0x5040100
	s_mov_b32 s1, 0
	v_mov_b32_e32 v23, v22
	s_delay_alu instid0(VALU_DEP_3) | instskip(SKIP_1) | instid1(VALU_DEP_2)
	v_lshl_add_u64 v[24:25], v[18:19], 1, s[4:5]
	v_dual_mov_b32 v19, v21 :: v_dual_bitop2_b32 v18, -4, v20 bitop3:0x40
	v_lshl_add_u64 v[24:25], v[10:11], 1, v[24:25]
	s_delay_alu instid0(VALU_DEP_2) | instskip(NEXT) | instid1(VALU_DEP_2)
	v_mov_b64_e32 v[26:27], v[18:19]
	v_lshl_add_u64 v[24:25], v[0:1], 1, v[24:25]
.LBB7_32:                               ; =>This Inner Loop Header: Depth=1
	s_delay_alu instid0(VALU_DEP_2)
	v_add_nc_u64_e32 v[26:27], -4, v[26:27]
	global_store_b64 v[24:25], v[22:23], off
	s_wait_xcnt 0x0
	v_add_nc_u64_e32 v[24:25], 8, v[24:25]
	v_cmp_eq_u64_e32 vcc_lo, 0, v[26:27]
	s_or_b32 s1, vcc_lo, s1
	s_delay_alu instid0(SALU_CYCLE_1)
	s_and_not1_b32 exec_lo, exec_lo, s1
	s_cbranch_execnz .LBB7_32
; %bb.33:
	s_or_b32 exec_lo, exec_lo, s1
	v_cmp_ne_u64_e32 vcc_lo, v[20:21], v[18:19]
	v_add_nc_u64_e32 v[18:19], v[0:1], v[18:19]
	s_or_not1_b32 s1, vcc_lo, exec_lo
.LBB7_34:
	s_or_b32 exec_lo, exec_lo, s0
	s_delay_alu instid0(SALU_CYCLE_1)
	s_and_b32 exec_lo, exec_lo, s1
	s_cbranch_execz .LBB7_37
; %bb.35:
	s_delay_alu instid0(VALU_DEP_1) | instskip(SKIP_3) | instid1(VALU_DEP_2)
	v_lshlrev_b64_e32 v[20:21], 1, v[18:19]
	v_lshlrev_b64_e32 v[22:23], 1, v[4:5]
	s_lshl_b64 s[0:1], s[24:25], 1
	s_mov_b32 s3, 0
	v_lshl_add_u64 v[16:17], v[16:17], 1, v[20:21]
	s_delay_alu instid0(VALU_DEP_1) | instskip(NEXT) | instid1(VALU_DEP_1)
	v_mad_nc_u64_u32 v[20:21], s24, v16, v[22:23]
	v_mad_u32 v16, s25, v16, v21
	s_delay_alu instid0(VALU_DEP_1) | instskip(SKIP_1) | instid1(VALU_DEP_1)
	v_mad_u32 v21, s24, v17, v16
	v_lshlrev_b64_e32 v[16:17], 1, v[6:7]
	v_sub_nc_u64_e32 v[16:17], v[20:21], v[16:17]
	s_delay_alu instid0(VALU_DEP_1)
	v_add_nc_u64_e32 v[16:17], s[4:5], v[16:17]
.LBB7_36:                               ; =>This Inner Loop Header: Depth=1
	v_add_nc_u64_e32 v[18:19], 1, v[18:19]
	s_wait_loadcnt 0x0
	global_store_b16 v[16:17], v28, off
	s_wait_xcnt 0x0
	v_add_nc_u64_e32 v[16:17], s[0:1], v[16:17]
	v_cmp_ge_i64_e32 vcc_lo, v[18:19], v[2:3]
	s_or_b32 s3, vcc_lo, s3
	s_delay_alu instid0(SALU_CYCLE_1)
	s_and_not1_b32 exec_lo, exec_lo, s3
	s_cbranch_execnz .LBB7_36
.LBB7_37:
	s_or_b32 exec_lo, exec_lo, s2
.LBB7_38:
	s_mov_b32 s2, 0
.LBB7_39:
	s_delay_alu instid0(SALU_CYCLE_1)
	s_and_not1_b32 vcc_lo, exec_lo, s2
	s_cbranch_vccnz .LBB7_50
; %bb.40:
	s_cmp_lg_u32 s14, 1
	s_cbranch_scc1 .LBB7_50
; %bb.41:
	s_mov_b32 s2, exec_lo
	s_wait_loadcnt 0x0
	v_cmpx_gt_i64_e64 v[2:3], v[0:1]
	s_cbranch_execz .LBB7_49
; %bb.42:
	v_lshl_add_u64 v[16:17], v[12:13], 1, s[6:7]
	v_cls_i32_e32 v18, v15
	s_cmp_eq_u64 s[24:25], 1
	s_mov_b32 s1, -1
	s_cselect_b32 s0, -1, 0
	global_load_u16 v16, v[16:17], off
	s_wait_xcnt 0x0
	v_xor_b32_e32 v17, v14, v15
	s_delay_alu instid0(VALU_DEP_1) | instskip(NEXT) | instid1(VALU_DEP_1)
	v_ashrrev_i32_e32 v17, 31, v17
	v_add_nc_u32_e32 v17, 32, v17
	s_delay_alu instid0(VALU_DEP_1) | instskip(NEXT) | instid1(VALU_DEP_1)
	v_add_min_u32_e64 v17, v18, -1, v17
	v_lshlrev_b64_e32 v[14:15], v17, v[14:15]
	s_delay_alu instid0(VALU_DEP_1) | instskip(NEXT) | instid1(VALU_DEP_1)
	v_min_u32_e32 v14, 1, v14
	v_dual_sub_nc_u32 v15, 32, v17 :: v_dual_bitop2_b32 v14, v15, v14 bitop3:0x54
	s_delay_alu instid0(VALU_DEP_1) | instskip(NEXT) | instid1(VALU_DEP_1)
	v_cvt_f32_i32_e32 v14, v14
	v_ldexp_f32 v14, v14, v15
	s_delay_alu instid0(VALU_DEP_1) | instskip(NEXT) | instid1(VALU_DEP_1)
	v_cvt_f16_f32_e32 v17, v14
	v_cvt_f32_f16_e32 v14, v17
	s_delay_alu instid0(VALU_DEP_1)
	v_rcp_f32_e32 v18, v14
	s_wait_loadcnt 0x0
	v_nop
	v_cvt_f32_f16_e32 v14, v16
	s_delay_alu instid0(TRANS32_DEP_1) | instid1(VALU_DEP_1)
	v_mul_f32_e32 v20, v14, v18
	s_delay_alu instid0(VALU_DEP_1) | instskip(NEXT) | instid1(VALU_DEP_1)
	v_fma_mix_f32 v14, -v17, v20, v16 op_sel_hi:[1,0,1]
	v_fmac_f32_e32 v20, v14, v18
	v_mul_u64_e32 v[14:15], s[26:27], v[8:9]
	s_delay_alu instid0(VALU_DEP_2) | instskip(NEXT) | instid1(VALU_DEP_1)
	v_fma_mix_f32 v19, -v17, v20, v16 op_sel_hi:[1,0,1]
	v_mul_f32_e32 v18, v19, v18
	s_delay_alu instid0(VALU_DEP_1) | instskip(SKIP_1) | instid1(VALU_DEP_2)
	v_and_b32_e32 v21, 0xff800000, v18
	v_sub_nc_u64_e32 v[18:19], v[2:3], v[0:1]
	v_add_f32_e32 v20, v21, v20
	s_delay_alu instid0(VALU_DEP_2) | instskip(NEXT) | instid1(VALU_DEP_2)
	v_cmp_lt_u64_e32 vcc_lo, 3, v[18:19]
	v_cvt_f16_f32_e32 v20, v20
	s_and_b32 s3, vcc_lo, s0
	s_delay_alu instid0(VALU_DEP_1)
	v_div_fixup_f16 v26, v20, v17, v16
	v_mov_b64_e32 v[16:17], v[0:1]
	s_and_saveexec_b32 s0, s3
	s_cbranch_execz .LBB7_46
; %bb.43:
	v_mul_u64_e32 v[16:17], s[24:25], v[14:15]
	v_perm_b32 v20, v26, v26, 0x5040100
	s_mov_b32 s1, 0
	s_delay_alu instid0(VALU_DEP_1) | instskip(NEXT) | instid1(VALU_DEP_3)
	v_mov_b32_e32 v21, v20
	v_lshl_add_u64 v[22:23], v[16:17], 1, s[4:5]
	v_dual_mov_b32 v17, v19 :: v_dual_bitop2_b32 v16, -4, v18 bitop3:0x40
	s_delay_alu instid0(VALU_DEP_2) | instskip(NEXT) | instid1(VALU_DEP_2)
	v_lshl_add_u64 v[22:23], v[10:11], 1, v[22:23]
	v_mov_b64_e32 v[24:25], v[16:17]
	s_delay_alu instid0(VALU_DEP_2)
	v_lshl_add_u64 v[22:23], v[0:1], 1, v[22:23]
.LBB7_44:                               ; =>This Inner Loop Header: Depth=1
	s_delay_alu instid0(VALU_DEP_2)
	v_add_nc_u64_e32 v[24:25], -4, v[24:25]
	global_store_b64 v[22:23], v[20:21], off
	s_wait_xcnt 0x0
	v_add_nc_u64_e32 v[22:23], 8, v[22:23]
	v_cmp_eq_u64_e32 vcc_lo, 0, v[24:25]
	s_or_b32 s1, vcc_lo, s1
	s_delay_alu instid0(SALU_CYCLE_1)
	s_and_not1_b32 exec_lo, exec_lo, s1
	s_cbranch_execnz .LBB7_44
; %bb.45:
	s_or_b32 exec_lo, exec_lo, s1
	v_cmp_ne_u64_e32 vcc_lo, v[18:19], v[16:17]
	v_add_nc_u64_e32 v[16:17], v[0:1], v[16:17]
	s_or_not1_b32 s1, vcc_lo, exec_lo
.LBB7_46:
	s_or_b32 exec_lo, exec_lo, s0
	s_delay_alu instid0(SALU_CYCLE_1)
	s_and_b32 exec_lo, exec_lo, s1
	s_cbranch_execz .LBB7_49
; %bb.47:
	s_delay_alu instid0(VALU_DEP_1) | instskip(SKIP_3) | instid1(VALU_DEP_2)
	v_lshlrev_b64_e32 v[18:19], 1, v[16:17]
	v_lshlrev_b64_e32 v[20:21], 1, v[4:5]
	s_lshl_b64 s[0:1], s[24:25], 1
	s_mov_b32 s3, 0
	v_lshl_add_u64 v[14:15], v[14:15], 1, v[18:19]
	s_delay_alu instid0(VALU_DEP_1) | instskip(NEXT) | instid1(VALU_DEP_1)
	v_mad_nc_u64_u32 v[18:19], s24, v14, v[20:21]
	v_mad_u32 v14, s25, v14, v19
	s_delay_alu instid0(VALU_DEP_1) | instskip(SKIP_1) | instid1(VALU_DEP_1)
	v_mad_u32 v19, s24, v15, v14
	v_lshlrev_b64_e32 v[14:15], 1, v[6:7]
	v_sub_nc_u64_e32 v[14:15], v[18:19], v[14:15]
	s_delay_alu instid0(VALU_DEP_1)
	v_add_nc_u64_e32 v[14:15], s[4:5], v[14:15]
.LBB7_48:                               ; =>This Inner Loop Header: Depth=1
	v_add_nc_u64_e32 v[16:17], 1, v[16:17]
	global_store_b16 v[14:15], v26, off
	s_wait_xcnt 0x0
	v_add_nc_u64_e32 v[14:15], s[0:1], v[14:15]
	v_cmp_ge_i64_e32 vcc_lo, v[16:17], v[2:3]
	s_or_b32 s3, vcc_lo, s3
	s_delay_alu instid0(SALU_CYCLE_1)
	s_and_not1_b32 exec_lo, exec_lo, s3
	s_cbranch_execnz .LBB7_48
.LBB7_49:
	s_or_b32 exec_lo, exec_lo, s2
.LBB7_50:
	s_branch .LBB7_79
.LBB7_51:
	v_mov_b64_e32 v[14:15], 0
	s_mov_b32 s1, exec_lo
	s_wait_loadcnt 0x0
	v_cmp_le_i64_e32 vcc_lo, v[2:3], v[0:1]
	s_wait_xcnt 0x0
	v_cmpx_gt_i64_e64 v[2:3], v[0:1]
	s_cbranch_execz .LBB7_59
; %bb.52:
	v_mad_nc_u64_u32 v[14:15], v8, s26, v[0:1]
	v_mov_b64_e32 v[20:21], v[0:1]
	s_lshl_b64 s[2:3], s[24:25], 1
	s_delay_alu instid0(VALU_DEP_2) | instskip(NEXT) | instid1(VALU_DEP_3)
	v_mad_u32 v15, v9, s26, v15
	v_mad_nc_u64_u32 v[16:17], s24, v14, v[4:5]
	s_delay_alu instid0(VALU_DEP_2) | instskip(NEXT) | instid1(VALU_DEP_2)
	v_mad_u32 v15, v8, s27, v15
	v_mad_u32 v14, s25, v14, v17
	s_delay_alu instid0(VALU_DEP_1) | instskip(SKIP_1) | instid1(VALU_DEP_1)
	v_mad_u32 v17, s24, v15, v14
	v_lshlrev_b64_e32 v[14:15], 1, v[12:13]
	v_add_nc_u64_e32 v[12:13], s[8:9], v[14:15]
	s_delay_alu instid0(VALU_DEP_3) | instskip(SKIP_3) | instid1(VALU_DEP_3)
	v_sub_nc_u64_e32 v[18:19], v[16:17], v[6:7]
	v_add_nc_u64_e32 v[16:17], s[6:7], v[14:15]
	v_mov_b64_e32 v[14:15], 0
	s_mov_b32 s6, 0
	v_lshlrev_b64_e32 v[18:19], 1, v[18:19]
	s_branch .LBB7_54
.LBB7_53:                               ;   in Loop: Header=BB7_54 Depth=1
	s_wait_xcnt 0x0
	s_or_b32 exec_lo, exec_lo, s0
	v_add_nc_u64_e32 v[20:21], 1, v[20:21]
	v_add_nc_u64_e32 v[18:19], s[2:3], v[18:19]
	s_delay_alu instid0(VALU_DEP_2) | instskip(SKIP_1) | instid1(SALU_CYCLE_1)
	v_cmp_ge_i64_e64 s0, v[20:21], v[2:3]
	s_or_b32 s6, s0, s6
	s_and_not1_b32 exec_lo, exec_lo, s6
	s_cbranch_execz .LBB7_58
.LBB7_54:                               ; =>This Inner Loop Header: Depth=1
	s_delay_alu instid0(VALU_DEP_1)
	v_add_nc_u64_e32 v[22:23], s[10:11], v[18:19]
	s_mov_b32 s8, exec_lo
	global_load_u16 v22, v[22:23], off
	s_wait_loadcnt 0x0
	v_cmp_u_f16_e64 s7, v22, v22
	s_wait_xcnt 0x0
	v_cmpx_o_f16_e32 v22, v22
	s_cbranch_execz .LBB7_56
; %bb.55:                               ;   in Loop: Header=BB7_54 Depth=1
	global_load_u16 v23, v[12:13], off
	s_and_not1_b32 s7, s7, exec_lo
	s_wait_loadcnt 0x0
	v_cmp_eq_f16_e64 s0, v22, v23
	s_and_b32 s0, s0, exec_lo
	s_delay_alu instid0(SALU_CYCLE_1)
	s_or_b32 s7, s7, s0
.LBB7_56:                               ;   in Loop: Header=BB7_54 Depth=1
	s_wait_xcnt 0x0
	s_or_b32 exec_lo, exec_lo, s8
	s_and_saveexec_b32 s0, s7
	s_cbranch_execz .LBB7_53
; %bb.57:                               ;   in Loop: Header=BB7_54 Depth=1
	global_load_u16 v24, v[16:17], off
	v_add_nc_u64_e32 v[22:23], s[4:5], v[18:19]
	v_add_nc_u64_e32 v[14:15], 1, v[14:15]
	s_wait_loadcnt 0x0
	global_store_b16 v[22:23], v24, off
	s_branch .LBB7_53
.LBB7_58:
	s_or_b32 exec_lo, exec_lo, s6
.LBB7_59:
	s_delay_alu instid0(SALU_CYCLE_1) | instskip(SKIP_2) | instid1(SALU_CYCLE_1)
	s_or_b32 exec_lo, exec_lo, s1
	v_cmp_lt_i64_e64 s0, 1, v[14:15]
	s_xor_b32 s1, vcc_lo, -1
	s_and_b32 s0, s0, s1
	s_delay_alu instid0(SALU_CYCLE_1)
	s_and_b32 exec_lo, exec_lo, s0
	s_cbranch_execz .LBB7_79
; %bb.60:
	v_clz_i32_u32_e32 v12, v15
	v_mul_u64_e32 v[8:9], s[26:27], v[8:9]
	s_mov_b32 s6, exec_lo
	s_delay_alu instid0(VALU_DEP_2) | instskip(NEXT) | instid1(VALU_DEP_1)
	v_min_u32_e32 v16, 32, v12
	v_lshlrev_b64_e32 v[12:13], v16, v[14:15]
	v_sub_nc_u32_e32 v14, 32, v16
	s_delay_alu instid0(VALU_DEP_2) | instskip(NEXT) | instid1(VALU_DEP_1)
	v_min_u32_e32 v12, 1, v12
	v_or_b32_e32 v12, v13, v12
	s_delay_alu instid0(VALU_DEP_1) | instskip(SKIP_1) | instid1(VALU_DEP_2)
	v_cvt_f32_u32_e32 v15, v12
	v_sub_nc_u64_e32 v[12:13], v[2:3], v[0:1]
	v_ldexp_f32 v14, v15, v14
	s_delay_alu instid0(VALU_DEP_2) | instskip(NEXT) | instid1(VALU_DEP_2)
	v_cmp_gt_u64_e64 s3, 16, v[12:13]
	v_cvt_f16_f32_e32 v20, v14
	v_cmpx_lt_u64_e32 15, v[12:13]
	s_cbranch_execz .LBB7_74
; %bb.61:
	v_add_nc_u64_e32 v[14:15], v[8:9], v[0:1]
	v_not_b32_e32 v17, v1
	v_not_b32_e32 v16, v0
	s_cmp_eq_u64 s[24:25], 1
	s_cselect_b32 s1, -1, 0
	s_delay_alu instid0(VALU_DEP_3) | instskip(NEXT) | instid1(VALU_DEP_2)
	v_add_nc_u64_e32 v[10:11], v[14:15], v[10:11]
	v_add_nc_u64_e32 v[14:15], v[2:3], v[16:17]
	s_delay_alu instid0(VALU_DEP_2) | instskip(NEXT) | instid1(VALU_DEP_2)
	v_lshl_add_u64 v[10:11], v[10:11], 1, s[4:5]
	v_cmp_lt_i64_e32 vcc_lo, -1, v[14:15]
	s_delay_alu instid0(VALU_DEP_2) | instskip(NEXT) | instid1(VALU_DEP_1)
	v_lshl_add_u64 v[16:17], v[14:15], 1, v[10:11]
	v_cmp_ge_u64_e64 s0, v[16:17], v[10:11]
	s_and_b32 s0, s0, vcc_lo
	s_delay_alu instid0(SALU_CYCLE_1)
	s_and_b32 s1, s1, s0
	s_mov_b32 s0, -1
	s_and_saveexec_b32 s7, s1
	s_cbranch_execz .LBB7_73
; %bb.62:
	v_lshlrev_b64_e32 v[10:11], 1, v[4:5]
	v_lshlrev_b64_e32 v[14:15], 1, v[6:7]
	v_cvt_f32_f16_e32 v16, v20
	s_mov_b32 s8, 0
	s_delay_alu instid0(VALU_DEP_1) | instskip(NEXT) | instid1(VALU_DEP_3)
	v_rcp_f32_e32 v21, v16
	v_lshl_add_u64 v[10:11], v[8:9], 1, v[10:11]
	s_delay_alu instid0(VALU_DEP_1) | instskip(NEXT) | instid1(VALU_DEP_1)
	v_lshl_add_u64 v[10:11], v[0:1], 1, v[10:11]
	v_sub_nc_u64_e32 v[10:11], v[10:11], v[14:15]
	s_delay_alu instid0(VALU_DEP_1) | instskip(SKIP_1) | instid1(VALU_DEP_1)
	v_add_nc_u64_e32 v[14:15], s[4:5], v[10:11]
	v_dual_mov_b32 v11, v13 :: v_dual_bitop2_b32 v10, -4, v12 bitop3:0x40
	v_mov_b64_e32 v[16:17], v[10:11]
	s_delay_alu instid0(VALU_DEP_3)
	v_add_nc_u64_e32 v[14:15], 6, v[14:15]
	s_branch .LBB7_64
.LBB7_63:                               ;   in Loop: Header=BB7_64 Depth=1
	s_wait_xcnt 0x0
	s_or_b32 exec_lo, exec_lo, s0
	v_add_nc_u64_e32 v[16:17], -4, v[16:17]
	v_add_nc_u64_e32 v[14:15], 8, v[14:15]
	s_delay_alu instid0(VALU_DEP_2) | instskip(SKIP_1) | instid1(SALU_CYCLE_1)
	v_cmp_eq_u64_e32 vcc_lo, 0, v[16:17]
	s_or_b32 s8, vcc_lo, s8
	s_and_not1_b32 exec_lo, exec_lo, s8
	s_cbranch_execz .LBB7_72
.LBB7_64:                               ; =>This Inner Loop Header: Depth=1
	global_load_b64 v[18:19], v[14:15], off offset:-6
	s_mov_b32 s9, exec_lo
	s_wait_loadcnt 0x0
	v_dual_lshrrev_b32 v22, 16, v19 :: v_dual_lshrrev_b32 v23, 16, v18
	v_cmp_lt_f16_e64 s0, 0, v19
	s_delay_alu instid0(VALU_DEP_2) | instskip(NEXT) | instid1(VALU_DEP_3)
	v_cmp_lt_f16_e32 vcc_lo, 0, v22
	v_cmp_lt_f16_e64 s1, 0, v23
	s_wait_xcnt 0x0
	v_cmpx_lt_f16_e32 0, v18
	s_cbranch_execnz .LBB7_68
; %bb.65:                               ;   in Loop: Header=BB7_64 Depth=1
	s_or_b32 exec_lo, exec_lo, s9
	s_and_saveexec_b32 s2, s1
	s_cbranch_execnz .LBB7_69
.LBB7_66:                               ;   in Loop: Header=BB7_64 Depth=1
	s_or_b32 exec_lo, exec_lo, s2
	s_and_saveexec_b32 s1, s0
	s_cbranch_execnz .LBB7_70
.LBB7_67:                               ;   in Loop: Header=BB7_64 Depth=1
	s_or_b32 exec_lo, exec_lo, s1
	s_and_saveexec_b32 s0, vcc_lo
	s_cbranch_execz .LBB7_63
	s_branch .LBB7_71
.LBB7_68:                               ;   in Loop: Header=BB7_64 Depth=1
	v_cvt_f32_f16_e32 v24, v18
	s_delay_alu instid0(VALU_DEP_1) | instskip(NEXT) | instid1(VALU_DEP_1)
	v_mul_f32_e32 v24, v24, v21
	v_fma_mix_f32 v25, -v20, v24, v18 op_sel_hi:[1,0,1]
	s_delay_alu instid0(VALU_DEP_1) | instskip(NEXT) | instid1(VALU_DEP_1)
	v_fmac_f32_e32 v24, v25, v21
	v_fma_mix_f32 v25, -v20, v24, v18 op_sel_hi:[1,0,1]
	s_delay_alu instid0(VALU_DEP_1) | instskip(NEXT) | instid1(VALU_DEP_1)
	v_mul_f32_e32 v25, v25, v21
	v_and_b32_e32 v25, 0xff800000, v25
	s_delay_alu instid0(VALU_DEP_1) | instskip(NEXT) | instid1(VALU_DEP_1)
	v_add_f32_e32 v24, v25, v24
	v_cvt_f16_f32_e32 v24, v24
	s_delay_alu instid0(VALU_DEP_1)
	v_div_fixup_f16 v24, v24, v20, v18
	global_store_b16 v[14:15], v24, off offset:-6
	s_wait_xcnt 0x0
	s_or_b32 exec_lo, exec_lo, s9
	s_and_saveexec_b32 s2, s1
	s_cbranch_execz .LBB7_66
.LBB7_69:                               ;   in Loop: Header=BB7_64 Depth=1
	v_cvt_f32_f16_e32 v24, v23
	s_delay_alu instid0(VALU_DEP_1) | instskip(NEXT) | instid1(VALU_DEP_1)
	v_mul_f32_e32 v24, v24, v21
	v_fma_mix_f32 v25, -v20, v24, v18 op_sel:[0,0,1] op_sel_hi:[1,0,1]
	s_delay_alu instid0(VALU_DEP_1) | instskip(NEXT) | instid1(VALU_DEP_1)
	v_fmac_f32_e32 v24, v25, v21
	v_fma_mix_f32 v18, -v20, v24, v18 op_sel:[0,0,1] op_sel_hi:[1,0,1]
	s_delay_alu instid0(VALU_DEP_1) | instskip(NEXT) | instid1(VALU_DEP_1)
	v_mul_f32_e32 v18, v18, v21
	v_and_b32_e32 v18, 0xff800000, v18
	s_delay_alu instid0(VALU_DEP_1) | instskip(NEXT) | instid1(VALU_DEP_1)
	v_add_f32_e32 v18, v18, v24
	v_cvt_f16_f32_e32 v18, v18
	s_delay_alu instid0(VALU_DEP_1)
	v_div_fixup_f16 v18, v18, v20, v23
	global_store_b16 v[14:15], v18, off offset:-4
	s_wait_xcnt 0x0
	s_or_b32 exec_lo, exec_lo, s2
	s_and_saveexec_b32 s1, s0
	s_cbranch_execz .LBB7_67
.LBB7_70:                               ;   in Loop: Header=BB7_64 Depth=1
	v_cvt_f32_f16_e32 v18, v19
	s_delay_alu instid0(VALU_DEP_1) | instskip(NEXT) | instid1(VALU_DEP_1)
	v_mul_f32_e32 v18, v18, v21
	v_fma_mix_f32 v23, -v20, v18, v19 op_sel_hi:[1,0,1]
	s_delay_alu instid0(VALU_DEP_1) | instskip(NEXT) | instid1(VALU_DEP_1)
	v_fmac_f32_e32 v18, v23, v21
	v_fma_mix_f32 v23, -v20, v18, v19 op_sel_hi:[1,0,1]
	s_delay_alu instid0(VALU_DEP_1) | instskip(NEXT) | instid1(VALU_DEP_1)
	v_mul_f32_e32 v23, v23, v21
	v_and_b32_e32 v23, 0xff800000, v23
	s_delay_alu instid0(VALU_DEP_1) | instskip(NEXT) | instid1(VALU_DEP_1)
	v_add_f32_e32 v18, v23, v18
	v_cvt_f16_f32_e32 v18, v18
	s_delay_alu instid0(VALU_DEP_1)
	v_div_fixup_f16 v18, v18, v20, v19
	global_store_b16 v[14:15], v18, off offset:-2
	s_wait_xcnt 0x0
	s_or_b32 exec_lo, exec_lo, s1
	s_and_saveexec_b32 s0, vcc_lo
	s_cbranch_execz .LBB7_63
.LBB7_71:                               ;   in Loop: Header=BB7_64 Depth=1
	v_cvt_f32_f16_e32 v18, v22
	s_delay_alu instid0(VALU_DEP_1) | instskip(NEXT) | instid1(VALU_DEP_1)
	v_mul_f32_e32 v18, v18, v21
	v_fma_mix_f32 v23, -v20, v18, v19 op_sel:[0,0,1] op_sel_hi:[1,0,1]
	s_delay_alu instid0(VALU_DEP_1) | instskip(NEXT) | instid1(VALU_DEP_1)
	v_fmac_f32_e32 v18, v23, v21
	v_fma_mix_f32 v19, -v20, v18, v19 op_sel:[0,0,1] op_sel_hi:[1,0,1]
	s_delay_alu instid0(VALU_DEP_1) | instskip(NEXT) | instid1(VALU_DEP_1)
	v_mul_f32_e32 v19, v19, v21
	v_and_b32_e32 v19, 0xff800000, v19
	s_delay_alu instid0(VALU_DEP_1) | instskip(NEXT) | instid1(VALU_DEP_1)
	v_add_f32_e32 v18, v19, v18
	v_cvt_f16_f32_e32 v18, v18
	s_delay_alu instid0(VALU_DEP_1)
	v_div_fixup_f16 v18, v18, v20, v22
	global_store_b16 v[14:15], v18, off
	s_branch .LBB7_63
.LBB7_72:
	s_or_b32 exec_lo, exec_lo, s8
	v_cmp_ne_u64_e32 vcc_lo, v[12:13], v[10:11]
	v_add_nc_u64_e32 v[0:1], v[0:1], v[10:11]
	s_or_not1_b32 s0, vcc_lo, exec_lo
.LBB7_73:
	s_or_b32 exec_lo, exec_lo, s7
	s_delay_alu instid0(SALU_CYCLE_1) | instskip(SKIP_1) | instid1(SALU_CYCLE_1)
	s_and_not1_b32 s1, s3, exec_lo
	s_and_b32 s0, s0, exec_lo
	s_or_b32 s3, s1, s0
.LBB7_74:
	s_or_b32 exec_lo, exec_lo, s6
	s_delay_alu instid0(SALU_CYCLE_1)
	s_and_b32 exec_lo, exec_lo, s3
	s_cbranch_execz .LBB7_79
; %bb.75:
	v_lshlrev_b64_e32 v[10:11], 1, v[0:1]
	v_lshlrev_b64_e32 v[4:5], 1, v[4:5]
	;; [unrolled: 1-line block ×3, first 2 shown]
	s_lshl_b64 s[0:1], s[24:25], 1
	s_mov_b32 s2, 0
	s_delay_alu instid0(VALU_DEP_3) | instskip(NEXT) | instid1(VALU_DEP_1)
	v_lshl_add_u64 v[8:9], v[8:9], 1, v[10:11]
	v_mad_nc_u64_u32 v[4:5], s24, v8, v[4:5]
	s_delay_alu instid0(VALU_DEP_1) | instskip(NEXT) | instid1(VALU_DEP_1)
	v_mad_u32 v5, s25, v8, v5
	v_mad_u32 v5, s24, v9, v5
	s_delay_alu instid0(VALU_DEP_1) | instskip(SKIP_1) | instid1(VALU_DEP_1)
	v_sub_nc_u64_e32 v[4:5], v[4:5], v[6:7]
	v_cvt_f32_f16_e32 v6, v20
	v_rcp_f32_e32 v6, v6
	s_delay_alu instid0(VALU_DEP_2)
	v_add_nc_u64_e32 v[4:5], s[4:5], v[4:5]
	s_branch .LBB7_77
.LBB7_76:                               ;   in Loop: Header=BB7_77 Depth=1
	s_wait_xcnt 0x0
	s_or_b32 exec_lo, exec_lo, s3
	v_add_nc_u64_e32 v[0:1], 1, v[0:1]
	v_add_nc_u64_e32 v[4:5], s[0:1], v[4:5]
	s_delay_alu instid0(VALU_DEP_2) | instskip(SKIP_1) | instid1(SALU_CYCLE_1)
	v_cmp_ge_i64_e32 vcc_lo, v[0:1], v[2:3]
	s_or_b32 s2, vcc_lo, s2
	s_and_not1_b32 exec_lo, exec_lo, s2
	s_cbranch_execz .LBB7_79
.LBB7_77:                               ; =>This Inner Loop Header: Depth=1
	global_load_u16 v7, v[4:5], off
	s_mov_b32 s3, exec_lo
	s_wait_loadcnt 0x0
	v_cmpx_lt_f16_e32 0, v7
	s_cbranch_execz .LBB7_76
; %bb.78:                               ;   in Loop: Header=BB7_77 Depth=1
	v_cvt_f32_f16_e32 v8, v7
	s_delay_alu instid0(VALU_DEP_1) | instskip(NEXT) | instid1(VALU_DEP_1)
	v_mul_f32_e32 v8, v8, v6
	v_fma_mix_f32 v9, -v20, v8, v7 op_sel_hi:[1,0,1]
	s_delay_alu instid0(VALU_DEP_1) | instskip(NEXT) | instid1(VALU_DEP_1)
	v_fmac_f32_e32 v8, v9, v6
	v_fma_mix_f32 v9, -v20, v8, v7 op_sel_hi:[1,0,1]
	s_delay_alu instid0(VALU_DEP_1) | instskip(NEXT) | instid1(VALU_DEP_1)
	v_mul_f32_e32 v9, v9, v6
	v_and_b32_e32 v9, 0xff800000, v9
	s_delay_alu instid0(VALU_DEP_1) | instskip(NEXT) | instid1(VALU_DEP_1)
	v_add_f32_e32 v8, v9, v8
	v_cvt_f16_f32_e32 v8, v8
	s_delay_alu instid0(VALU_DEP_1)
	v_div_fixup_f16 v7, v8, v20, v7
	global_store_b16 v[4:5], v7, off
	s_branch .LBB7_76
.LBB7_79:
	s_endpgm
	.section	.rodata,"a",@progbits
	.p2align	6, 0x0
	.amdhsa_kernel _ZN2at6native12_GLOBAL__N_130segment_reduce_backward_kernelIN3c104HalfElEEvNS0_13ReductionTypeEPT_PKS6_S9_S9_PKT0_SC_llS6_lllllll
		.amdhsa_group_segment_fixed_size 0
		.amdhsa_private_segment_fixed_size 0
		.amdhsa_kernarg_size 392
		.amdhsa_user_sgpr_count 2
		.amdhsa_user_sgpr_dispatch_ptr 0
		.amdhsa_user_sgpr_queue_ptr 0
		.amdhsa_user_sgpr_kernarg_segment_ptr 1
		.amdhsa_user_sgpr_dispatch_id 0
		.amdhsa_user_sgpr_kernarg_preload_length 0
		.amdhsa_user_sgpr_kernarg_preload_offset 0
		.amdhsa_user_sgpr_private_segment_size 0
		.amdhsa_wavefront_size32 1
		.amdhsa_uses_dynamic_stack 0
		.amdhsa_enable_private_segment 0
		.amdhsa_system_sgpr_workgroup_id_x 1
		.amdhsa_system_sgpr_workgroup_id_y 0
		.amdhsa_system_sgpr_workgroup_id_z 0
		.amdhsa_system_sgpr_workgroup_info 0
		.amdhsa_system_vgpr_workitem_id 0
		.amdhsa_next_free_vgpr 34
		.amdhsa_next_free_sgpr 44
		.amdhsa_named_barrier_count 0
		.amdhsa_reserve_vcc 1
		.amdhsa_float_round_mode_32 0
		.amdhsa_float_round_mode_16_64 0
		.amdhsa_float_denorm_mode_32 3
		.amdhsa_float_denorm_mode_16_64 3
		.amdhsa_fp16_overflow 0
		.amdhsa_memory_ordered 1
		.amdhsa_forward_progress 1
		.amdhsa_inst_pref_size 38
		.amdhsa_round_robin_scheduling 0
		.amdhsa_exception_fp_ieee_invalid_op 0
		.amdhsa_exception_fp_denorm_src 0
		.amdhsa_exception_fp_ieee_div_zero 0
		.amdhsa_exception_fp_ieee_overflow 0
		.amdhsa_exception_fp_ieee_underflow 0
		.amdhsa_exception_fp_ieee_inexact 0
		.amdhsa_exception_int_div_zero 0
	.end_amdhsa_kernel
	.section	.text._ZN2at6native12_GLOBAL__N_130segment_reduce_backward_kernelIN3c104HalfElEEvNS0_13ReductionTypeEPT_PKS6_S9_S9_PKT0_SC_llS6_lllllll,"axG",@progbits,_ZN2at6native12_GLOBAL__N_130segment_reduce_backward_kernelIN3c104HalfElEEvNS0_13ReductionTypeEPT_PKS6_S9_S9_PKT0_SC_llS6_lllllll,comdat
.Lfunc_end7:
	.size	_ZN2at6native12_GLOBAL__N_130segment_reduce_backward_kernelIN3c104HalfElEEvNS0_13ReductionTypeEPT_PKS6_S9_S9_PKT0_SC_llS6_lllllll, .Lfunc_end7-_ZN2at6native12_GLOBAL__N_130segment_reduce_backward_kernelIN3c104HalfElEEvNS0_13ReductionTypeEPT_PKS6_S9_S9_PKT0_SC_llS6_lllllll
                                        ; -- End function
	.set _ZN2at6native12_GLOBAL__N_130segment_reduce_backward_kernelIN3c104HalfElEEvNS0_13ReductionTypeEPT_PKS6_S9_S9_PKT0_SC_llS6_lllllll.num_vgpr, 34
	.set _ZN2at6native12_GLOBAL__N_130segment_reduce_backward_kernelIN3c104HalfElEEvNS0_13ReductionTypeEPT_PKS6_S9_S9_PKT0_SC_llS6_lllllll.num_agpr, 0
	.set _ZN2at6native12_GLOBAL__N_130segment_reduce_backward_kernelIN3c104HalfElEEvNS0_13ReductionTypeEPT_PKS6_S9_S9_PKT0_SC_llS6_lllllll.numbered_sgpr, 44
	.set _ZN2at6native12_GLOBAL__N_130segment_reduce_backward_kernelIN3c104HalfElEEvNS0_13ReductionTypeEPT_PKS6_S9_S9_PKT0_SC_llS6_lllllll.num_named_barrier, 0
	.set _ZN2at6native12_GLOBAL__N_130segment_reduce_backward_kernelIN3c104HalfElEEvNS0_13ReductionTypeEPT_PKS6_S9_S9_PKT0_SC_llS6_lllllll.private_seg_size, 0
	.set _ZN2at6native12_GLOBAL__N_130segment_reduce_backward_kernelIN3c104HalfElEEvNS0_13ReductionTypeEPT_PKS6_S9_S9_PKT0_SC_llS6_lllllll.uses_vcc, 1
	.set _ZN2at6native12_GLOBAL__N_130segment_reduce_backward_kernelIN3c104HalfElEEvNS0_13ReductionTypeEPT_PKS6_S9_S9_PKT0_SC_llS6_lllllll.uses_flat_scratch, 0
	.set _ZN2at6native12_GLOBAL__N_130segment_reduce_backward_kernelIN3c104HalfElEEvNS0_13ReductionTypeEPT_PKS6_S9_S9_PKT0_SC_llS6_lllllll.has_dyn_sized_stack, 0
	.set _ZN2at6native12_GLOBAL__N_130segment_reduce_backward_kernelIN3c104HalfElEEvNS0_13ReductionTypeEPT_PKS6_S9_S9_PKT0_SC_llS6_lllllll.has_recursion, 0
	.set _ZN2at6native12_GLOBAL__N_130segment_reduce_backward_kernelIN3c104HalfElEEvNS0_13ReductionTypeEPT_PKS6_S9_S9_PKT0_SC_llS6_lllllll.has_indirect_call, 0
	.section	.AMDGPU.csdata,"",@progbits
; Kernel info:
; codeLenInByte = 4852
; TotalNumSgprs: 46
; NumVgprs: 34
; ScratchSize: 0
; MemoryBound: 0
; FloatMode: 240
; IeeeMode: 1
; LDSByteSize: 0 bytes/workgroup (compile time only)
; SGPRBlocks: 0
; VGPRBlocks: 2
; NumSGPRsForWavesPerEU: 46
; NumVGPRsForWavesPerEU: 34
; NamedBarCnt: 0
; Occupancy: 16
; WaveLimiterHint : 1
; COMPUTE_PGM_RSRC2:SCRATCH_EN: 0
; COMPUTE_PGM_RSRC2:USER_SGPR: 2
; COMPUTE_PGM_RSRC2:TRAP_HANDLER: 0
; COMPUTE_PGM_RSRC2:TGID_X_EN: 1
; COMPUTE_PGM_RSRC2:TGID_Y_EN: 0
; COMPUTE_PGM_RSRC2:TGID_Z_EN: 0
; COMPUTE_PGM_RSRC2:TIDIG_COMP_CNT: 0
	.section	.text._ZN2at6native12_GLOBAL__N_129segment_reduce_forward_kernelIdiEEvNS0_13ReductionTypeEPT_PKS4_PKT0_SA_llbS4_lllllll,"axG",@progbits,_ZN2at6native12_GLOBAL__N_129segment_reduce_forward_kernelIdiEEvNS0_13ReductionTypeEPT_PKS4_PKT0_SA_llbS4_lllllll,comdat
	.globl	_ZN2at6native12_GLOBAL__N_129segment_reduce_forward_kernelIdiEEvNS0_13ReductionTypeEPT_PKS4_PKT0_SA_llbS4_lllllll ; -- Begin function _ZN2at6native12_GLOBAL__N_129segment_reduce_forward_kernelIdiEEvNS0_13ReductionTypeEPT_PKS4_PKT0_SA_llbS4_lllllll
	.p2align	8
	.type	_ZN2at6native12_GLOBAL__N_129segment_reduce_forward_kernelIdiEEvNS0_13ReductionTypeEPT_PKS4_PKT0_SA_llbS4_lllllll,@function
_ZN2at6native12_GLOBAL__N_129segment_reduce_forward_kernelIdiEEvNS0_13ReductionTypeEPT_PKS4_PKT0_SA_llbS4_lllllll: ; @_ZN2at6native12_GLOBAL__N_129segment_reduce_forward_kernelIdiEEvNS0_13ReductionTypeEPT_PKS4_PKT0_SA_llbS4_lllllll
; %bb.0:
	s_clause 0x2
	s_load_b32 s2, s[0:1], 0x8c
	s_load_b128 s[28:31], s[0:1], 0x28
	s_load_b512 s[4:19], s[0:1], 0x40
	s_bfe_u32 s3, ttmp6, 0x4000c
	v_mov_b32_e32 v2, 0
	s_add_co_i32 s3, s3, 1
	s_and_b32 s20, ttmp6, 15
	s_mul_i32 s3, ttmp9, s3
	s_getreg_b32 s21, hwreg(HW_REG_IB_STS2, 6, 4)
	v_mov_b32_e32 v1, v2
	s_add_co_i32 s20, s20, s3
	s_wait_kmcnt 0x0
	s_and_b32 s2, s2, 0xffff
	s_cmp_eq_u32 s21, 0
	s_cselect_b32 s3, ttmp9, s20
	s_delay_alu instid0(SALU_CYCLE_1) | instskip(SKIP_1) | instid1(SALU_CYCLE_1)
	v_mad_nc_u64_u32 v[0:1], s2, s3, v[0:1]
	s_mul_u64 s[2:3], s[6:7], s[28:29]
	s_mul_u64 s[2:3], s[2:3], s[8:9]
	s_delay_alu instid0(VALU_DEP_1) | instid1(SALU_CYCLE_1)
	v_cmp_gt_i64_e32 vcc_lo, s[2:3], v[0:1]
	s_and_saveexec_b32 s2, vcc_lo
	s_cbranch_execz .LBB8_35
; %bb.1:
	v_or_b32_e32 v3, s9, v1
                                        ; implicit-def: $vgpr4_vgpr5
	s_mov_b32 s2, exec_lo
	s_delay_alu instid0(VALU_DEP_1)
	v_cmpx_ne_u64_e32 0, v[2:3]
	s_xor_b32 s3, exec_lo, s2
	s_cbranch_execz .LBB8_3
; %bb.2:
	s_ashr_i32 s6, s9, 31
	s_mov_b32 s35, 0
	s_mov_b32 s7, s6
	v_dual_mov_b32 v7, 0 :: v_dual_ashrrev_i32 v2, 31, v1
	s_add_nc_u64 s[20:21], s[8:9], s[6:7]
	s_delay_alu instid0(SALU_CYCLE_1) | instskip(NEXT) | instid1(VALU_DEP_1)
	s_xor_b64 s[20:21], s[20:21], s[6:7]
	v_mov_b32_e32 v3, v2
	s_cvt_f32_u32 s2, s20
	s_cvt_f32_u32 s7, s21
	s_sub_nc_u64 s[24:25], 0, s[20:21]
	s_delay_alu instid0(VALU_DEP_1) | instskip(NEXT) | instid1(SALU_CYCLE_1)
	v_add_nc_u64_e32 v[4:5], v[0:1], v[2:3]
	s_fmamk_f32 s2, s7, 0x4f800000, s2
	v_mov_b32_e32 v9, v7
	s_delay_alu instid0(SALU_CYCLE_2) | instskip(NEXT) | instid1(VALU_DEP_2)
	v_s_rcp_f32 s2, s2
	v_xor_b32_e32 v6, v4, v2
	s_delay_alu instid0(VALU_DEP_3) | instskip(SKIP_1) | instid1(TRANS32_DEP_1)
	v_dual_mov_b32 v15, v7 :: v_dual_bitop2_b32 v8, v5, v2 bitop3:0x14
	v_xor_b32_e32 v2, s6, v2
	s_mul_f32 s2, s2, 0x5f7ffffc
	s_delay_alu instid0(SALU_CYCLE_3) | instskip(NEXT) | instid1(SALU_CYCLE_3)
	s_mul_f32 s7, s2, 0x2f800000
	s_trunc_f32 s7, s7
	s_delay_alu instid0(SALU_CYCLE_3) | instskip(SKIP_1) | instid1(SALU_CYCLE_2)
	s_fmamk_f32 s2, s7, 0xcf800000, s2
	s_cvt_u32_f32 s23, s7
	s_cvt_u32_f32 s22, s2
	s_delay_alu instid0(SALU_CYCLE_3) | instskip(NEXT) | instid1(SALU_CYCLE_1)
	s_mul_u64 s[26:27], s[24:25], s[22:23]
	s_mul_hi_u32 s37, s22, s27
	s_mul_i32 s36, s22, s27
	s_mul_hi_u32 s34, s22, s26
	s_mul_i32 s7, s23, s26
	s_add_nc_u64 s[36:37], s[34:35], s[36:37]
	s_mul_hi_u32 s2, s23, s26
	s_mul_hi_u32 s33, s23, s27
	s_add_co_u32 s7, s36, s7
	s_add_co_ci_u32 s34, s37, s2
	s_mul_i32 s26, s23, s27
	s_add_co_ci_u32 s27, s33, 0
	s_delay_alu instid0(SALU_CYCLE_1) | instskip(NEXT) | instid1(SALU_CYCLE_1)
	s_add_nc_u64 s[26:27], s[34:35], s[26:27]
	s_add_co_u32 s22, s22, s26
	s_cselect_b32 s2, -1, 0
	s_delay_alu instid0(SALU_CYCLE_1) | instskip(SKIP_1) | instid1(SALU_CYCLE_1)
	s_cmp_lg_u32 s2, 0
	s_add_co_ci_u32 s23, s23, s27
	s_mul_u64 s[24:25], s[24:25], s[22:23]
	s_delay_alu instid0(SALU_CYCLE_1)
	s_mul_hi_u32 s27, s22, s25
	s_mul_i32 s26, s22, s25
	s_mul_hi_u32 s34, s22, s24
	s_mul_i32 s7, s23, s24
	s_add_nc_u64 s[26:27], s[34:35], s[26:27]
	s_mul_hi_u32 s2, s23, s24
	s_mul_hi_u32 s33, s23, s25
	s_add_co_u32 s7, s26, s7
	s_add_co_ci_u32 s34, s27, s2
	s_mul_i32 s24, s23, s25
	s_add_co_ci_u32 s25, s33, 0
	s_delay_alu instid0(SALU_CYCLE_1) | instskip(NEXT) | instid1(SALU_CYCLE_1)
	s_add_nc_u64 s[24:25], s[34:35], s[24:25]
	s_add_co_u32 s2, s22, s24
	s_cselect_b32 s7, -1, 0
	v_mul_hi_u32 v14, v6, s2
	s_cmp_lg_u32 s7, 0
	s_add_co_ci_u32 s34, s23, s25
	s_mov_b64 s[22:23], 0xffffffff
	v_mul_u64_e32 v[10:11], s[34:35], v[6:7]
	s_and_b64 s[22:23], s[2:3], s[22:23]
	v_mul_u64_e32 v[12:13], s[34:35], v[8:9]
	v_mul_u64_e32 v[4:5], s[22:23], v[8:9]
	s_delay_alu instid0(VALU_DEP_3) | instskip(NEXT) | instid1(VALU_DEP_1)
	v_add_nc_u64_e32 v[10:11], v[14:15], v[10:11]
	v_add_co_u32 v3, vcc_lo, v10, v4
	s_delay_alu instid0(VALU_DEP_2) | instskip(SKIP_1) | instid1(VALU_DEP_1)
	v_add_co_ci_u32_e32 v14, vcc_lo, v11, v5, vcc_lo
	v_add_co_ci_u32_e32 v13, vcc_lo, 0, v13, vcc_lo
	v_add_nc_u64_e32 v[4:5], v[14:15], v[12:13]
	s_delay_alu instid0(VALU_DEP_1) | instskip(NEXT) | instid1(VALU_DEP_1)
	v_mul_u64_e32 v[10:11], s[20:21], v[4:5]
	v_sub_nc_u32_e32 v3, v8, v11
	s_delay_alu instid0(VALU_DEP_2) | instskip(NEXT) | instid1(VALU_DEP_1)
	v_sub_co_u32 v6, vcc_lo, v6, v10
	v_sub_co_ci_u32_e64 v10, null, v8, v11, vcc_lo
	s_delay_alu instid0(VALU_DEP_3) | instskip(NEXT) | instid1(VALU_DEP_3)
	v_subrev_co_ci_u32_e64 v3, null, s21, v3, vcc_lo
	v_sub_co_u32 v7, s2, v6, s20
	s_delay_alu instid0(VALU_DEP_1) | instskip(NEXT) | instid1(VALU_DEP_2)
	v_subrev_co_ci_u32_e64 v3, null, 0, v3, s2
	v_cmp_le_u32_e32 vcc_lo, s20, v7
	v_cndmask_b32_e64 v7, 0, -1, vcc_lo
	s_delay_alu instid0(VALU_DEP_3)
	v_cmp_le_u32_e32 vcc_lo, s21, v3
	v_cndmask_b32_e64 v8, 0, -1, vcc_lo
	v_cmp_le_u32_e32 vcc_lo, s20, v6
	v_cndmask_b32_e64 v11, 0, -1, vcc_lo
	;; [unrolled: 2-line block ×3, first 2 shown]
	v_cmp_eq_u32_e32 vcc_lo, s21, v3
	v_cndmask_b32_e32 v3, v8, v7, vcc_lo
	v_cmp_eq_u32_e32 vcc_lo, s21, v10
	v_add_nc_u64_e32 v[6:7], 2, v[4:5]
	v_add_nc_u64_e32 v[8:9], 1, v[4:5]
	v_cndmask_b32_e32 v10, v12, v11, vcc_lo
	v_cmp_ne_u32_e32 vcc_lo, 0, v3
	s_delay_alu instid0(VALU_DEP_2) | instskip(NEXT) | instid1(VALU_DEP_4)
	v_cmp_ne_u32_e64 s2, 0, v10
	v_dual_cndmask_b32 v6, v8, v6 :: v_dual_cndmask_b32 v3, v9, v7
	s_delay_alu instid0(VALU_DEP_1) | instskip(NEXT) | instid1(VALU_DEP_1)
	v_dual_cndmask_b32 v4, v4, v6, s2 :: v_dual_cndmask_b32 v5, v5, v3, s2
	v_dual_mov_b32 v3, v2 :: v_dual_bitop2_b32 v4, v4, v2 bitop3:0x14
	s_delay_alu instid0(VALU_DEP_2) | instskip(NEXT) | instid1(VALU_DEP_1)
	v_xor_b32_e32 v5, v5, v2
	v_sub_nc_u64_e32 v[4:5], v[4:5], v[2:3]
.LBB8_3:
	s_or_saveexec_b32 s2, s3
	s_load_b256 s[20:27], s[0:1], 0x8
	s_xor_b32 exec_lo, exec_lo, s2
	s_cbranch_execz .LBB8_5
; %bb.4:
	v_cvt_f32_u32_e32 v2, s8
	s_sub_co_i32 s3, 0, s8
	s_delay_alu instid0(VALU_DEP_1) | instskip(SKIP_1) | instid1(TRANS32_DEP_1)
	v_rcp_iflag_f32_e32 v2, v2
	v_nop
	v_mul_f32_e32 v2, 0x4f7ffffe, v2
	s_delay_alu instid0(VALU_DEP_1) | instskip(NEXT) | instid1(VALU_DEP_1)
	v_cvt_u32_f32_e32 v2, v2
	v_mul_lo_u32 v3, s3, v2
	s_delay_alu instid0(VALU_DEP_1) | instskip(NEXT) | instid1(VALU_DEP_1)
	v_mul_hi_u32 v3, v2, v3
	v_add_nc_u32_e32 v2, v2, v3
	s_delay_alu instid0(VALU_DEP_1) | instskip(NEXT) | instid1(VALU_DEP_1)
	v_mul_hi_u32 v2, v0, v2
	v_mul_lo_u32 v3, v2, s8
	s_delay_alu instid0(VALU_DEP_1) | instskip(NEXT) | instid1(VALU_DEP_1)
	v_dual_add_nc_u32 v4, 1, v2 :: v_dual_sub_nc_u32 v3, v0, v3
	v_subrev_nc_u32_e32 v5, s8, v3
	v_cmp_le_u32_e32 vcc_lo, s8, v3
	s_delay_alu instid0(VALU_DEP_2) | instskip(NEXT) | instid1(VALU_DEP_4)
	v_dual_cndmask_b32 v3, v3, v5, vcc_lo :: v_dual_mov_b32 v5, 0
	v_cndmask_b32_e32 v2, v2, v4, vcc_lo
	s_delay_alu instid0(VALU_DEP_2) | instskip(NEXT) | instid1(VALU_DEP_2)
	v_cmp_le_u32_e32 vcc_lo, s8, v3
	v_add_nc_u32_e32 v4, 1, v2
	s_delay_alu instid0(VALU_DEP_1)
	v_cndmask_b32_e32 v4, v2, v4, vcc_lo
.LBB8_5:
	s_or_b32 exec_lo, exec_lo, s2
	s_delay_alu instid0(VALU_DEP_1) | instskip(SKIP_1) | instid1(VALU_DEP_1)
	v_dual_mov_b32 v6, 0 :: v_dual_bitop2_b32 v7, s29, v5 bitop3:0x54
                                        ; implicit-def: $vgpr2_vgpr3
	s_mov_b32 s2, exec_lo
	v_cmpx_ne_u64_e32 0, v[6:7]
	s_xor_b32 s3, exec_lo, s2
	s_cbranch_execz .LBB8_7
; %bb.6:
	s_ashr_i32 s6, s29, 31
	s_mov_b32 s43, 0
	s_mov_b32 s7, s6
	v_dual_mov_b32 v11, v6 :: v_dual_ashrrev_i32 v2, 31, v5
	s_add_nc_u64 s[34:35], s[28:29], s[6:7]
	v_dual_mov_b32 v19, v6 :: v_dual_mov_b32 v7, v6
	s_xor_b64 s[34:35], s[34:35], s[6:7]
	s_delay_alu instid0(VALU_DEP_2) | instskip(SKIP_3) | instid1(VALU_DEP_1)
	v_mov_b32_e32 v3, v2
	s_cvt_f32_u32 s2, s34
	s_cvt_f32_u32 s7, s35
	s_sub_nc_u64 s[38:39], 0, s[34:35]
	v_add_nc_u64_e32 v[8:9], v[4:5], v[2:3]
	s_delay_alu instid0(SALU_CYCLE_1) | instskip(SKIP_1) | instid1(SALU_CYCLE_2)
	s_fmamk_f32 s2, s7, 0x4f800000, s2
	v_mov_b32_e32 v13, v6
	v_s_rcp_f32 s2, s2
	s_delay_alu instid0(VALU_DEP_2) | instskip(NEXT) | instid1(VALU_DEP_3)
	v_xor_b32_e32 v10, v8, v2
	v_xor_b32_e32 v12, v9, v2
	;; [unrolled: 1-line block ×3, first 2 shown]
	s_delay_alu instid0(TRANS32_DEP_1) | instskip(NEXT) | instid1(SALU_CYCLE_3)
	s_mul_f32 s2, s2, 0x5f7ffffc
	s_mul_f32 s7, s2, 0x2f800000
	s_delay_alu instid0(SALU_CYCLE_3) | instskip(NEXT) | instid1(SALU_CYCLE_3)
	s_trunc_f32 s7, s7
	s_fmamk_f32 s2, s7, 0xcf800000, s2
	s_cvt_u32_f32 s37, s7
	s_delay_alu instid0(SALU_CYCLE_2) | instskip(NEXT) | instid1(SALU_CYCLE_3)
	s_cvt_u32_f32 s36, s2
	s_mul_u64 s[40:41], s[38:39], s[36:37]
	s_delay_alu instid0(SALU_CYCLE_1)
	s_mul_hi_u32 s45, s36, s41
	s_mul_i32 s44, s36, s41
	s_mul_hi_u32 s42, s36, s40
	s_mul_i32 s7, s37, s40
	s_add_nc_u64 s[44:45], s[42:43], s[44:45]
	s_mul_hi_u32 s2, s37, s40
	s_mul_hi_u32 s33, s37, s41
	s_add_co_u32 s7, s44, s7
	s_add_co_ci_u32 s42, s45, s2
	s_mul_i32 s40, s37, s41
	s_add_co_ci_u32 s41, s33, 0
	s_delay_alu instid0(SALU_CYCLE_1) | instskip(NEXT) | instid1(SALU_CYCLE_1)
	s_add_nc_u64 s[40:41], s[42:43], s[40:41]
	s_add_co_u32 s36, s36, s40
	s_cselect_b32 s2, -1, 0
	s_delay_alu instid0(SALU_CYCLE_1) | instskip(SKIP_1) | instid1(SALU_CYCLE_1)
	s_cmp_lg_u32 s2, 0
	s_add_co_ci_u32 s37, s37, s41
	s_mul_u64 s[38:39], s[38:39], s[36:37]
	s_delay_alu instid0(SALU_CYCLE_1)
	s_mul_hi_u32 s41, s36, s39
	s_mul_i32 s40, s36, s39
	s_mul_hi_u32 s42, s36, s38
	s_mul_i32 s7, s37, s38
	s_add_nc_u64 s[40:41], s[42:43], s[40:41]
	s_mul_hi_u32 s2, s37, s38
	s_mul_hi_u32 s33, s37, s39
	s_add_co_u32 s7, s40, s7
	s_add_co_ci_u32 s42, s41, s2
	s_mul_i32 s38, s37, s39
	s_add_co_ci_u32 s39, s33, 0
	s_delay_alu instid0(SALU_CYCLE_1) | instskip(NEXT) | instid1(SALU_CYCLE_1)
	s_add_nc_u64 s[38:39], s[42:43], s[38:39]
	s_add_co_u32 s2, s36, s38
	s_cselect_b32 s7, -1, 0
	v_mul_hi_u32 v18, v10, s2
	s_cmp_lg_u32 s7, 0
	s_add_co_ci_u32 s42, s37, s39
	s_mov_b64 s[36:37], 0xffffffff
	v_mul_u64_e32 v[14:15], s[42:43], v[10:11]
	s_and_b64 s[36:37], s[2:3], s[36:37]
	v_mul_u64_e32 v[16:17], s[42:43], v[12:13]
	v_mul_u64_e32 v[8:9], s[36:37], v[12:13]
	s_delay_alu instid0(VALU_DEP_3) | instskip(NEXT) | instid1(VALU_DEP_1)
	v_add_nc_u64_e32 v[14:15], v[18:19], v[14:15]
	v_add_co_u32 v3, vcc_lo, v14, v8
	s_delay_alu instid0(VALU_DEP_2) | instskip(SKIP_1) | instid1(VALU_DEP_1)
	v_add_co_ci_u32_e32 v6, vcc_lo, v15, v9, vcc_lo
	v_add_co_ci_u32_e32 v17, vcc_lo, 0, v17, vcc_lo
	v_add_nc_u64_e32 v[6:7], v[6:7], v[16:17]
	s_delay_alu instid0(VALU_DEP_1) | instskip(NEXT) | instid1(VALU_DEP_1)
	v_mul_u64_e32 v[8:9], s[34:35], v[6:7]
	v_sub_nc_u32_e32 v3, v12, v9
	s_delay_alu instid0(VALU_DEP_2) | instskip(NEXT) | instid1(VALU_DEP_1)
	v_sub_co_u32 v8, vcc_lo, v10, v8
	v_sub_co_ci_u32_e64 v12, null, v12, v9, vcc_lo
	s_delay_alu instid0(VALU_DEP_3) | instskip(NEXT) | instid1(VALU_DEP_3)
	v_subrev_co_ci_u32_e64 v3, null, s35, v3, vcc_lo
	v_sub_co_u32 v10, s2, v8, s34
	s_delay_alu instid0(VALU_DEP_1) | instskip(NEXT) | instid1(VALU_DEP_2)
	v_subrev_co_ci_u32_e64 v3, null, 0, v3, s2
	v_cmp_le_u32_e32 vcc_lo, s34, v10
	v_cndmask_b32_e64 v9, 0, -1, vcc_lo
	s_delay_alu instid0(VALU_DEP_3)
	v_cmp_le_u32_e32 vcc_lo, s35, v3
	v_cndmask_b32_e64 v10, 0, -1, vcc_lo
	v_cmp_le_u32_e32 vcc_lo, s34, v8
	v_cndmask_b32_e64 v13, 0, -1, vcc_lo
	;; [unrolled: 2-line block ×3, first 2 shown]
	v_cmp_eq_u32_e32 vcc_lo, s35, v3
	v_cndmask_b32_e32 v3, v10, v9, vcc_lo
	v_cmp_eq_u32_e32 vcc_lo, s35, v12
	v_add_nc_u64_e32 v[8:9], 2, v[6:7]
	v_add_nc_u64_e32 v[10:11], 1, v[6:7]
	v_cndmask_b32_e32 v12, v14, v13, vcc_lo
	v_cmp_ne_u32_e32 vcc_lo, 0, v3
	s_delay_alu instid0(VALU_DEP_2) | instskip(NEXT) | instid1(VALU_DEP_4)
	v_cmp_ne_u32_e64 s2, 0, v12
	v_dual_cndmask_b32 v8, v10, v8 :: v_dual_cndmask_b32 v3, v11, v9
	s_delay_alu instid0(VALU_DEP_1) | instskip(SKIP_1) | instid1(VALU_DEP_2)
	v_dual_cndmask_b32 v6, v6, v8, s2 :: v_dual_cndmask_b32 v7, v7, v3, s2
	v_mov_b32_e32 v3, v2
	v_xor_b32_e32 v6, v6, v2
	s_delay_alu instid0(VALU_DEP_3) | instskip(NEXT) | instid1(VALU_DEP_1)
	v_xor_b32_e32 v7, v7, v2
	v_sub_nc_u64_e32 v[2:3], v[6:7], v[2:3]
.LBB8_7:
	s_and_not1_saveexec_b32 s2, s3
	s_cbranch_execz .LBB8_9
; %bb.8:
	v_cvt_f32_u32_e32 v2, s28
	s_sub_co_i32 s3, 0, s28
	s_delay_alu instid0(VALU_DEP_1) | instskip(SKIP_1) | instid1(TRANS32_DEP_1)
	v_rcp_iflag_f32_e32 v2, v2
	v_nop
	v_mul_f32_e32 v2, 0x4f7ffffe, v2
	s_delay_alu instid0(VALU_DEP_1) | instskip(NEXT) | instid1(VALU_DEP_1)
	v_cvt_u32_f32_e32 v2, v2
	v_mul_lo_u32 v3, s3, v2
	s_delay_alu instid0(VALU_DEP_1) | instskip(NEXT) | instid1(VALU_DEP_1)
	v_mul_hi_u32 v3, v2, v3
	v_add_nc_u32_e32 v2, v2, v3
	s_delay_alu instid0(VALU_DEP_1) | instskip(NEXT) | instid1(VALU_DEP_1)
	v_mul_hi_u32 v2, v4, v2
	v_mul_lo_u32 v3, v2, s28
	s_delay_alu instid0(VALU_DEP_1) | instskip(NEXT) | instid1(VALU_DEP_1)
	v_sub_nc_u32_e32 v3, v4, v3
	v_subrev_nc_u32_e32 v7, s28, v3
	v_cmp_le_u32_e32 vcc_lo, s28, v3
	s_delay_alu instid0(VALU_DEP_2) | instskip(NEXT) | instid1(VALU_DEP_1)
	v_dual_cndmask_b32 v3, v3, v7 :: v_dual_add_nc_u32 v6, 1, v2
	v_cndmask_b32_e32 v2, v2, v6, vcc_lo
	s_delay_alu instid0(VALU_DEP_2) | instskip(NEXT) | instid1(VALU_DEP_2)
	v_cmp_le_u32_e32 vcc_lo, s28, v3
	v_dual_mov_b32 v3, 0 :: v_dual_add_nc_u32 v6, 1, v2
	s_delay_alu instid0(VALU_DEP_1)
	v_cndmask_b32_e32 v2, v2, v6, vcc_lo
.LBB8_9:
	s_or_b32 exec_lo, exec_lo, s2
	s_add_nc_u64 s[2:3], s[28:29], 1
	s_delay_alu instid0(VALU_DEP_1)
	v_mul_u64_e32 v[8:9], s[28:29], v[2:3]
	s_mul_u64 s[2:3], s[18:19], s[2:3]
	v_mov_b64_e32 v[12:13], s[4:5]
	v_mul_u64_e32 v[10:11], s[2:3], v[2:3]
	s_load_b32 s3, s[0:1], 0x0
	s_mov_b32 s6, exec_lo
	s_delay_alu instid0(VALU_DEP_3) | instskip(SKIP_2) | instid1(VALU_DEP_3)
	v_sub_nc_u64_e32 v[6:7], v[4:5], v[8:9]
	v_mul_u64_e32 v[4:5], s[8:9], v[4:5]
	s_wait_kmcnt 0x0
	v_lshl_add_u64 v[10:11], v[10:11], 2, s[26:27]
	s_delay_alu instid0(VALU_DEP_1)
	v_lshl_add_u64 v[10:11], v[6:7], 2, v[10:11]
	global_load_b64 v[10:11], v[10:11], off
	s_wait_loadcnt 0x0
	v_cmpx_lt_i32_e64 v10, v11
	s_cbranch_execz .LBB8_28
; %bb.10:
	v_mul_u64_e32 v[12:13], s[12:13], v[2:3]
	v_dual_mov_b32 v14, v10 :: v_dual_ashrrev_i32 v15, 31, v10
	v_lshlrev_b64_e32 v[16:17], 3, v[0:1]
	s_cmp_lg_u32 s3, 0
	s_mov_b32 s8, 0
	s_cselect_b32 s7, -1, 0
	v_lshlrev_b64_e32 v[14:15], 3, v[14:15]
	s_and_b32 s2, s3, -3
	s_delay_alu instid0(SALU_CYCLE_1) | instskip(SKIP_1) | instid1(VALU_DEP_1)
	s_cmp_lg_u32 s2, 1
	s_cselect_b32 s9, -1, 0
	v_lshl_add_u64 v[12:13], v[12:13], 3, v[14:15]
	s_delay_alu instid0(VALU_DEP_1) | instskip(SKIP_2) | instid1(VALU_DEP_2)
	v_mad_nc_u64_u32 v[14:15], s10, v12, v[16:17]
	v_mov_b64_e32 v[16:17], s[4:5]
	s_lshl_b64 s[4:5], s[10:11], 3
	v_mad_u32 v12, s11, v12, v15
	s_delay_alu instid0(VALU_DEP_1) | instskip(SKIP_1) | instid1(VALU_DEP_1)
	v_mad_u32 v15, s10, v13, v12
	v_lshlrev_b64_e32 v[12:13], 3, v[4:5]
	v_sub_nc_u64_e32 v[12:13], v[14:15], v[12:13]
	s_delay_alu instid0(VALU_DEP_1)
	v_add_nc_u64_e32 v[14:15], s[22:23], v[12:13]
	s_branch .LBB8_12
.LBB8_11:                               ;   in Loop: Header=BB8_12 Depth=1
	v_add_nc_u32_e32 v10, 1, v10
	s_wait_xcnt 0x0
	v_add_nc_u64_e32 v[14:15], s[4:5], v[14:15]
	s_delay_alu instid0(VALU_DEP_3) | instskip(NEXT) | instid1(VALU_DEP_3)
	v_mov_b64_e32 v[16:17], v[12:13]
	v_cmp_ge_i32_e32 vcc_lo, v10, v11
	s_or_b32 s8, vcc_lo, s8
	s_delay_alu instid0(SALU_CYCLE_1)
	s_and_not1_b32 exec_lo, exec_lo, s8
	s_cbranch_execz .LBB8_27
.LBB8_12:                               ; =>This Inner Loop Header: Depth=1
	s_wait_loadcnt 0x0
	global_load_b64 v[18:19], v[14:15], off
	s_and_b32 vcc_lo, exec_lo, s7
	s_cbranch_vccz .LBB8_25
; %bb.13:                               ;   in Loop: Header=BB8_12 Depth=1
	s_and_b32 vcc_lo, exec_lo, s9
	s_mov_b32 s2, -1
                                        ; implicit-def: $vgpr12_vgpr13
	s_cbranch_vccz .LBB8_22
; %bb.14:                               ;   in Loop: Header=BB8_12 Depth=1
	s_cmp_lt_i32 s3, 4
                                        ; implicit-def: $vgpr12_vgpr13
	s_cbranch_scc1 .LBB8_18
; %bb.15:                               ;   in Loop: Header=BB8_12 Depth=1
	v_mov_b64_e32 v[12:13], v[16:17]
	s_cmp_eq_u32 s3, 4
	s_cbranch_scc0 .LBB8_17
; %bb.16:                               ;   in Loop: Header=BB8_12 Depth=1
	s_wait_loadcnt 0x0
	v_mul_f64_e32 v[12:13], v[18:19], v[16:17]
.LBB8_17:                               ;   in Loop: Header=BB8_12 Depth=1
	s_mov_b32 s2, 0
.LBB8_18:                               ;   in Loop: Header=BB8_12 Depth=1
	s_delay_alu instid0(SALU_CYCLE_1)
	s_and_not1_b32 vcc_lo, exec_lo, s2
	s_cbranch_vccnz .LBB8_21
; %bb.19:                               ;   in Loop: Header=BB8_12 Depth=1
	v_mov_b64_e32 v[12:13], v[16:17]
	s_cmp_lg_u32 s3, 2
	s_cbranch_scc1 .LBB8_21
; %bb.20:                               ;   in Loop: Header=BB8_12 Depth=1
	s_wait_loadcnt 0x0
	v_cmp_u_f64_e32 vcc_lo, v[18:19], v[18:19]
	v_cmp_lt_f64_e64 s2, v[18:19], v[16:17]
	s_or_b32 vcc_lo, vcc_lo, s2
	v_dual_cndmask_b32 v13, v17, v19 :: v_dual_cndmask_b32 v12, v16, v18
.LBB8_21:                               ;   in Loop: Header=BB8_12 Depth=1
	s_mov_b32 s2, 0
.LBB8_22:                               ;   in Loop: Header=BB8_12 Depth=1
	s_delay_alu instid0(SALU_CYCLE_1)
	s_and_b32 vcc_lo, exec_lo, s2
	s_cbranch_vccz .LBB8_24
; %bb.23:                               ;   in Loop: Header=BB8_12 Depth=1
	s_wait_loadcnt 0x0
	v_add_f64_e32 v[12:13], v[18:19], v[16:17]
.LBB8_24:                               ;   in Loop: Header=BB8_12 Depth=1
	s_cbranch_execnz .LBB8_11
	s_branch .LBB8_26
.LBB8_25:                               ;   in Loop: Header=BB8_12 Depth=1
                                        ; implicit-def: $vgpr12_vgpr13
.LBB8_26:                               ;   in Loop: Header=BB8_12 Depth=1
	s_wait_loadcnt 0x0
	v_cmp_u_f64_e32 vcc_lo, v[18:19], v[18:19]
	v_cmp_lt_f64_e64 s2, v[16:17], v[18:19]
	s_or_b32 vcc_lo, vcc_lo, s2
	v_dual_cndmask_b32 v13, v17, v19 :: v_dual_cndmask_b32 v12, v16, v18
	s_branch .LBB8_11
.LBB8_27:
	s_or_b32 exec_lo, exec_lo, s8
.LBB8_28:
	s_delay_alu instid0(SALU_CYCLE_1) | instskip(SKIP_2) | instid1(VALU_DEP_1)
	s_or_b32 exec_lo, exec_lo, s6
	v_mul_u64_e32 v[8:9], s[30:31], v[8:9]
	s_mov_b32 s2, exec_lo
	v_lshl_add_u64 v[8:9], v[8:9], 2, s[24:25]
	s_delay_alu instid0(VALU_DEP_1)
	v_lshl_add_u64 v[8:9], v[6:7], 2, v[8:9]
	global_load_b32 v10, v[8:9], off
	s_wait_loadcnt 0x0
	v_cmpx_lt_i32_e32 -1, v10
	s_xor_b32 s2, exec_lo, s2
	s_cbranch_execz .LBB8_34
; %bb.29:
	s_load_b32 s0, s[0:1], 0x38
	v_cmp_ne_u32_e32 vcc_lo, 0, v10
	v_mov_b64_e32 v[8:9], 0x7ff8000000000000
	s_wait_kmcnt 0x0
	s_bitcmp1_b32 s0, 0
	s_cselect_b32 s0, -1, 0
	s_delay_alu instid0(SALU_CYCLE_1) | instskip(SKIP_2) | instid1(SALU_CYCLE_1)
	s_or_b32 s0, s0, vcc_lo
	s_cmp_lg_u32 s3, 1
	s_cselect_b32 s3, -1, 0
	s_or_b32 s0, s3, s0
	s_delay_alu instid0(SALU_CYCLE_1)
	s_and_saveexec_b32 s1, s0
	s_cbranch_execz .LBB8_33
; %bb.30:
	v_cmp_o_f64_e32 vcc_lo, v[12:13], v[12:13]
	v_cmp_ne_u32_e64 s0, 0, v10
	s_xor_b32 s3, s3, -1
	s_delay_alu instid0(SALU_CYCLE_1) | instskip(NEXT) | instid1(SALU_CYCLE_1)
	s_and_b32 s0, s3, s0
	s_and_b32 s3, s0, vcc_lo
	s_delay_alu instid0(SALU_CYCLE_1)
	s_and_saveexec_b32 s0, s3
	s_cbranch_execz .LBB8_32
; %bb.31:
	v_cvt_f64_u32_e32 v[8:9], v10
	s_delay_alu instid0(VALU_DEP_1) | instskip(NEXT) | instid1(VALU_DEP_1)
	v_div_scale_f64 v[10:11], null, v[8:9], v[8:9], v[12:13]
	v_rcp_f64_e32 v[14:15], v[10:11]
	v_nop
	s_delay_alu instid0(TRANS32_DEP_1) | instskip(NEXT) | instid1(VALU_DEP_1)
	v_fma_f64 v[16:17], -v[10:11], v[14:15], 1.0
	v_fmac_f64_e32 v[14:15], v[14:15], v[16:17]
	s_delay_alu instid0(VALU_DEP_1) | instskip(NEXT) | instid1(VALU_DEP_1)
	v_fma_f64 v[16:17], -v[10:11], v[14:15], 1.0
	v_fmac_f64_e32 v[14:15], v[14:15], v[16:17]
	v_div_scale_f64 v[16:17], vcc_lo, v[12:13], v[8:9], v[12:13]
	s_delay_alu instid0(VALU_DEP_1) | instskip(NEXT) | instid1(VALU_DEP_1)
	v_mul_f64_e32 v[18:19], v[16:17], v[14:15]
	v_fma_f64 v[10:11], -v[10:11], v[18:19], v[16:17]
	s_delay_alu instid0(VALU_DEP_1) | instskip(NEXT) | instid1(VALU_DEP_1)
	v_div_fmas_f64 v[10:11], v[10:11], v[14:15], v[18:19]
	v_div_fixup_f64 v[12:13], v[10:11], v[8:9], v[12:13]
.LBB8_32:
	s_or_b32 exec_lo, exec_lo, s0
	s_delay_alu instid0(VALU_DEP_1)
	v_mov_b64_e32 v[8:9], v[12:13]
.LBB8_33:
	s_or_b32 exec_lo, exec_lo, s1
	s_mul_u64 s[0:1], s[16:17], s[14:15]
	v_mul_u64_e32 v[6:7], s[14:15], v[6:7]
	v_mul_u64_e32 v[2:3], s[0:1], v[2:3]
	v_sub_nc_u64_e32 v[0:1], v[0:1], v[4:5]
	s_delay_alu instid0(VALU_DEP_2) | instskip(NEXT) | instid1(VALU_DEP_1)
	v_lshl_add_u64 v[2:3], v[2:3], 3, s[20:21]
	v_lshl_add_u64 v[2:3], v[6:7], 3, v[2:3]
	s_delay_alu instid0(VALU_DEP_1)
	v_lshl_add_u64 v[0:1], v[0:1], 3, v[2:3]
	global_store_b64 v[0:1], v[8:9], off
.LBB8_34:
	s_wait_xcnt 0x0
	s_and_not1_saveexec_b32 s0, s2
	s_cbranch_execnz .LBB8_36
.LBB8_35:
	s_endpgm
.LBB8_36:
	s_trap 2
	; divergent unreachable
	s_endpgm
	.section	.rodata,"a",@progbits
	.p2align	6, 0x0
	.amdhsa_kernel _ZN2at6native12_GLOBAL__N_129segment_reduce_forward_kernelIdiEEvNS0_13ReductionTypeEPT_PKS4_PKT0_SA_llbS4_lllllll
		.amdhsa_group_segment_fixed_size 0
		.amdhsa_private_segment_fixed_size 0
		.amdhsa_kernarg_size 384
		.amdhsa_user_sgpr_count 2
		.amdhsa_user_sgpr_dispatch_ptr 0
		.amdhsa_user_sgpr_queue_ptr 0
		.amdhsa_user_sgpr_kernarg_segment_ptr 1
		.amdhsa_user_sgpr_dispatch_id 0
		.amdhsa_user_sgpr_kernarg_preload_length 0
		.amdhsa_user_sgpr_kernarg_preload_offset 0
		.amdhsa_user_sgpr_private_segment_size 0
		.amdhsa_wavefront_size32 1
		.amdhsa_uses_dynamic_stack 0
		.amdhsa_enable_private_segment 0
		.amdhsa_system_sgpr_workgroup_id_x 1
		.amdhsa_system_sgpr_workgroup_id_y 0
		.amdhsa_system_sgpr_workgroup_id_z 0
		.amdhsa_system_sgpr_workgroup_info 0
		.amdhsa_system_vgpr_workitem_id 0
		.amdhsa_next_free_vgpr 20
		.amdhsa_next_free_sgpr 46
		.amdhsa_named_barrier_count 0
		.amdhsa_reserve_vcc 1
		.amdhsa_float_round_mode_32 0
		.amdhsa_float_round_mode_16_64 0
		.amdhsa_float_denorm_mode_32 3
		.amdhsa_float_denorm_mode_16_64 3
		.amdhsa_fp16_overflow 0
		.amdhsa_memory_ordered 1
		.amdhsa_forward_progress 1
		.amdhsa_inst_pref_size 20
		.amdhsa_round_robin_scheduling 0
		.amdhsa_exception_fp_ieee_invalid_op 0
		.amdhsa_exception_fp_denorm_src 0
		.amdhsa_exception_fp_ieee_div_zero 0
		.amdhsa_exception_fp_ieee_overflow 0
		.amdhsa_exception_fp_ieee_underflow 0
		.amdhsa_exception_fp_ieee_inexact 0
		.amdhsa_exception_int_div_zero 0
	.end_amdhsa_kernel
	.section	.text._ZN2at6native12_GLOBAL__N_129segment_reduce_forward_kernelIdiEEvNS0_13ReductionTypeEPT_PKS4_PKT0_SA_llbS4_lllllll,"axG",@progbits,_ZN2at6native12_GLOBAL__N_129segment_reduce_forward_kernelIdiEEvNS0_13ReductionTypeEPT_PKS4_PKT0_SA_llbS4_lllllll,comdat
.Lfunc_end8:
	.size	_ZN2at6native12_GLOBAL__N_129segment_reduce_forward_kernelIdiEEvNS0_13ReductionTypeEPT_PKS4_PKT0_SA_llbS4_lllllll, .Lfunc_end8-_ZN2at6native12_GLOBAL__N_129segment_reduce_forward_kernelIdiEEvNS0_13ReductionTypeEPT_PKS4_PKT0_SA_llbS4_lllllll
                                        ; -- End function
	.set _ZN2at6native12_GLOBAL__N_129segment_reduce_forward_kernelIdiEEvNS0_13ReductionTypeEPT_PKS4_PKT0_SA_llbS4_lllllll.num_vgpr, 20
	.set _ZN2at6native12_GLOBAL__N_129segment_reduce_forward_kernelIdiEEvNS0_13ReductionTypeEPT_PKS4_PKT0_SA_llbS4_lllllll.num_agpr, 0
	.set _ZN2at6native12_GLOBAL__N_129segment_reduce_forward_kernelIdiEEvNS0_13ReductionTypeEPT_PKS4_PKT0_SA_llbS4_lllllll.numbered_sgpr, 46
	.set _ZN2at6native12_GLOBAL__N_129segment_reduce_forward_kernelIdiEEvNS0_13ReductionTypeEPT_PKS4_PKT0_SA_llbS4_lllllll.num_named_barrier, 0
	.set _ZN2at6native12_GLOBAL__N_129segment_reduce_forward_kernelIdiEEvNS0_13ReductionTypeEPT_PKS4_PKT0_SA_llbS4_lllllll.private_seg_size, 0
	.set _ZN2at6native12_GLOBAL__N_129segment_reduce_forward_kernelIdiEEvNS0_13ReductionTypeEPT_PKS4_PKT0_SA_llbS4_lllllll.uses_vcc, 1
	.set _ZN2at6native12_GLOBAL__N_129segment_reduce_forward_kernelIdiEEvNS0_13ReductionTypeEPT_PKS4_PKT0_SA_llbS4_lllllll.uses_flat_scratch, 0
	.set _ZN2at6native12_GLOBAL__N_129segment_reduce_forward_kernelIdiEEvNS0_13ReductionTypeEPT_PKS4_PKT0_SA_llbS4_lllllll.has_dyn_sized_stack, 0
	.set _ZN2at6native12_GLOBAL__N_129segment_reduce_forward_kernelIdiEEvNS0_13ReductionTypeEPT_PKS4_PKT0_SA_llbS4_lllllll.has_recursion, 0
	.set _ZN2at6native12_GLOBAL__N_129segment_reduce_forward_kernelIdiEEvNS0_13ReductionTypeEPT_PKS4_PKT0_SA_llbS4_lllllll.has_indirect_call, 0
	.section	.AMDGPU.csdata,"",@progbits
; Kernel info:
; codeLenInByte = 2452
; TotalNumSgprs: 48
; NumVgprs: 20
; ScratchSize: 0
; MemoryBound: 0
; FloatMode: 240
; IeeeMode: 1
; LDSByteSize: 0 bytes/workgroup (compile time only)
; SGPRBlocks: 0
; VGPRBlocks: 1
; NumSGPRsForWavesPerEU: 48
; NumVGPRsForWavesPerEU: 20
; NamedBarCnt: 0
; Occupancy: 16
; WaveLimiterHint : 0
; COMPUTE_PGM_RSRC2:SCRATCH_EN: 0
; COMPUTE_PGM_RSRC2:USER_SGPR: 2
; COMPUTE_PGM_RSRC2:TRAP_HANDLER: 0
; COMPUTE_PGM_RSRC2:TGID_X_EN: 1
; COMPUTE_PGM_RSRC2:TGID_Y_EN: 0
; COMPUTE_PGM_RSRC2:TGID_Z_EN: 0
; COMPUTE_PGM_RSRC2:TIDIG_COMP_CNT: 0
	.section	.text._ZN7rocprim17ROCPRIM_400000_NS6detail17trampoline_kernelINS0_14default_configENS1_32segmented_reduce_config_selectorIdEEZNS1_21segmented_reduce_implIS3_PKdPdPKidN6hipcub16HIPCUB_304000_NS6detail27convert_result_type_wrapperIS8_S9_N2at6native12_GLOBAL__N_19CustomMaxEEEEE10hipError_tPvRmT0_T1_jT2_SQ_T4_T3_P12ihipStream_tbEUlT_E_NS1_11comp_targetILNS1_3genE0ELNS1_11target_archE4294967295ELNS1_3gpuE0ELNS1_3repE0EEENS1_30default_config_static_selectorELNS0_4arch9wavefront6targetE0EEEvSP_,"axG",@progbits,_ZN7rocprim17ROCPRIM_400000_NS6detail17trampoline_kernelINS0_14default_configENS1_32segmented_reduce_config_selectorIdEEZNS1_21segmented_reduce_implIS3_PKdPdPKidN6hipcub16HIPCUB_304000_NS6detail27convert_result_type_wrapperIS8_S9_N2at6native12_GLOBAL__N_19CustomMaxEEEEE10hipError_tPvRmT0_T1_jT2_SQ_T4_T3_P12ihipStream_tbEUlT_E_NS1_11comp_targetILNS1_3genE0ELNS1_11target_archE4294967295ELNS1_3gpuE0ELNS1_3repE0EEENS1_30default_config_static_selectorELNS0_4arch9wavefront6targetE0EEEvSP_,comdat
	.globl	_ZN7rocprim17ROCPRIM_400000_NS6detail17trampoline_kernelINS0_14default_configENS1_32segmented_reduce_config_selectorIdEEZNS1_21segmented_reduce_implIS3_PKdPdPKidN6hipcub16HIPCUB_304000_NS6detail27convert_result_type_wrapperIS8_S9_N2at6native12_GLOBAL__N_19CustomMaxEEEEE10hipError_tPvRmT0_T1_jT2_SQ_T4_T3_P12ihipStream_tbEUlT_E_NS1_11comp_targetILNS1_3genE0ELNS1_11target_archE4294967295ELNS1_3gpuE0ELNS1_3repE0EEENS1_30default_config_static_selectorELNS0_4arch9wavefront6targetE0EEEvSP_ ; -- Begin function _ZN7rocprim17ROCPRIM_400000_NS6detail17trampoline_kernelINS0_14default_configENS1_32segmented_reduce_config_selectorIdEEZNS1_21segmented_reduce_implIS3_PKdPdPKidN6hipcub16HIPCUB_304000_NS6detail27convert_result_type_wrapperIS8_S9_N2at6native12_GLOBAL__N_19CustomMaxEEEEE10hipError_tPvRmT0_T1_jT2_SQ_T4_T3_P12ihipStream_tbEUlT_E_NS1_11comp_targetILNS1_3genE0ELNS1_11target_archE4294967295ELNS1_3gpuE0ELNS1_3repE0EEENS1_30default_config_static_selectorELNS0_4arch9wavefront6targetE0EEEvSP_
	.p2align	8
	.type	_ZN7rocprim17ROCPRIM_400000_NS6detail17trampoline_kernelINS0_14default_configENS1_32segmented_reduce_config_selectorIdEEZNS1_21segmented_reduce_implIS3_PKdPdPKidN6hipcub16HIPCUB_304000_NS6detail27convert_result_type_wrapperIS8_S9_N2at6native12_GLOBAL__N_19CustomMaxEEEEE10hipError_tPvRmT0_T1_jT2_SQ_T4_T3_P12ihipStream_tbEUlT_E_NS1_11comp_targetILNS1_3genE0ELNS1_11target_archE4294967295ELNS1_3gpuE0ELNS1_3repE0EEENS1_30default_config_static_selectorELNS0_4arch9wavefront6targetE0EEEvSP_,@function
_ZN7rocprim17ROCPRIM_400000_NS6detail17trampoline_kernelINS0_14default_configENS1_32segmented_reduce_config_selectorIdEEZNS1_21segmented_reduce_implIS3_PKdPdPKidN6hipcub16HIPCUB_304000_NS6detail27convert_result_type_wrapperIS8_S9_N2at6native12_GLOBAL__N_19CustomMaxEEEEE10hipError_tPvRmT0_T1_jT2_SQ_T4_T3_P12ihipStream_tbEUlT_E_NS1_11comp_targetILNS1_3genE0ELNS1_11target_archE4294967295ELNS1_3gpuE0ELNS1_3repE0EEENS1_30default_config_static_selectorELNS0_4arch9wavefront6targetE0EEEvSP_: ; @_ZN7rocprim17ROCPRIM_400000_NS6detail17trampoline_kernelINS0_14default_configENS1_32segmented_reduce_config_selectorIdEEZNS1_21segmented_reduce_implIS3_PKdPdPKidN6hipcub16HIPCUB_304000_NS6detail27convert_result_type_wrapperIS8_S9_N2at6native12_GLOBAL__N_19CustomMaxEEEEE10hipError_tPvRmT0_T1_jT2_SQ_T4_T3_P12ihipStream_tbEUlT_E_NS1_11comp_targetILNS1_3genE0ELNS1_11target_archE4294967295ELNS1_3gpuE0ELNS1_3repE0EEENS1_30default_config_static_selectorELNS0_4arch9wavefront6targetE0EEEvSP_
; %bb.0:
	s_clause 0x1
	s_load_b256 s[4:11], s[0:1], 0x0
	s_load_b64 s[14:15], s[0:1], 0x20
	s_bfe_u32 s2, ttmp6, 0x4000c
	s_and_b32 s3, ttmp6, 15
	s_add_co_i32 s2, s2, 1
	s_getreg_b32 s16, hwreg(HW_REG_IB_STS2, 6, 4)
	s_mul_i32 s2, ttmp9, s2
	s_load_b64 s[12:13], s[0:1], 0x30
	s_add_co_i32 s3, s3, s2
	v_cmp_eq_u32_e32 vcc_lo, 0, v0
	s_wait_kmcnt 0x0
	s_lshl_b64 s[0:1], s[8:9], 2
	s_cmp_eq_u32 s16, 0
	s_add_nc_u64 s[16:17], s[10:11], s[0:1]
	s_cselect_b32 s2, ttmp9, s3
	s_add_nc_u64 s[0:1], s[14:15], s[0:1]
	s_load_b32 s10, s[16:17], s2 offset:0x0 scale_offset
	s_load_b32 s15, s[0:1], s2 offset:0x0 scale_offset
	s_mov_b32 s3, 0
	s_wait_xcnt 0x0
	s_mov_b32 s0, -1
	s_mov_b32 s14, 0
	s_wait_kmcnt 0x0
	s_cmp_gt_i32 s15, s10
	s_cbranch_scc1 .LBB9_2
; %bb.1:
	s_mov_b32 s0, 0
	s_and_b32 s14, vcc_lo, exec_lo
.LBB9_2:
	s_and_not1_b32 vcc_lo, exec_lo, s0
	s_cbranch_vccnz .LBB9_67
; %bb.3:
	s_add_co_i32 s0, s10, 0x800
	s_delay_alu instid0(SALU_CYCLE_1)
	s_cmp_le_i32 s0, s15
	s_cbranch_scc0 .LBB9_68
; %bb.4:
	s_ashr_i32 s11, s10, 31
	s_mov_b32 s1, exec_lo
	s_lshl_b64 s[16:17], s[10:11], 3
	s_delay_alu instid0(SALU_CYCLE_1)
	s_add_nc_u64 s[16:17], s[4:5], s[16:17]
	s_clause 0x7
	global_load_b64 v[18:19], v0, s[16:17] scale_offset
	global_load_b64 v[16:17], v0, s[16:17] offset:2048 scale_offset
	global_load_b64 v[14:15], v0, s[16:17] offset:4096 scale_offset
	;; [unrolled: 1-line block ×7, first 2 shown]
	s_wait_loadcnt 0x7
	v_mov_b64_e32 v[10:11], v[18:19]
	s_wait_xcnt 0x0
	v_cmpx_o_f64_e32 v[18:19], v[18:19]
	s_cbranch_execz .LBB9_8
; %bb.5:
	s_wait_loadcnt 0x6
	v_mov_b64_e32 v[10:11], v[16:17]
	s_mov_b32 s11, exec_lo
	v_cmpx_o_f64_e32 v[16:17], v[16:17]
	s_cbranch_execz .LBB9_7
; %bb.6:
	v_cmp_lt_f64_e32 vcc_lo, v[18:19], v[16:17]
	v_dual_cndmask_b32 v11, v19, v17 :: v_dual_cndmask_b32 v10, v18, v16
.LBB9_7:
	s_or_b32 exec_lo, exec_lo, s11
.LBB9_8:
	s_delay_alu instid0(SALU_CYCLE_1) | instskip(NEXT) | instid1(SALU_CYCLE_1)
	s_or_b32 exec_lo, exec_lo, s1
	s_mov_b32 s1, exec_lo
	s_delay_alu instid0(VALU_DEP_1)
	v_cmpx_o_f64_e32 v[10:11], v[10:11]
	s_cbranch_execz .LBB9_12
; %bb.9:
	s_wait_loadcnt 0x5
	v_mov_b64_e32 v[20:21], v[14:15]
	s_mov_b32 s11, exec_lo
	v_cmpx_o_f64_e32 v[14:15], v[14:15]
	s_cbranch_execz .LBB9_11
; %bb.10:
	v_cmp_lt_f64_e32 vcc_lo, v[10:11], v[14:15]
	v_dual_cndmask_b32 v21, v11, v15 :: v_dual_cndmask_b32 v20, v10, v14
.LBB9_11:
	s_or_b32 exec_lo, exec_lo, s11
	s_delay_alu instid0(VALU_DEP_1)
	v_mov_b64_e32 v[10:11], v[20:21]
.LBB9_12:
	s_or_b32 exec_lo, exec_lo, s1
	s_delay_alu instid0(SALU_CYCLE_1) | instskip(NEXT) | instid1(VALU_DEP_1)
	s_mov_b32 s1, exec_lo
	v_cmpx_o_f64_e32 v[10:11], v[10:11]
	s_cbranch_execz .LBB9_16
; %bb.13:
	s_wait_loadcnt 0x4
	v_mov_b64_e32 v[20:21], v[12:13]
	s_mov_b32 s11, exec_lo
	v_cmpx_o_f64_e32 v[12:13], v[12:13]
	s_cbranch_execz .LBB9_15
; %bb.14:
	v_cmp_lt_f64_e32 vcc_lo, v[10:11], v[12:13]
	v_dual_cndmask_b32 v21, v11, v13 :: v_dual_cndmask_b32 v20, v10, v12
.LBB9_15:
	s_or_b32 exec_lo, exec_lo, s11
	s_delay_alu instid0(VALU_DEP_1)
	v_mov_b64_e32 v[10:11], v[20:21]
.LBB9_16:
	s_or_b32 exec_lo, exec_lo, s1
	s_delay_alu instid0(SALU_CYCLE_1) | instskip(NEXT) | instid1(VALU_DEP_1)
	s_mov_b32 s1, exec_lo
	v_cmpx_o_f64_e32 v[10:11], v[10:11]
	s_cbranch_execz .LBB9_20
; %bb.17:
	s_wait_loadcnt 0x3
	v_mov_b64_e32 v[20:21], v[8:9]
	s_mov_b32 s11, exec_lo
	v_cmpx_o_f64_e32 v[8:9], v[8:9]
	s_cbranch_execz .LBB9_19
; %bb.18:
	v_cmp_lt_f64_e32 vcc_lo, v[10:11], v[8:9]
	v_dual_cndmask_b32 v21, v11, v9 :: v_dual_cndmask_b32 v20, v10, v8
.LBB9_19:
	s_or_b32 exec_lo, exec_lo, s11
	s_delay_alu instid0(VALU_DEP_1)
	v_mov_b64_e32 v[10:11], v[20:21]
.LBB9_20:
	s_or_b32 exec_lo, exec_lo, s1
	s_delay_alu instid0(SALU_CYCLE_1) | instskip(NEXT) | instid1(VALU_DEP_1)
	s_mov_b32 s1, exec_lo
	v_cmpx_o_f64_e32 v[10:11], v[10:11]
	s_cbranch_execz .LBB9_24
; %bb.21:
	s_wait_loadcnt 0x2
	v_mov_b64_e32 v[20:21], v[6:7]
	s_mov_b32 s11, exec_lo
	v_cmpx_o_f64_e32 v[6:7], v[6:7]
	s_cbranch_execz .LBB9_23
; %bb.22:
	v_cmp_lt_f64_e32 vcc_lo, v[10:11], v[6:7]
	v_dual_cndmask_b32 v21, v11, v7 :: v_dual_cndmask_b32 v20, v10, v6
.LBB9_23:
	s_or_b32 exec_lo, exec_lo, s11
	s_delay_alu instid0(VALU_DEP_1)
	v_mov_b64_e32 v[10:11], v[20:21]
.LBB9_24:
	s_or_b32 exec_lo, exec_lo, s1
	s_delay_alu instid0(SALU_CYCLE_1) | instskip(NEXT) | instid1(VALU_DEP_1)
	s_mov_b32 s1, exec_lo
	v_cmpx_o_f64_e32 v[10:11], v[10:11]
	s_cbranch_execz .LBB9_28
; %bb.25:
	s_wait_loadcnt 0x1
	v_mov_b64_e32 v[20:21], v[4:5]
	s_mov_b32 s11, exec_lo
	v_cmpx_o_f64_e32 v[4:5], v[4:5]
	s_cbranch_execz .LBB9_27
; %bb.26:
	v_cmp_lt_f64_e32 vcc_lo, v[10:11], v[4:5]
	v_dual_cndmask_b32 v21, v11, v5 :: v_dual_cndmask_b32 v20, v10, v4
.LBB9_27:
	s_or_b32 exec_lo, exec_lo, s11
	s_delay_alu instid0(VALU_DEP_1)
	v_mov_b64_e32 v[10:11], v[20:21]
.LBB9_28:
	s_or_b32 exec_lo, exec_lo, s1
	s_delay_alu instid0(SALU_CYCLE_1) | instskip(NEXT) | instid1(VALU_DEP_1)
	s_mov_b32 s1, exec_lo
	v_cmpx_o_f64_e32 v[10:11], v[10:11]
	s_cbranch_execz .LBB9_32
; %bb.29:
	s_wait_loadcnt 0x0
	v_mov_b64_e32 v[20:21], v[2:3]
	s_mov_b32 s11, exec_lo
	v_cmpx_o_f64_e32 v[2:3], v[2:3]
	s_cbranch_execz .LBB9_31
; %bb.30:
	v_cmp_lt_f64_e32 vcc_lo, v[10:11], v[2:3]
	v_dual_cndmask_b32 v21, v11, v3 :: v_dual_cndmask_b32 v20, v10, v2
.LBB9_31:
	s_or_b32 exec_lo, exec_lo, s11
	s_delay_alu instid0(VALU_DEP_1)
	v_mov_b64_e32 v[10:11], v[20:21]
.LBB9_32:
	s_or_b32 exec_lo, exec_lo, s1
	s_add_co_i32 s1, s10, 0x1000
	s_delay_alu instid0(SALU_CYCLE_1)
	s_cmp_ge_i32 s1, s15
	s_cbranch_scc1 .LBB9_69
; %bb.33:
	s_wait_loadcnt 0x0
	v_dual_mov_b32 v3, 0 :: v_dual_lshlrev_b32 v2, 3, v0
	s_delay_alu instid0(VALU_DEP_1)
	v_add_nc_u64_e32 v[20:21], s[4:5], v[2:3]
	s_branch .LBB9_36
.LBB9_34:                               ;   in Loop: Header=BB9_36 Depth=1
	s_or_b32 exec_lo, exec_lo, s11
	s_delay_alu instid0(VALU_DEP_1)
	v_mov_b64_e32 v[10:11], v[22:23]
.LBB9_35:                               ;   in Loop: Header=BB9_36 Depth=1
	s_or_b32 exec_lo, exec_lo, s1
	s_add_co_i32 s1, s0, 0x1000
	s_addk_co_i32 s0, 0x800
	s_cmp_lt_i32 s1, s15
	s_cbranch_scc0 .LBB9_69
.LBB9_36:                               ; =>This Inner Loop Header: Depth=1
	s_ashr_i32 s1, s0, 31
	s_delay_alu instid0(VALU_DEP_1) | instid1(SALU_CYCLE_1)
	v_lshl_add_u64 v[22:23], s[0:1], 3, v[20:21]
	s_mov_b32 s1, exec_lo
	s_wait_loadcnt 0x7
	global_load_b64 v[18:19], v[22:23], off
	s_wait_loadcnt 0x7
	global_load_b64 v[16:17], v[22:23], off offset:2048
	s_wait_loadcnt 0x7
	global_load_b64 v[14:15], v[22:23], off offset:4096
	;; [unrolled: 2-line block ×7, first 2 shown]
	s_wait_xcnt 0x0
	v_cmpx_o_f64_e32 v[10:11], v[10:11]
	s_cbranch_execz .LBB9_40
; %bb.37:                               ;   in Loop: Header=BB9_36 Depth=1
	s_wait_loadcnt 0x7
	v_mov_b64_e32 v[22:23], v[18:19]
	s_mov_b32 s11, exec_lo
	v_cmpx_o_f64_e32 v[18:19], v[18:19]
	s_cbranch_execz .LBB9_39
; %bb.38:                               ;   in Loop: Header=BB9_36 Depth=1
	v_cmp_lt_f64_e32 vcc_lo, v[10:11], v[18:19]
	v_dual_cndmask_b32 v23, v11, v19 :: v_dual_cndmask_b32 v22, v10, v18
.LBB9_39:                               ;   in Loop: Header=BB9_36 Depth=1
	s_or_b32 exec_lo, exec_lo, s11
	s_delay_alu instid0(VALU_DEP_1)
	v_mov_b64_e32 v[10:11], v[22:23]
.LBB9_40:                               ;   in Loop: Header=BB9_36 Depth=1
	s_or_b32 exec_lo, exec_lo, s1
	s_delay_alu instid0(SALU_CYCLE_1) | instskip(NEXT) | instid1(VALU_DEP_1)
	s_mov_b32 s1, exec_lo
	v_cmpx_o_f64_e32 v[10:11], v[10:11]
	s_cbranch_execz .LBB9_44
; %bb.41:                               ;   in Loop: Header=BB9_36 Depth=1
	s_wait_loadcnt 0x6
	v_mov_b64_e32 v[22:23], v[16:17]
	s_mov_b32 s11, exec_lo
	v_cmpx_o_f64_e32 v[16:17], v[16:17]
	s_cbranch_execz .LBB9_43
; %bb.42:                               ;   in Loop: Header=BB9_36 Depth=1
	v_cmp_lt_f64_e32 vcc_lo, v[10:11], v[16:17]
	v_dual_cndmask_b32 v23, v11, v17 :: v_dual_cndmask_b32 v22, v10, v16
.LBB9_43:                               ;   in Loop: Header=BB9_36 Depth=1
	s_or_b32 exec_lo, exec_lo, s11
	s_delay_alu instid0(VALU_DEP_1)
	v_mov_b64_e32 v[10:11], v[22:23]
.LBB9_44:                               ;   in Loop: Header=BB9_36 Depth=1
	s_or_b32 exec_lo, exec_lo, s1
	s_delay_alu instid0(SALU_CYCLE_1) | instskip(NEXT) | instid1(VALU_DEP_1)
	s_mov_b32 s1, exec_lo
	;; [unrolled: 19-line block ×7, first 2 shown]
	v_cmpx_o_f64_e32 v[10:11], v[10:11]
	s_cbranch_execz .LBB9_35
; %bb.65:                               ;   in Loop: Header=BB9_36 Depth=1
	s_wait_loadcnt 0x0
	v_mov_b64_e32 v[22:23], v[2:3]
	s_mov_b32 s11, exec_lo
	v_cmpx_o_f64_e32 v[2:3], v[2:3]
	s_cbranch_execz .LBB9_34
; %bb.66:                               ;   in Loop: Header=BB9_36 Depth=1
	v_cmp_lt_f64_e32 vcc_lo, v[10:11], v[2:3]
	v_dual_cndmask_b32 v23, v11, v3 :: v_dual_cndmask_b32 v22, v10, v2
	s_branch .LBB9_34
.LBB9_67:
	v_mov_b64_e32 v[4:5], s[12:13]
	s_and_saveexec_b32 s0, s14
	s_cbranch_execnz .LBB9_259
	s_branch .LBB9_260
.LBB9_68:
                                        ; implicit-def: $vgpr2_vgpr3
	s_cbranch_execnz .LBB9_154
	s_branch .LBB9_252
.LBB9_69:
	s_ashr_i32 s1, s0, 31
	s_sub_co_i32 s11, s15, s0
	s_lshl_b64 s[0:1], s[0:1], 3
	s_mov_b32 s16, exec_lo
	s_add_nc_u64 s[0:1], s[4:5], s[0:1]
	v_cmpx_gt_u32_e64 s11, v0
	s_cbranch_execz .LBB9_71
; %bb.70:
	s_wait_loadcnt 0x7
	global_load_b64 v[18:19], v0, s[0:1] scale_offset
.LBB9_71:
	s_wait_xcnt 0x0
	s_or_b32 exec_lo, exec_lo, s16
	v_or_b32_e32 v25, 0x100, v0
	s_mov_b32 s16, exec_lo
	s_delay_alu instid0(VALU_DEP_1)
	v_cmpx_gt_u32_e64 s11, v25
	s_cbranch_execz .LBB9_73
; %bb.72:
	s_wait_loadcnt 0x6
	global_load_b64 v[16:17], v0, s[0:1] offset:2048 scale_offset
.LBB9_73:
	s_wait_xcnt 0x0
	s_or_b32 exec_lo, exec_lo, s16
	v_or_b32_e32 v24, 0x200, v0
	s_mov_b32 s16, exec_lo
	s_delay_alu instid0(VALU_DEP_1)
	v_cmpx_gt_u32_e64 s11, v24
	s_cbranch_execz .LBB9_75
; %bb.74:
	s_wait_loadcnt 0x5
	global_load_b64 v[14:15], v0, s[0:1] offset:4096 scale_offset
.LBB9_75:
	;; [unrolled: 11-line block ×7, first 2 shown]
	s_wait_xcnt 0x0
	s_or_b32 exec_lo, exec_lo, s16
	v_cmp_o_f64_e32 vcc_lo, v[10:11], v[10:11]
	v_cmp_gt_u32_e64 s0, s11, v0
	s_and_b32 s1, s0, vcc_lo
	s_delay_alu instid0(SALU_CYCLE_1)
	s_and_saveexec_b32 s0, s1
	s_cbranch_execz .LBB9_89
; %bb.86:
	s_mov_b32 s1, exec_lo
	s_wait_loadcnt 0x0
	v_cmpx_o_f64_e32 v[18:19], v[18:19]
	s_cbranch_execz .LBB9_88
; %bb.87:
	v_cmp_lt_f64_e32 vcc_lo, v[10:11], v[18:19]
	v_dual_cndmask_b32 v19, v11, v19 :: v_dual_cndmask_b32 v18, v10, v18
.LBB9_88:
	s_or_b32 exec_lo, exec_lo, s1
	s_delay_alu instid0(VALU_DEP_1)
	v_mov_b64_e32 v[10:11], v[18:19]
.LBB9_89:
	s_or_b32 exec_lo, exec_lo, s0
	s_delay_alu instid0(VALU_DEP_1) | instskip(SKIP_2) | instid1(SALU_CYCLE_1)
	v_cmp_o_f64_e32 vcc_lo, v[10:11], v[10:11]
	v_cmp_gt_u32_e64 s0, s11, v25
	s_and_b32 s1, s0, vcc_lo
	s_and_saveexec_b32 s0, s1
	s_cbranch_execz .LBB9_93
; %bb.90:
	s_mov_b32 s1, exec_lo
	s_wait_loadcnt 0x0
	v_cmpx_o_f64_e32 v[16:17], v[16:17]
	s_cbranch_execz .LBB9_92
; %bb.91:
	v_cmp_lt_f64_e32 vcc_lo, v[10:11], v[16:17]
	v_dual_cndmask_b32 v17, v11, v17 :: v_dual_cndmask_b32 v16, v10, v16
.LBB9_92:
	s_or_b32 exec_lo, exec_lo, s1
	s_delay_alu instid0(VALU_DEP_1)
	v_mov_b64_e32 v[10:11], v[16:17]
.LBB9_93:
	s_or_b32 exec_lo, exec_lo, s0
	s_delay_alu instid0(VALU_DEP_1) | instskip(SKIP_2) | instid1(SALU_CYCLE_1)
	v_cmp_o_f64_e32 vcc_lo, v[10:11], v[10:11]
	v_cmp_gt_u32_e64 s0, s11, v24
	s_and_b32 s1, s0, vcc_lo
	;; [unrolled: 20-line block ×7, first 2 shown]
	s_and_saveexec_b32 s0, s1
	s_cbranch_execz .LBB9_117
; %bb.114:
	s_mov_b32 s1, exec_lo
	s_wait_loadcnt 0x0
	v_cmpx_o_f64_e32 v[2:3], v[2:3]
	s_cbranch_execz .LBB9_116
; %bb.115:
	v_cmp_lt_f64_e32 vcc_lo, v[10:11], v[2:3]
	v_dual_cndmask_b32 v3, v11, v3 :: v_dual_cndmask_b32 v2, v10, v2
.LBB9_116:
	s_or_b32 exec_lo, exec_lo, s1
	s_delay_alu instid0(VALU_DEP_1)
	v_mov_b64_e32 v[10:11], v[2:3]
.LBB9_117:
	s_or_b32 exec_lo, exec_lo, s0
	s_wait_loadcnt 0x0
	s_delay_alu instid0(VALU_DEP_1) | instskip(NEXT) | instid1(VALU_DEP_2)
	v_mov_b32_dpp v2, v10 quad_perm:[1,0,3,2] row_mask:0xf bank_mask:0xf
	v_mov_b32_dpp v3, v11 quad_perm:[1,0,3,2] row_mask:0xf bank_mask:0xf
	s_mov_b32 s0, exec_lo
	s_delay_alu instid0(VALU_DEP_1)
	v_cmpx_o_f64_e32 v[2:3], v[2:3]
	s_xor_b32 s0, exec_lo, s0
	s_cbranch_execz .LBB9_121
; %bb.118:
	s_mov_b32 s1, exec_lo
	v_cmpx_o_f64_e32 v[10:11], v[10:11]
	s_cbranch_execz .LBB9_120
; %bb.119:
	v_cmp_gt_f64_e32 vcc_lo, v[10:11], v[2:3]
	v_dual_cndmask_b32 v11, v3, v11 :: v_dual_cndmask_b32 v10, v2, v10
.LBB9_120:
	s_or_b32 exec_lo, exec_lo, s1
	s_delay_alu instid0(VALU_DEP_1)
	v_mov_b64_e32 v[2:3], v[10:11]
.LBB9_121:
	s_or_b32 exec_lo, exec_lo, s0
	s_delay_alu instid0(VALU_DEP_1) | instskip(NEXT) | instid1(VALU_DEP_2)
	v_mov_b32_dpp v4, v2 quad_perm:[2,3,0,1] row_mask:0xf bank_mask:0xf
	v_mov_b32_dpp v5, v3 quad_perm:[2,3,0,1] row_mask:0xf bank_mask:0xf
	s_mov_b32 s0, exec_lo
	s_delay_alu instid0(VALU_DEP_1)
	v_cmpx_o_f64_e32 v[4:5], v[4:5]
	s_cbranch_execz .LBB9_125
; %bb.122:
	s_mov_b32 s1, exec_lo
	v_cmpx_o_f64_e32 v[2:3], v[2:3]
	s_cbranch_execz .LBB9_124
; %bb.123:
	v_cmp_gt_f64_e32 vcc_lo, v[2:3], v[4:5]
	v_dual_cndmask_b32 v3, v5, v3 :: v_dual_cndmask_b32 v2, v4, v2
.LBB9_124:
	s_or_b32 exec_lo, exec_lo, s1
	s_delay_alu instid0(VALU_DEP_1)
	v_mov_b64_e32 v[4:5], v[2:3]
.LBB9_125:
	s_or_b32 exec_lo, exec_lo, s0
	s_delay_alu instid0(VALU_DEP_1) | instskip(NEXT) | instid1(VALU_DEP_2)
	v_mov_b32_dpp v2, v4 row_ror:4 row_mask:0xf bank_mask:0xf
	v_mov_b32_dpp v3, v5 row_ror:4 row_mask:0xf bank_mask:0xf
	s_mov_b32 s0, exec_lo
	s_delay_alu instid0(VALU_DEP_1)
	v_cmpx_o_f64_e32 v[2:3], v[2:3]
	s_cbranch_execz .LBB9_129
; %bb.126:
	s_mov_b32 s1, exec_lo
	v_cmpx_o_f64_e32 v[4:5], v[4:5]
	s_cbranch_execz .LBB9_128
; %bb.127:
	v_cmp_gt_f64_e32 vcc_lo, v[4:5], v[2:3]
	v_dual_cndmask_b32 v5, v3, v5 :: v_dual_cndmask_b32 v4, v2, v4
.LBB9_128:
	s_or_b32 exec_lo, exec_lo, s1
	s_delay_alu instid0(VALU_DEP_1)
	v_mov_b64_e32 v[2:3], v[4:5]
.LBB9_129:
	s_or_b32 exec_lo, exec_lo, s0
	s_delay_alu instid0(VALU_DEP_1) | instskip(NEXT) | instid1(VALU_DEP_2)
	v_mov_b32_dpp v4, v2 row_ror:8 row_mask:0xf bank_mask:0xf
	v_mov_b32_dpp v5, v3 row_ror:8 row_mask:0xf bank_mask:0xf
	s_mov_b32 s0, exec_lo
	s_delay_alu instid0(VALU_DEP_1)
	v_cmpx_o_f64_e32 v[4:5], v[4:5]
	s_cbranch_execz .LBB9_133
; %bb.130:
	s_mov_b32 s1, exec_lo
	v_cmpx_o_f64_e32 v[2:3], v[2:3]
	s_cbranch_execz .LBB9_132
; %bb.131:
	v_cmp_gt_f64_e32 vcc_lo, v[2:3], v[4:5]
	v_dual_cndmask_b32 v3, v5, v3 :: v_dual_cndmask_b32 v2, v4, v2
.LBB9_132:
	s_or_b32 exec_lo, exec_lo, s1
	s_delay_alu instid0(VALU_DEP_1)
	v_mov_b64_e32 v[4:5], v[2:3]
.LBB9_133:
	s_or_b32 exec_lo, exec_lo, s0
	ds_swizzle_b32 v2, v4 offset:swizzle(BROADCAST,32,15)
	ds_swizzle_b32 v3, v5 offset:swizzle(BROADCAST,32,15)
	s_mov_b32 s0, exec_lo
	s_wait_dscnt 0x0
	v_cmpx_o_f64_e32 v[2:3], v[2:3]
	s_cbranch_execz .LBB9_137
; %bb.134:
	s_mov_b32 s1, exec_lo
	v_cmpx_o_f64_e32 v[4:5], v[4:5]
	s_cbranch_execz .LBB9_136
; %bb.135:
	v_cmp_gt_f64_e32 vcc_lo, v[4:5], v[2:3]
	v_dual_cndmask_b32 v5, v3, v5 :: v_dual_cndmask_b32 v4, v2, v4
.LBB9_136:
	s_or_b32 exec_lo, exec_lo, s1
	s_delay_alu instid0(VALU_DEP_1)
	v_mov_b64_e32 v[2:3], v[4:5]
.LBB9_137:
	s_or_b32 exec_lo, exec_lo, s0
	v_mov_b32_e32 v1, 0
	s_mov_b32 s0, exec_lo
	ds_bpermute_b32 v2, v1, v2 offset:124
	ds_bpermute_b32 v3, v1, v3 offset:124
	v_mbcnt_lo_u32_b32 v1, -1, 0
	s_delay_alu instid0(VALU_DEP_1)
	v_cmpx_eq_u32_e32 0, v1
	s_cbranch_execz .LBB9_139
; %bb.138:
	v_lshrrev_b32_e32 v4, 2, v0
	s_delay_alu instid0(VALU_DEP_1)
	v_and_b32_e32 v4, 56, v4
	s_wait_dscnt 0x0
	ds_store_b64 v4, v[2:3]
.LBB9_139:
	s_or_b32 exec_lo, exec_lo, s0
	s_delay_alu instid0(SALU_CYCLE_1)
	s_mov_b32 s1, exec_lo
	s_wait_dscnt 0x0
	s_barrier_signal -1
	s_barrier_wait -1
	v_cmpx_gt_u32_e32 32, v0
	s_cbranch_execz .LBB9_153
; %bb.140:
	v_and_b32_e32 v6, 7, v1
	s_delay_alu instid0(VALU_DEP_1) | instskip(NEXT) | instid1(VALU_DEP_1)
	v_cmp_ne_u32_e64 s0, 7, v6
	v_add_co_ci_u32_e64 v4, null, 0, v1, s0
	s_mov_b32 s0, exec_lo
	v_dual_lshlrev_b32 v5, 2, v4 :: v_dual_lshlrev_b32 v2, 3, v6
	ds_load_b64 v[2:3], v2
	s_wait_dscnt 0x0
	ds_bpermute_b32 v4, v5, v2
	ds_bpermute_b32 v5, v5, v3
	v_cmpx_o_f64_e32 v[2:3], v[2:3]
	s_cbranch_execz .LBB9_144
; %bb.141:
	s_mov_b32 s11, exec_lo
	s_wait_dscnt 0x0
	v_cmpx_o_f64_e32 v[4:5], v[4:5]
	s_cbranch_execz .LBB9_143
; %bb.142:
	v_cmp_lt_f64_e32 vcc_lo, v[2:3], v[4:5]
	v_dual_cndmask_b32 v5, v3, v5 :: v_dual_cndmask_b32 v4, v2, v4
.LBB9_143:
	s_or_b32 exec_lo, exec_lo, s11
	s_delay_alu instid0(VALU_DEP_1)
	v_mov_b64_e32 v[2:3], v[4:5]
.LBB9_144:
	s_or_b32 exec_lo, exec_lo, s0
	v_cmp_gt_u32_e64 s0, 6, v6
	s_wait_dscnt 0x1
	s_delay_alu instid0(VALU_DEP_1) | instskip(SKIP_2) | instid1(VALU_DEP_1)
	v_cndmask_b32_e64 v4, 0, 2, s0
	s_mov_b32 s0, exec_lo
	s_wait_dscnt 0x0
	v_add_lshl_u32 v5, v4, v1, 2
	v_lshlrev_b32_e32 v1, 2, v1
	ds_bpermute_b32 v4, v5, v2
	ds_bpermute_b32 v5, v5, v3
	v_cmpx_o_f64_e32 v[2:3], v[2:3]
	s_cbranch_execz .LBB9_148
; %bb.145:
	s_mov_b32 s11, exec_lo
	s_wait_dscnt 0x0
	v_cmpx_o_f64_e32 v[4:5], v[4:5]
	s_cbranch_execz .LBB9_147
; %bb.146:
	v_cmp_lt_f64_e32 vcc_lo, v[2:3], v[4:5]
	v_dual_cndmask_b32 v5, v3, v5 :: v_dual_cndmask_b32 v4, v2, v4
.LBB9_147:
	s_or_b32 exec_lo, exec_lo, s11
	s_delay_alu instid0(VALU_DEP_1)
	v_mov_b64_e32 v[2:3], v[4:5]
.LBB9_148:
	s_or_b32 exec_lo, exec_lo, s0
	v_or_b32_e32 v1, 16, v1
	s_mov_b32 s0, exec_lo
	s_wait_dscnt 0x1
	ds_bpermute_b32 v4, v1, v2
	s_wait_dscnt 0x1
	ds_bpermute_b32 v5, v1, v3
	v_cmpx_o_f64_e32 v[2:3], v[2:3]
	s_cbranch_execz .LBB9_152
; %bb.149:
	s_mov_b32 s11, exec_lo
	s_wait_dscnt 0x0
	v_cmpx_o_f64_e32 v[4:5], v[4:5]
	s_cbranch_execz .LBB9_151
; %bb.150:
	v_cmp_lt_f64_e32 vcc_lo, v[2:3], v[4:5]
	v_dual_cndmask_b32 v5, v3, v5 :: v_dual_cndmask_b32 v4, v2, v4
.LBB9_151:
	s_or_b32 exec_lo, exec_lo, s11
	s_delay_alu instid0(VALU_DEP_1)
	v_mov_b64_e32 v[2:3], v[4:5]
.LBB9_152:
	s_or_b32 exec_lo, exec_lo, s0
.LBB9_153:
	s_delay_alu instid0(SALU_CYCLE_1)
	s_or_b32 exec_lo, exec_lo, s1
	s_branch .LBB9_252
.LBB9_154:
	s_sub_co_i32 s1, s15, s10
	s_mov_b32 s0, exec_lo
                                        ; implicit-def: $vgpr4_vgpr5
	v_cmpx_gt_u32_e64 s1, v0
	s_cbranch_execz .LBB9_164
; %bb.155:
	v_add_nc_u32_e32 v1, s10, v0
	s_mov_b32 s10, exec_lo
	s_wait_dscnt 0x0
	global_load_b64 v[4:5], v1, s[4:5] scale_offset
	s_wait_xcnt 0x0
	v_add_nc_u32_e32 v1, 0x100, v1
	s_delay_alu instid0(VALU_DEP_1)
	v_cmpx_gt_i32_e64 s15, v1
	s_cbranch_execz .LBB9_163
; %bb.156:
	s_mov_b32 s11, 0
	s_branch .LBB9_159
.LBB9_157:                              ;   in Loop: Header=BB9_159 Depth=1
	s_or_b32 exec_lo, exec_lo, s17
	s_delay_alu instid0(VALU_DEP_1)
	v_mov_b64_e32 v[4:5], v[2:3]
.LBB9_158:                              ;   in Loop: Header=BB9_159 Depth=1
	s_or_b32 exec_lo, exec_lo, s16
	v_add_nc_u32_e32 v1, 0x100, v1
	s_delay_alu instid0(VALU_DEP_1) | instskip(SKIP_1) | instid1(SALU_CYCLE_1)
	v_cmp_le_i32_e32 vcc_lo, s15, v1
	s_or_b32 s11, vcc_lo, s11
	s_and_not1_b32 exec_lo, exec_lo, s11
	s_cbranch_execz .LBB9_162
.LBB9_159:                              ; =>This Inner Loop Header: Depth=1
	s_mov_b32 s16, exec_lo
	s_wait_loadcnt 0x0
	v_cmpx_o_f64_e32 v[4:5], v[4:5]
	s_cbranch_execz .LBB9_158
; %bb.160:                              ;   in Loop: Header=BB9_159 Depth=1
	global_load_b64 v[2:3], v1, s[4:5] scale_offset
	s_mov_b32 s17, exec_lo
	s_wait_loadcnt 0x0
	v_cmpx_o_f64_e32 v[2:3], v[2:3]
	s_cbranch_execz .LBB9_157
; %bb.161:                              ;   in Loop: Header=BB9_159 Depth=1
	v_cmp_lt_f64_e32 vcc_lo, v[4:5], v[2:3]
	v_dual_cndmask_b32 v3, v5, v3 :: v_dual_cndmask_b32 v2, v4, v2
	s_branch .LBB9_157
.LBB9_162:
	s_or_b32 exec_lo, exec_lo, s11
.LBB9_163:
	s_delay_alu instid0(SALU_CYCLE_1)
	s_or_b32 exec_lo, exec_lo, s10
.LBB9_164:
	s_delay_alu instid0(SALU_CYCLE_1)
	s_or_b32 exec_lo, exec_lo, s0
	v_lshrrev_b32_e32 v10, 5, v0
	v_mbcnt_lo_u32_b32 v1, -1, 0
	s_cmp_lt_u32 s1, 0x100
	s_mov_b32 s0, -1
                                        ; implicit-def: $vgpr2_vgpr3
	s_cbranch_scc0 .LBB9_214
; %bb.165:
	s_delay_alu instid0(VALU_DEP_1) | instskip(SKIP_3) | instid1(VALU_DEP_1)
	v_cmp_ne_u32_e32 vcc_lo, 31, v1
	s_wait_loadcnt_dscnt 0x0
	v_dual_mov_b32 v6, v4 :: v_dual_mov_b32 v7, v5
	v_add_co_ci_u32_e64 v2, null, 0, v1, vcc_lo
	v_lshlrev_b32_e32 v2, 2, v2
	ds_bpermute_b32 v8, v2, v4
	ds_bpermute_b32 v9, v2, v5
	v_and_b32_e32 v2, 0xe0, v0
	s_delay_alu instid0(VALU_DEP_1) | instskip(SKIP_1) | instid1(VALU_DEP_1)
	v_sub_nc_u32_e64 v11, s1, v2 clamp
	v_add_nc_u32_e32 v2, 1, v1
	v_cmp_lt_u32_e32 vcc_lo, v2, v11
	v_mov_b64_e32 v[2:3], v[4:5]
	s_and_saveexec_b32 s0, vcc_lo
	s_cbranch_execz .LBB9_171
; %bb.166:
	v_mov_b64_e32 v[6:7], v[4:5]
	s_mov_b32 s4, exec_lo
	v_cmpx_o_f64_e32 v[4:5], v[4:5]
	s_cbranch_execz .LBB9_170
; %bb.167:
	s_mov_b32 s5, exec_lo
	s_wait_dscnt 0x0
	v_cmpx_o_f64_e32 v[8:9], v[8:9]
	s_cbranch_execz .LBB9_169
; %bb.168:
	v_cmp_lt_f64_e32 vcc_lo, v[4:5], v[8:9]
	v_dual_cndmask_b32 v9, v5, v9 :: v_dual_cndmask_b32 v8, v4, v8
.LBB9_169:
	s_or_b32 exec_lo, exec_lo, s5
	s_delay_alu instid0(VALU_DEP_1)
	v_mov_b64_e32 v[6:7], v[8:9]
.LBB9_170:
	s_or_b32 exec_lo, exec_lo, s4
	s_delay_alu instid0(VALU_DEP_1)
	v_mov_b64_e32 v[2:3], v[6:7]
.LBB9_171:
	s_or_b32 exec_lo, exec_lo, s0
	v_cmp_gt_u32_e32 vcc_lo, 30, v1
	v_add_nc_u32_e32 v12, 2, v1
	s_mov_b32 s0, exec_lo
	s_wait_dscnt 0x1
	v_cndmask_b32_e64 v8, 0, 2, vcc_lo
	s_wait_dscnt 0x0
	s_delay_alu instid0(VALU_DEP_1)
	v_add_lshl_u32 v9, v8, v1, 2
	ds_bpermute_b32 v8, v9, v6
	ds_bpermute_b32 v9, v9, v7
	v_cmpx_lt_u32_e64 v12, v11
	s_cbranch_execz .LBB9_177
; %bb.172:
	s_mov_b32 s4, exec_lo
	v_cmpx_o_f64_e32 v[2:3], v[2:3]
	s_cbranch_execz .LBB9_176
; %bb.173:
	s_mov_b32 s5, exec_lo
	s_wait_dscnt 0x0
	v_cmpx_o_f64_e32 v[8:9], v[8:9]
	s_cbranch_execz .LBB9_175
; %bb.174:
	v_cmp_lt_f64_e32 vcc_lo, v[2:3], v[8:9]
	v_dual_cndmask_b32 v9, v3, v9 :: v_dual_cndmask_b32 v8, v2, v8
.LBB9_175:
	s_or_b32 exec_lo, exec_lo, s5
	s_delay_alu instid0(VALU_DEP_1)
	v_mov_b64_e32 v[2:3], v[8:9]
.LBB9_176:
	s_or_b32 exec_lo, exec_lo, s4
	s_delay_alu instid0(VALU_DEP_1)
	v_dual_mov_b32 v6, v2 :: v_dual_mov_b32 v7, v3
.LBB9_177:
	s_or_b32 exec_lo, exec_lo, s0
	v_cmp_gt_u32_e32 vcc_lo, 28, v1
	v_add_nc_u32_e32 v12, 4, v1
	s_mov_b32 s0, exec_lo
	s_wait_dscnt 0x1
	v_cndmask_b32_e64 v8, 0, 4, vcc_lo
	s_wait_dscnt 0x0
	s_delay_alu instid0(VALU_DEP_1)
	v_add_lshl_u32 v9, v8, v1, 2
	ds_bpermute_b32 v8, v9, v6
	ds_bpermute_b32 v9, v9, v7
	v_cmpx_lt_u32_e64 v12, v11
	s_cbranch_execz .LBB9_183
; %bb.178:
	s_mov_b32 s4, exec_lo
	v_cmpx_o_f64_e32 v[2:3], v[2:3]
	s_cbranch_execz .LBB9_182
; %bb.179:
	s_mov_b32 s5, exec_lo
	s_wait_dscnt 0x0
	v_cmpx_o_f64_e32 v[8:9], v[8:9]
	s_cbranch_execz .LBB9_181
; %bb.180:
	v_cmp_lt_f64_e32 vcc_lo, v[2:3], v[8:9]
	v_dual_cndmask_b32 v9, v3, v9 :: v_dual_cndmask_b32 v8, v2, v8
.LBB9_181:
	s_or_b32 exec_lo, exec_lo, s5
	s_delay_alu instid0(VALU_DEP_1)
	v_mov_b64_e32 v[2:3], v[8:9]
.LBB9_182:
	s_or_b32 exec_lo, exec_lo, s4
	s_delay_alu instid0(VALU_DEP_1)
	v_dual_mov_b32 v6, v2 :: v_dual_mov_b32 v7, v3
.LBB9_183:
	;; [unrolled: 34-line block ×3, first 2 shown]
	s_or_b32 exec_lo, exec_lo, s0
	v_cmp_o_f64_e32 vcc_lo, v[2:3], v[2:3]
	s_wait_dscnt 0x1
	v_lshlrev_b32_e32 v8, 2, v1
	s_wait_dscnt 0x0
	s_delay_alu instid0(VALU_DEP_1) | instskip(SKIP_3) | instid1(VALU_DEP_1)
	v_or_b32_e32 v9, 64, v8
	ds_bpermute_b32 v6, v9, v6
	ds_bpermute_b32 v7, v9, v7
	v_add_nc_u32_e32 v9, 16, v1
	v_cmp_lt_u32_e64 s0, v9, v11
	s_and_b32 s4, s0, vcc_lo
	s_delay_alu instid0(SALU_CYCLE_1)
	s_and_saveexec_b32 s0, s4
	s_cbranch_execz .LBB9_193
; %bb.190:
	s_mov_b32 s4, exec_lo
	s_wait_dscnt 0x0
	v_cmpx_o_f64_e32 v[6:7], v[6:7]
	s_cbranch_execz .LBB9_192
; %bb.191:
	v_cmp_lt_f64_e32 vcc_lo, v[2:3], v[6:7]
	v_dual_cndmask_b32 v7, v3, v7 :: v_dual_cndmask_b32 v6, v2, v6
.LBB9_192:
	s_or_b32 exec_lo, exec_lo, s4
	s_delay_alu instid0(VALU_DEP_1)
	v_mov_b64_e32 v[2:3], v[6:7]
.LBB9_193:
	s_or_b32 exec_lo, exec_lo, s0
	s_delay_alu instid0(SALU_CYCLE_1)
	s_mov_b32 s0, exec_lo
	v_cmpx_eq_u32_e32 0, v1
	s_cbranch_execz .LBB9_195
; %bb.194:
	s_wait_dscnt 0x1
	v_lshlrev_b32_e32 v6, 3, v10
	ds_store_b64 v6, v[2:3]
.LBB9_195:
	s_or_b32 exec_lo, exec_lo, s0
	s_delay_alu instid0(SALU_CYCLE_1)
	s_mov_b32 s4, exec_lo
	s_wait_dscnt 0x0
	s_barrier_signal -1
	s_barrier_wait -1
	v_cmpx_gt_u32_e32 8, v0
	s_cbranch_execz .LBB9_213
; %bb.196:
	v_dual_lshlrev_b32 v2, 3, v1 :: v_dual_bitop2_b32 v9, 7, v1 bitop3:0x40
	s_add_co_i32 s1, s1, 31
	s_delay_alu instid0(SALU_CYCLE_1)
	s_lshr_b32 s0, s1, 5
	ds_load_b64 v[2:3], v2
	v_cmp_ne_u32_e32 vcc_lo, 7, v9
	s_mov_b32 s1, exec_lo
	v_add_nc_u32_e32 v11, 1, v9
	v_add_co_ci_u32_e64 v6, null, 0, v1, vcc_lo
	s_delay_alu instid0(VALU_DEP_1)
	v_lshlrev_b32_e32 v7, 2, v6
	s_wait_dscnt 0x0
	ds_bpermute_b32 v6, v7, v2
	ds_bpermute_b32 v7, v7, v3
	v_cmpx_gt_u32_e64 s0, v11
	s_cbranch_execz .LBB9_202
; %bb.197:
	s_mov_b32 s5, exec_lo
	v_cmpx_o_f64_e32 v[2:3], v[2:3]
	s_cbranch_execz .LBB9_201
; %bb.198:
	s_mov_b32 s10, exec_lo
	s_wait_dscnt 0x0
	v_cmpx_o_f64_e32 v[6:7], v[6:7]
	s_cbranch_execz .LBB9_200
; %bb.199:
	v_cmp_lt_f64_e32 vcc_lo, v[2:3], v[6:7]
	v_dual_cndmask_b32 v7, v3, v7 :: v_dual_cndmask_b32 v6, v2, v6
.LBB9_200:
	s_or_b32 exec_lo, exec_lo, s10
	s_delay_alu instid0(VALU_DEP_1)
	v_mov_b64_e32 v[2:3], v[6:7]
.LBB9_201:
	s_or_b32 exec_lo, exec_lo, s5
.LBB9_202:
	s_delay_alu instid0(SALU_CYCLE_1)
	s_or_b32 exec_lo, exec_lo, s1
	v_cmp_gt_u32_e32 vcc_lo, 6, v9
	v_add_nc_u32_e32 v11, 2, v9
	s_mov_b32 s1, exec_lo
	s_wait_dscnt 0x1
	v_cndmask_b32_e64 v6, 0, 2, vcc_lo
	s_wait_dscnt 0x0
	s_delay_alu instid0(VALU_DEP_1)
	v_add_lshl_u32 v7, v6, v1, 2
	ds_bpermute_b32 v6, v7, v2
	ds_bpermute_b32 v7, v7, v3
	v_cmpx_gt_u32_e64 s0, v11
	s_cbranch_execz .LBB9_208
; %bb.203:
	s_mov_b32 s5, exec_lo
	v_cmpx_o_f64_e32 v[2:3], v[2:3]
	s_cbranch_execz .LBB9_207
; %bb.204:
	s_mov_b32 s10, exec_lo
	s_wait_dscnt 0x0
	v_cmpx_o_f64_e32 v[6:7], v[6:7]
	s_cbranch_execz .LBB9_206
; %bb.205:
	v_cmp_lt_f64_e32 vcc_lo, v[2:3], v[6:7]
	v_dual_cndmask_b32 v7, v3, v7 :: v_dual_cndmask_b32 v6, v2, v6
.LBB9_206:
	s_or_b32 exec_lo, exec_lo, s10
	s_delay_alu instid0(VALU_DEP_1)
	v_mov_b64_e32 v[2:3], v[6:7]
.LBB9_207:
	s_or_b32 exec_lo, exec_lo, s5
.LBB9_208:
	s_delay_alu instid0(SALU_CYCLE_1) | instskip(NEXT) | instid1(VALU_DEP_1)
	s_or_b32 exec_lo, exec_lo, s1
	v_cmp_o_f64_e32 vcc_lo, v[2:3], v[2:3]
	s_wait_dscnt 0x0
	v_dual_add_nc_u32 v8, 4, v9 :: v_dual_bitop2_b32 v7, 16, v8 bitop3:0x54
	ds_bpermute_b32 v6, v7, v2
	ds_bpermute_b32 v7, v7, v3
	v_cmp_gt_u32_e64 s0, s0, v8
	s_and_b32 s1, s0, vcc_lo
	s_delay_alu instid0(SALU_CYCLE_1)
	s_and_saveexec_b32 s0, s1
	s_cbranch_execz .LBB9_212
; %bb.209:
	s_mov_b32 s1, exec_lo
	s_wait_dscnt 0x0
	v_cmpx_o_f64_e32 v[6:7], v[6:7]
	s_cbranch_execz .LBB9_211
; %bb.210:
	v_cmp_lt_f64_e32 vcc_lo, v[2:3], v[6:7]
	v_dual_cndmask_b32 v7, v3, v7 :: v_dual_cndmask_b32 v6, v2, v6
.LBB9_211:
	s_or_b32 exec_lo, exec_lo, s1
	s_delay_alu instid0(VALU_DEP_1)
	v_mov_b64_e32 v[2:3], v[6:7]
.LBB9_212:
	s_or_b32 exec_lo, exec_lo, s0
.LBB9_213:
	s_delay_alu instid0(SALU_CYCLE_1)
	s_or_b32 exec_lo, exec_lo, s4
	s_mov_b32 s0, 0
.LBB9_214:
	s_delay_alu instid0(SALU_CYCLE_1)
	s_and_b32 vcc_lo, exec_lo, s0
	s_cbranch_vccz .LBB9_252
; %bb.215:
	s_wait_loadcnt_dscnt 0x1
	v_mov_b32_dpp v2, v4 quad_perm:[1,0,3,2] row_mask:0xf bank_mask:0xf
	s_wait_dscnt 0x0
	v_mov_b32_dpp v3, v5 quad_perm:[1,0,3,2] row_mask:0xf bank_mask:0xf
	s_mov_b32 s0, exec_lo
	s_delay_alu instid0(VALU_DEP_1)
	v_cmpx_o_f64_e32 v[2:3], v[2:3]
	s_cbranch_execz .LBB9_219
; %bb.216:
	s_mov_b32 s1, exec_lo
	v_cmpx_o_f64_e32 v[4:5], v[4:5]
	s_cbranch_execz .LBB9_218
; %bb.217:
	v_cmp_gt_f64_e32 vcc_lo, v[4:5], v[2:3]
	v_dual_cndmask_b32 v5, v3, v5 :: v_dual_cndmask_b32 v4, v2, v4
.LBB9_218:
	s_or_b32 exec_lo, exec_lo, s1
	s_delay_alu instid0(VALU_DEP_1)
	v_mov_b64_e32 v[2:3], v[4:5]
.LBB9_219:
	s_or_b32 exec_lo, exec_lo, s0
	s_delay_alu instid0(VALU_DEP_1) | instskip(NEXT) | instid1(VALU_DEP_2)
	v_mov_b32_dpp v4, v2 quad_perm:[2,3,0,1] row_mask:0xf bank_mask:0xf
	v_mov_b32_dpp v5, v3 quad_perm:[2,3,0,1] row_mask:0xf bank_mask:0xf
	s_mov_b32 s0, exec_lo
	s_delay_alu instid0(VALU_DEP_1)
	v_cmpx_o_f64_e32 v[4:5], v[4:5]
	s_cbranch_execz .LBB9_223
; %bb.220:
	s_mov_b32 s1, exec_lo
	v_cmpx_o_f64_e32 v[2:3], v[2:3]
	s_cbranch_execz .LBB9_222
; %bb.221:
	v_cmp_gt_f64_e32 vcc_lo, v[2:3], v[4:5]
	v_dual_cndmask_b32 v3, v5, v3 :: v_dual_cndmask_b32 v2, v4, v2
.LBB9_222:
	s_or_b32 exec_lo, exec_lo, s1
	s_delay_alu instid0(VALU_DEP_1)
	v_mov_b64_e32 v[4:5], v[2:3]
.LBB9_223:
	s_or_b32 exec_lo, exec_lo, s0
	s_delay_alu instid0(VALU_DEP_1) | instskip(NEXT) | instid1(VALU_DEP_2)
	v_mov_b32_dpp v2, v4 row_ror:4 row_mask:0xf bank_mask:0xf
	v_mov_b32_dpp v3, v5 row_ror:4 row_mask:0xf bank_mask:0xf
	s_mov_b32 s0, exec_lo
	s_delay_alu instid0(VALU_DEP_1)
	v_cmpx_o_f64_e32 v[2:3], v[2:3]
	s_cbranch_execz .LBB9_227
; %bb.224:
	s_mov_b32 s1, exec_lo
	v_cmpx_o_f64_e32 v[4:5], v[4:5]
	s_cbranch_execz .LBB9_226
; %bb.225:
	v_cmp_gt_f64_e32 vcc_lo, v[4:5], v[2:3]
	v_dual_cndmask_b32 v5, v3, v5 :: v_dual_cndmask_b32 v4, v2, v4
.LBB9_226:
	s_or_b32 exec_lo, exec_lo, s1
	s_delay_alu instid0(VALU_DEP_1)
	v_mov_b64_e32 v[2:3], v[4:5]
.LBB9_227:
	s_or_b32 exec_lo, exec_lo, s0
	s_delay_alu instid0(VALU_DEP_1) | instskip(NEXT) | instid1(VALU_DEP_2)
	v_mov_b32_dpp v4, v2 row_ror:8 row_mask:0xf bank_mask:0xf
	v_mov_b32_dpp v5, v3 row_ror:8 row_mask:0xf bank_mask:0xf
	s_mov_b32 s0, exec_lo
	s_delay_alu instid0(VALU_DEP_1)
	v_cmpx_o_f64_e32 v[4:5], v[4:5]
	s_cbranch_execz .LBB9_231
; %bb.228:
	s_mov_b32 s1, exec_lo
	v_cmpx_o_f64_e32 v[2:3], v[2:3]
	s_cbranch_execz .LBB9_230
; %bb.229:
	v_cmp_gt_f64_e32 vcc_lo, v[2:3], v[4:5]
	v_dual_cndmask_b32 v3, v5, v3 :: v_dual_cndmask_b32 v2, v4, v2
.LBB9_230:
	s_or_b32 exec_lo, exec_lo, s1
	s_delay_alu instid0(VALU_DEP_1)
	v_mov_b64_e32 v[4:5], v[2:3]
.LBB9_231:
	s_or_b32 exec_lo, exec_lo, s0
	ds_swizzle_b32 v2, v4 offset:swizzle(BROADCAST,32,15)
	ds_swizzle_b32 v3, v5 offset:swizzle(BROADCAST,32,15)
	s_mov_b32 s0, exec_lo
	s_wait_dscnt 0x0
	v_cmpx_o_f64_e32 v[2:3], v[2:3]
	s_cbranch_execz .LBB9_235
; %bb.232:
	s_mov_b32 s1, exec_lo
	v_cmpx_o_f64_e32 v[4:5], v[4:5]
	s_cbranch_execz .LBB9_234
; %bb.233:
	v_cmp_gt_f64_e32 vcc_lo, v[4:5], v[2:3]
	v_dual_cndmask_b32 v5, v3, v5 :: v_dual_cndmask_b32 v4, v2, v4
.LBB9_234:
	s_or_b32 exec_lo, exec_lo, s1
	s_delay_alu instid0(VALU_DEP_1)
	v_mov_b64_e32 v[2:3], v[4:5]
.LBB9_235:
	s_or_b32 exec_lo, exec_lo, s0
	v_mov_b32_e32 v4, 0
	s_mov_b32 s0, exec_lo
	ds_bpermute_b32 v2, v4, v2 offset:124
	ds_bpermute_b32 v3, v4, v3 offset:124
	v_cmpx_eq_u32_e32 0, v1
	s_cbranch_execz .LBB9_237
; %bb.236:
	v_lshlrev_b32_e32 v4, 3, v10
	s_wait_dscnt 0x0
	ds_store_b64 v4, v[2:3]
.LBB9_237:
	s_or_b32 exec_lo, exec_lo, s0
	s_delay_alu instid0(SALU_CYCLE_1)
	s_mov_b32 s1, exec_lo
	s_wait_dscnt 0x0
	s_barrier_signal -1
	s_barrier_wait -1
	v_cmpx_gt_u32_e32 32, v0
	s_cbranch_execz .LBB9_251
; %bb.238:
	v_and_b32_e32 v6, 7, v1
	s_delay_alu instid0(VALU_DEP_1) | instskip(NEXT) | instid1(VALU_DEP_1)
	v_cmp_ne_u32_e64 s0, 7, v6
	v_add_co_ci_u32_e64 v4, null, 0, v1, s0
	s_mov_b32 s0, exec_lo
	v_dual_lshlrev_b32 v5, 2, v4 :: v_dual_lshlrev_b32 v2, 3, v6
	ds_load_b64 v[2:3], v2
	s_wait_dscnt 0x0
	ds_bpermute_b32 v4, v5, v2
	ds_bpermute_b32 v5, v5, v3
	v_cmpx_o_f64_e32 v[2:3], v[2:3]
	s_cbranch_execz .LBB9_242
; %bb.239:
	s_mov_b32 s4, exec_lo
	s_wait_dscnt 0x0
	v_cmpx_o_f64_e32 v[4:5], v[4:5]
	s_cbranch_execz .LBB9_241
; %bb.240:
	v_cmp_lt_f64_e32 vcc_lo, v[2:3], v[4:5]
	v_dual_cndmask_b32 v5, v3, v5 :: v_dual_cndmask_b32 v4, v2, v4
.LBB9_241:
	s_or_b32 exec_lo, exec_lo, s4
	s_delay_alu instid0(VALU_DEP_1)
	v_mov_b64_e32 v[2:3], v[4:5]
.LBB9_242:
	s_or_b32 exec_lo, exec_lo, s0
	v_cmp_gt_u32_e64 s0, 6, v6
	s_wait_dscnt 0x1
	s_delay_alu instid0(VALU_DEP_1) | instskip(SKIP_2) | instid1(VALU_DEP_1)
	v_cndmask_b32_e64 v4, 0, 2, s0
	s_mov_b32 s0, exec_lo
	s_wait_dscnt 0x0
	v_add_lshl_u32 v5, v4, v1, 2
	v_lshlrev_b32_e32 v1, 2, v1
	ds_bpermute_b32 v4, v5, v2
	ds_bpermute_b32 v5, v5, v3
	v_cmpx_o_f64_e32 v[2:3], v[2:3]
	s_cbranch_execz .LBB9_246
; %bb.243:
	s_mov_b32 s4, exec_lo
	s_wait_dscnt 0x0
	v_cmpx_o_f64_e32 v[4:5], v[4:5]
	s_cbranch_execz .LBB9_245
; %bb.244:
	v_cmp_lt_f64_e32 vcc_lo, v[2:3], v[4:5]
	v_dual_cndmask_b32 v5, v3, v5 :: v_dual_cndmask_b32 v4, v2, v4
.LBB9_245:
	s_or_b32 exec_lo, exec_lo, s4
	s_delay_alu instid0(VALU_DEP_1)
	v_mov_b64_e32 v[2:3], v[4:5]
.LBB9_246:
	s_or_b32 exec_lo, exec_lo, s0
	v_or_b32_e32 v1, 16, v1
	s_mov_b32 s0, exec_lo
	s_wait_dscnt 0x1
	ds_bpermute_b32 v4, v1, v2
	s_wait_dscnt 0x1
	ds_bpermute_b32 v5, v1, v3
	v_cmpx_o_f64_e32 v[2:3], v[2:3]
	s_cbranch_execz .LBB9_250
; %bb.247:
	s_mov_b32 s4, exec_lo
	s_wait_dscnt 0x0
	v_cmpx_o_f64_e32 v[4:5], v[4:5]
	s_cbranch_execz .LBB9_249
; %bb.248:
	v_cmp_lt_f64_e32 vcc_lo, v[2:3], v[4:5]
	v_dual_cndmask_b32 v5, v3, v5 :: v_dual_cndmask_b32 v4, v2, v4
.LBB9_249:
	s_or_b32 exec_lo, exec_lo, s4
	s_delay_alu instid0(VALU_DEP_1)
	v_mov_b64_e32 v[2:3], v[4:5]
.LBB9_250:
	s_or_b32 exec_lo, exec_lo, s0
.LBB9_251:
	s_delay_alu instid0(SALU_CYCLE_1)
	s_or_b32 exec_lo, exec_lo, s1
.LBB9_252:
	s_delay_alu instid0(SALU_CYCLE_1)
	s_mov_b32 s0, exec_lo
                                        ; implicit-def: $vgpr4_vgpr5
	v_cmpx_eq_u32_e32 0, v0
	s_cbranch_execz .LBB9_258
; %bb.253:
	v_cmp_u_f64_e64 s1, s[12:13], s[12:13]
	s_wait_loadcnt_dscnt 0x0
	v_mov_b64_e32 v[4:5], s[12:13]
	s_and_b32 vcc_lo, exec_lo, s1
	s_cbranch_vccnz .LBB9_257
; %bb.254:
	s_mov_b32 s1, exec_lo
	v_cmpx_o_f64_e32 v[2:3], v[2:3]
	s_cbranch_execz .LBB9_256
; %bb.255:
	v_cmp_lt_f64_e32 vcc_lo, s[12:13], v[2:3]
	v_cndmask_b32_e32 v3, s13, v3, vcc_lo
	v_cndmask_b32_e32 v2, s12, v2, vcc_lo
.LBB9_256:
	s_or_b32 exec_lo, exec_lo, s1
	s_delay_alu instid0(VALU_DEP_1)
	v_mov_b64_e32 v[4:5], v[2:3]
.LBB9_257:
	s_or_b32 s14, s14, exec_lo
.LBB9_258:
	s_or_b32 exec_lo, exec_lo, s0
	s_and_saveexec_b32 s0, s14
	s_cbranch_execz .LBB9_260
.LBB9_259:
	s_lshl_b64 s[0:1], s[8:9], 3
	v_mov_b32_e32 v0, 0
	s_add_nc_u64 s[0:1], s[6:7], s[0:1]
	s_lshl_b64 s[2:3], s[2:3], 3
	s_delay_alu instid0(SALU_CYCLE_1)
	s_add_nc_u64 s[0:1], s[0:1], s[2:3]
	s_wait_loadcnt_dscnt 0x0
	global_store_b64 v0, v[4:5], s[0:1]
.LBB9_260:
	s_endpgm
	.section	.rodata,"a",@progbits
	.p2align	6, 0x0
	.amdhsa_kernel _ZN7rocprim17ROCPRIM_400000_NS6detail17trampoline_kernelINS0_14default_configENS1_32segmented_reduce_config_selectorIdEEZNS1_21segmented_reduce_implIS3_PKdPdPKidN6hipcub16HIPCUB_304000_NS6detail27convert_result_type_wrapperIS8_S9_N2at6native12_GLOBAL__N_19CustomMaxEEEEE10hipError_tPvRmT0_T1_jT2_SQ_T4_T3_P12ihipStream_tbEUlT_E_NS1_11comp_targetILNS1_3genE0ELNS1_11target_archE4294967295ELNS1_3gpuE0ELNS1_3repE0EEENS1_30default_config_static_selectorELNS0_4arch9wavefront6targetE0EEEvSP_
		.amdhsa_group_segment_fixed_size 64
		.amdhsa_private_segment_fixed_size 0
		.amdhsa_kernarg_size 56
		.amdhsa_user_sgpr_count 2
		.amdhsa_user_sgpr_dispatch_ptr 0
		.amdhsa_user_sgpr_queue_ptr 0
		.amdhsa_user_sgpr_kernarg_segment_ptr 1
		.amdhsa_user_sgpr_dispatch_id 0
		.amdhsa_user_sgpr_kernarg_preload_length 0
		.amdhsa_user_sgpr_kernarg_preload_offset 0
		.amdhsa_user_sgpr_private_segment_size 0
		.amdhsa_wavefront_size32 1
		.amdhsa_uses_dynamic_stack 0
		.amdhsa_enable_private_segment 0
		.amdhsa_system_sgpr_workgroup_id_x 1
		.amdhsa_system_sgpr_workgroup_id_y 0
		.amdhsa_system_sgpr_workgroup_id_z 0
		.amdhsa_system_sgpr_workgroup_info 0
		.amdhsa_system_vgpr_workitem_id 0
		.amdhsa_next_free_vgpr 26
		.amdhsa_next_free_sgpr 18
		.amdhsa_named_barrier_count 0
		.amdhsa_reserve_vcc 1
		.amdhsa_float_round_mode_32 0
		.amdhsa_float_round_mode_16_64 0
		.amdhsa_float_denorm_mode_32 3
		.amdhsa_float_denorm_mode_16_64 3
		.amdhsa_fp16_overflow 0
		.amdhsa_memory_ordered 1
		.amdhsa_forward_progress 1
		.amdhsa_inst_pref_size 44
		.amdhsa_round_robin_scheduling 0
		.amdhsa_exception_fp_ieee_invalid_op 0
		.amdhsa_exception_fp_denorm_src 0
		.amdhsa_exception_fp_ieee_div_zero 0
		.amdhsa_exception_fp_ieee_overflow 0
		.amdhsa_exception_fp_ieee_underflow 0
		.amdhsa_exception_fp_ieee_inexact 0
		.amdhsa_exception_int_div_zero 0
	.end_amdhsa_kernel
	.section	.text._ZN7rocprim17ROCPRIM_400000_NS6detail17trampoline_kernelINS0_14default_configENS1_32segmented_reduce_config_selectorIdEEZNS1_21segmented_reduce_implIS3_PKdPdPKidN6hipcub16HIPCUB_304000_NS6detail27convert_result_type_wrapperIS8_S9_N2at6native12_GLOBAL__N_19CustomMaxEEEEE10hipError_tPvRmT0_T1_jT2_SQ_T4_T3_P12ihipStream_tbEUlT_E_NS1_11comp_targetILNS1_3genE0ELNS1_11target_archE4294967295ELNS1_3gpuE0ELNS1_3repE0EEENS1_30default_config_static_selectorELNS0_4arch9wavefront6targetE0EEEvSP_,"axG",@progbits,_ZN7rocprim17ROCPRIM_400000_NS6detail17trampoline_kernelINS0_14default_configENS1_32segmented_reduce_config_selectorIdEEZNS1_21segmented_reduce_implIS3_PKdPdPKidN6hipcub16HIPCUB_304000_NS6detail27convert_result_type_wrapperIS8_S9_N2at6native12_GLOBAL__N_19CustomMaxEEEEE10hipError_tPvRmT0_T1_jT2_SQ_T4_T3_P12ihipStream_tbEUlT_E_NS1_11comp_targetILNS1_3genE0ELNS1_11target_archE4294967295ELNS1_3gpuE0ELNS1_3repE0EEENS1_30default_config_static_selectorELNS0_4arch9wavefront6targetE0EEEvSP_,comdat
.Lfunc_end9:
	.size	_ZN7rocprim17ROCPRIM_400000_NS6detail17trampoline_kernelINS0_14default_configENS1_32segmented_reduce_config_selectorIdEEZNS1_21segmented_reduce_implIS3_PKdPdPKidN6hipcub16HIPCUB_304000_NS6detail27convert_result_type_wrapperIS8_S9_N2at6native12_GLOBAL__N_19CustomMaxEEEEE10hipError_tPvRmT0_T1_jT2_SQ_T4_T3_P12ihipStream_tbEUlT_E_NS1_11comp_targetILNS1_3genE0ELNS1_11target_archE4294967295ELNS1_3gpuE0ELNS1_3repE0EEENS1_30default_config_static_selectorELNS0_4arch9wavefront6targetE0EEEvSP_, .Lfunc_end9-_ZN7rocprim17ROCPRIM_400000_NS6detail17trampoline_kernelINS0_14default_configENS1_32segmented_reduce_config_selectorIdEEZNS1_21segmented_reduce_implIS3_PKdPdPKidN6hipcub16HIPCUB_304000_NS6detail27convert_result_type_wrapperIS8_S9_N2at6native12_GLOBAL__N_19CustomMaxEEEEE10hipError_tPvRmT0_T1_jT2_SQ_T4_T3_P12ihipStream_tbEUlT_E_NS1_11comp_targetILNS1_3genE0ELNS1_11target_archE4294967295ELNS1_3gpuE0ELNS1_3repE0EEENS1_30default_config_static_selectorELNS0_4arch9wavefront6targetE0EEEvSP_
                                        ; -- End function
	.set _ZN7rocprim17ROCPRIM_400000_NS6detail17trampoline_kernelINS0_14default_configENS1_32segmented_reduce_config_selectorIdEEZNS1_21segmented_reduce_implIS3_PKdPdPKidN6hipcub16HIPCUB_304000_NS6detail27convert_result_type_wrapperIS8_S9_N2at6native12_GLOBAL__N_19CustomMaxEEEEE10hipError_tPvRmT0_T1_jT2_SQ_T4_T3_P12ihipStream_tbEUlT_E_NS1_11comp_targetILNS1_3genE0ELNS1_11target_archE4294967295ELNS1_3gpuE0ELNS1_3repE0EEENS1_30default_config_static_selectorELNS0_4arch9wavefront6targetE0EEEvSP_.num_vgpr, 26
	.set _ZN7rocprim17ROCPRIM_400000_NS6detail17trampoline_kernelINS0_14default_configENS1_32segmented_reduce_config_selectorIdEEZNS1_21segmented_reduce_implIS3_PKdPdPKidN6hipcub16HIPCUB_304000_NS6detail27convert_result_type_wrapperIS8_S9_N2at6native12_GLOBAL__N_19CustomMaxEEEEE10hipError_tPvRmT0_T1_jT2_SQ_T4_T3_P12ihipStream_tbEUlT_E_NS1_11comp_targetILNS1_3genE0ELNS1_11target_archE4294967295ELNS1_3gpuE0ELNS1_3repE0EEENS1_30default_config_static_selectorELNS0_4arch9wavefront6targetE0EEEvSP_.num_agpr, 0
	.set _ZN7rocprim17ROCPRIM_400000_NS6detail17trampoline_kernelINS0_14default_configENS1_32segmented_reduce_config_selectorIdEEZNS1_21segmented_reduce_implIS3_PKdPdPKidN6hipcub16HIPCUB_304000_NS6detail27convert_result_type_wrapperIS8_S9_N2at6native12_GLOBAL__N_19CustomMaxEEEEE10hipError_tPvRmT0_T1_jT2_SQ_T4_T3_P12ihipStream_tbEUlT_E_NS1_11comp_targetILNS1_3genE0ELNS1_11target_archE4294967295ELNS1_3gpuE0ELNS1_3repE0EEENS1_30default_config_static_selectorELNS0_4arch9wavefront6targetE0EEEvSP_.numbered_sgpr, 18
	.set _ZN7rocprim17ROCPRIM_400000_NS6detail17trampoline_kernelINS0_14default_configENS1_32segmented_reduce_config_selectorIdEEZNS1_21segmented_reduce_implIS3_PKdPdPKidN6hipcub16HIPCUB_304000_NS6detail27convert_result_type_wrapperIS8_S9_N2at6native12_GLOBAL__N_19CustomMaxEEEEE10hipError_tPvRmT0_T1_jT2_SQ_T4_T3_P12ihipStream_tbEUlT_E_NS1_11comp_targetILNS1_3genE0ELNS1_11target_archE4294967295ELNS1_3gpuE0ELNS1_3repE0EEENS1_30default_config_static_selectorELNS0_4arch9wavefront6targetE0EEEvSP_.num_named_barrier, 0
	.set _ZN7rocprim17ROCPRIM_400000_NS6detail17trampoline_kernelINS0_14default_configENS1_32segmented_reduce_config_selectorIdEEZNS1_21segmented_reduce_implIS3_PKdPdPKidN6hipcub16HIPCUB_304000_NS6detail27convert_result_type_wrapperIS8_S9_N2at6native12_GLOBAL__N_19CustomMaxEEEEE10hipError_tPvRmT0_T1_jT2_SQ_T4_T3_P12ihipStream_tbEUlT_E_NS1_11comp_targetILNS1_3genE0ELNS1_11target_archE4294967295ELNS1_3gpuE0ELNS1_3repE0EEENS1_30default_config_static_selectorELNS0_4arch9wavefront6targetE0EEEvSP_.private_seg_size, 0
	.set _ZN7rocprim17ROCPRIM_400000_NS6detail17trampoline_kernelINS0_14default_configENS1_32segmented_reduce_config_selectorIdEEZNS1_21segmented_reduce_implIS3_PKdPdPKidN6hipcub16HIPCUB_304000_NS6detail27convert_result_type_wrapperIS8_S9_N2at6native12_GLOBAL__N_19CustomMaxEEEEE10hipError_tPvRmT0_T1_jT2_SQ_T4_T3_P12ihipStream_tbEUlT_E_NS1_11comp_targetILNS1_3genE0ELNS1_11target_archE4294967295ELNS1_3gpuE0ELNS1_3repE0EEENS1_30default_config_static_selectorELNS0_4arch9wavefront6targetE0EEEvSP_.uses_vcc, 1
	.set _ZN7rocprim17ROCPRIM_400000_NS6detail17trampoline_kernelINS0_14default_configENS1_32segmented_reduce_config_selectorIdEEZNS1_21segmented_reduce_implIS3_PKdPdPKidN6hipcub16HIPCUB_304000_NS6detail27convert_result_type_wrapperIS8_S9_N2at6native12_GLOBAL__N_19CustomMaxEEEEE10hipError_tPvRmT0_T1_jT2_SQ_T4_T3_P12ihipStream_tbEUlT_E_NS1_11comp_targetILNS1_3genE0ELNS1_11target_archE4294967295ELNS1_3gpuE0ELNS1_3repE0EEENS1_30default_config_static_selectorELNS0_4arch9wavefront6targetE0EEEvSP_.uses_flat_scratch, 0
	.set _ZN7rocprim17ROCPRIM_400000_NS6detail17trampoline_kernelINS0_14default_configENS1_32segmented_reduce_config_selectorIdEEZNS1_21segmented_reduce_implIS3_PKdPdPKidN6hipcub16HIPCUB_304000_NS6detail27convert_result_type_wrapperIS8_S9_N2at6native12_GLOBAL__N_19CustomMaxEEEEE10hipError_tPvRmT0_T1_jT2_SQ_T4_T3_P12ihipStream_tbEUlT_E_NS1_11comp_targetILNS1_3genE0ELNS1_11target_archE4294967295ELNS1_3gpuE0ELNS1_3repE0EEENS1_30default_config_static_selectorELNS0_4arch9wavefront6targetE0EEEvSP_.has_dyn_sized_stack, 0
	.set _ZN7rocprim17ROCPRIM_400000_NS6detail17trampoline_kernelINS0_14default_configENS1_32segmented_reduce_config_selectorIdEEZNS1_21segmented_reduce_implIS3_PKdPdPKidN6hipcub16HIPCUB_304000_NS6detail27convert_result_type_wrapperIS8_S9_N2at6native12_GLOBAL__N_19CustomMaxEEEEE10hipError_tPvRmT0_T1_jT2_SQ_T4_T3_P12ihipStream_tbEUlT_E_NS1_11comp_targetILNS1_3genE0ELNS1_11target_archE4294967295ELNS1_3gpuE0ELNS1_3repE0EEENS1_30default_config_static_selectorELNS0_4arch9wavefront6targetE0EEEvSP_.has_recursion, 0
	.set _ZN7rocprim17ROCPRIM_400000_NS6detail17trampoline_kernelINS0_14default_configENS1_32segmented_reduce_config_selectorIdEEZNS1_21segmented_reduce_implIS3_PKdPdPKidN6hipcub16HIPCUB_304000_NS6detail27convert_result_type_wrapperIS8_S9_N2at6native12_GLOBAL__N_19CustomMaxEEEEE10hipError_tPvRmT0_T1_jT2_SQ_T4_T3_P12ihipStream_tbEUlT_E_NS1_11comp_targetILNS1_3genE0ELNS1_11target_archE4294967295ELNS1_3gpuE0ELNS1_3repE0EEENS1_30default_config_static_selectorELNS0_4arch9wavefront6targetE0EEEvSP_.has_indirect_call, 0
	.section	.AMDGPU.csdata,"",@progbits
; Kernel info:
; codeLenInByte = 5612
; TotalNumSgprs: 20
; NumVgprs: 26
; ScratchSize: 0
; MemoryBound: 0
; FloatMode: 240
; IeeeMode: 1
; LDSByteSize: 64 bytes/workgroup (compile time only)
; SGPRBlocks: 0
; VGPRBlocks: 1
; NumSGPRsForWavesPerEU: 20
; NumVGPRsForWavesPerEU: 26
; NamedBarCnt: 0
; Occupancy: 16
; WaveLimiterHint : 1
; COMPUTE_PGM_RSRC2:SCRATCH_EN: 0
; COMPUTE_PGM_RSRC2:USER_SGPR: 2
; COMPUTE_PGM_RSRC2:TRAP_HANDLER: 0
; COMPUTE_PGM_RSRC2:TGID_X_EN: 1
; COMPUTE_PGM_RSRC2:TGID_Y_EN: 0
; COMPUTE_PGM_RSRC2:TGID_Z_EN: 0
; COMPUTE_PGM_RSRC2:TIDIG_COMP_CNT: 0
	.section	.text._ZN7rocprim17ROCPRIM_400000_NS6detail17trampoline_kernelINS0_14default_configENS1_32segmented_reduce_config_selectorIdEEZNS1_21segmented_reduce_implIS3_PKdPdPKidN6hipcub16HIPCUB_304000_NS6detail27convert_result_type_wrapperIS8_S9_N2at6native12_GLOBAL__N_19CustomMaxEEEEE10hipError_tPvRmT0_T1_jT2_SQ_T4_T3_P12ihipStream_tbEUlT_E_NS1_11comp_targetILNS1_3genE5ELNS1_11target_archE942ELNS1_3gpuE9ELNS1_3repE0EEENS1_30default_config_static_selectorELNS0_4arch9wavefront6targetE0EEEvSP_,"axG",@progbits,_ZN7rocprim17ROCPRIM_400000_NS6detail17trampoline_kernelINS0_14default_configENS1_32segmented_reduce_config_selectorIdEEZNS1_21segmented_reduce_implIS3_PKdPdPKidN6hipcub16HIPCUB_304000_NS6detail27convert_result_type_wrapperIS8_S9_N2at6native12_GLOBAL__N_19CustomMaxEEEEE10hipError_tPvRmT0_T1_jT2_SQ_T4_T3_P12ihipStream_tbEUlT_E_NS1_11comp_targetILNS1_3genE5ELNS1_11target_archE942ELNS1_3gpuE9ELNS1_3repE0EEENS1_30default_config_static_selectorELNS0_4arch9wavefront6targetE0EEEvSP_,comdat
	.globl	_ZN7rocprim17ROCPRIM_400000_NS6detail17trampoline_kernelINS0_14default_configENS1_32segmented_reduce_config_selectorIdEEZNS1_21segmented_reduce_implIS3_PKdPdPKidN6hipcub16HIPCUB_304000_NS6detail27convert_result_type_wrapperIS8_S9_N2at6native12_GLOBAL__N_19CustomMaxEEEEE10hipError_tPvRmT0_T1_jT2_SQ_T4_T3_P12ihipStream_tbEUlT_E_NS1_11comp_targetILNS1_3genE5ELNS1_11target_archE942ELNS1_3gpuE9ELNS1_3repE0EEENS1_30default_config_static_selectorELNS0_4arch9wavefront6targetE0EEEvSP_ ; -- Begin function _ZN7rocprim17ROCPRIM_400000_NS6detail17trampoline_kernelINS0_14default_configENS1_32segmented_reduce_config_selectorIdEEZNS1_21segmented_reduce_implIS3_PKdPdPKidN6hipcub16HIPCUB_304000_NS6detail27convert_result_type_wrapperIS8_S9_N2at6native12_GLOBAL__N_19CustomMaxEEEEE10hipError_tPvRmT0_T1_jT2_SQ_T4_T3_P12ihipStream_tbEUlT_E_NS1_11comp_targetILNS1_3genE5ELNS1_11target_archE942ELNS1_3gpuE9ELNS1_3repE0EEENS1_30default_config_static_selectorELNS0_4arch9wavefront6targetE0EEEvSP_
	.p2align	8
	.type	_ZN7rocprim17ROCPRIM_400000_NS6detail17trampoline_kernelINS0_14default_configENS1_32segmented_reduce_config_selectorIdEEZNS1_21segmented_reduce_implIS3_PKdPdPKidN6hipcub16HIPCUB_304000_NS6detail27convert_result_type_wrapperIS8_S9_N2at6native12_GLOBAL__N_19CustomMaxEEEEE10hipError_tPvRmT0_T1_jT2_SQ_T4_T3_P12ihipStream_tbEUlT_E_NS1_11comp_targetILNS1_3genE5ELNS1_11target_archE942ELNS1_3gpuE9ELNS1_3repE0EEENS1_30default_config_static_selectorELNS0_4arch9wavefront6targetE0EEEvSP_,@function
_ZN7rocprim17ROCPRIM_400000_NS6detail17trampoline_kernelINS0_14default_configENS1_32segmented_reduce_config_selectorIdEEZNS1_21segmented_reduce_implIS3_PKdPdPKidN6hipcub16HIPCUB_304000_NS6detail27convert_result_type_wrapperIS8_S9_N2at6native12_GLOBAL__N_19CustomMaxEEEEE10hipError_tPvRmT0_T1_jT2_SQ_T4_T3_P12ihipStream_tbEUlT_E_NS1_11comp_targetILNS1_3genE5ELNS1_11target_archE942ELNS1_3gpuE9ELNS1_3repE0EEENS1_30default_config_static_selectorELNS0_4arch9wavefront6targetE0EEEvSP_: ; @_ZN7rocprim17ROCPRIM_400000_NS6detail17trampoline_kernelINS0_14default_configENS1_32segmented_reduce_config_selectorIdEEZNS1_21segmented_reduce_implIS3_PKdPdPKidN6hipcub16HIPCUB_304000_NS6detail27convert_result_type_wrapperIS8_S9_N2at6native12_GLOBAL__N_19CustomMaxEEEEE10hipError_tPvRmT0_T1_jT2_SQ_T4_T3_P12ihipStream_tbEUlT_E_NS1_11comp_targetILNS1_3genE5ELNS1_11target_archE942ELNS1_3gpuE9ELNS1_3repE0EEENS1_30default_config_static_selectorELNS0_4arch9wavefront6targetE0EEEvSP_
; %bb.0:
	.section	.rodata,"a",@progbits
	.p2align	6, 0x0
	.amdhsa_kernel _ZN7rocprim17ROCPRIM_400000_NS6detail17trampoline_kernelINS0_14default_configENS1_32segmented_reduce_config_selectorIdEEZNS1_21segmented_reduce_implIS3_PKdPdPKidN6hipcub16HIPCUB_304000_NS6detail27convert_result_type_wrapperIS8_S9_N2at6native12_GLOBAL__N_19CustomMaxEEEEE10hipError_tPvRmT0_T1_jT2_SQ_T4_T3_P12ihipStream_tbEUlT_E_NS1_11comp_targetILNS1_3genE5ELNS1_11target_archE942ELNS1_3gpuE9ELNS1_3repE0EEENS1_30default_config_static_selectorELNS0_4arch9wavefront6targetE0EEEvSP_
		.amdhsa_group_segment_fixed_size 0
		.amdhsa_private_segment_fixed_size 0
		.amdhsa_kernarg_size 56
		.amdhsa_user_sgpr_count 2
		.amdhsa_user_sgpr_dispatch_ptr 0
		.amdhsa_user_sgpr_queue_ptr 0
		.amdhsa_user_sgpr_kernarg_segment_ptr 1
		.amdhsa_user_sgpr_dispatch_id 0
		.amdhsa_user_sgpr_kernarg_preload_length 0
		.amdhsa_user_sgpr_kernarg_preload_offset 0
		.amdhsa_user_sgpr_private_segment_size 0
		.amdhsa_wavefront_size32 1
		.amdhsa_uses_dynamic_stack 0
		.amdhsa_enable_private_segment 0
		.amdhsa_system_sgpr_workgroup_id_x 1
		.amdhsa_system_sgpr_workgroup_id_y 0
		.amdhsa_system_sgpr_workgroup_id_z 0
		.amdhsa_system_sgpr_workgroup_info 0
		.amdhsa_system_vgpr_workitem_id 0
		.amdhsa_next_free_vgpr 1
		.amdhsa_next_free_sgpr 1
		.amdhsa_named_barrier_count 0
		.amdhsa_reserve_vcc 0
		.amdhsa_float_round_mode_32 0
		.amdhsa_float_round_mode_16_64 0
		.amdhsa_float_denorm_mode_32 3
		.amdhsa_float_denorm_mode_16_64 3
		.amdhsa_fp16_overflow 0
		.amdhsa_memory_ordered 1
		.amdhsa_forward_progress 1
		.amdhsa_inst_pref_size 0
		.amdhsa_round_robin_scheduling 0
		.amdhsa_exception_fp_ieee_invalid_op 0
		.amdhsa_exception_fp_denorm_src 0
		.amdhsa_exception_fp_ieee_div_zero 0
		.amdhsa_exception_fp_ieee_overflow 0
		.amdhsa_exception_fp_ieee_underflow 0
		.amdhsa_exception_fp_ieee_inexact 0
		.amdhsa_exception_int_div_zero 0
	.end_amdhsa_kernel
	.section	.text._ZN7rocprim17ROCPRIM_400000_NS6detail17trampoline_kernelINS0_14default_configENS1_32segmented_reduce_config_selectorIdEEZNS1_21segmented_reduce_implIS3_PKdPdPKidN6hipcub16HIPCUB_304000_NS6detail27convert_result_type_wrapperIS8_S9_N2at6native12_GLOBAL__N_19CustomMaxEEEEE10hipError_tPvRmT0_T1_jT2_SQ_T4_T3_P12ihipStream_tbEUlT_E_NS1_11comp_targetILNS1_3genE5ELNS1_11target_archE942ELNS1_3gpuE9ELNS1_3repE0EEENS1_30default_config_static_selectorELNS0_4arch9wavefront6targetE0EEEvSP_,"axG",@progbits,_ZN7rocprim17ROCPRIM_400000_NS6detail17trampoline_kernelINS0_14default_configENS1_32segmented_reduce_config_selectorIdEEZNS1_21segmented_reduce_implIS3_PKdPdPKidN6hipcub16HIPCUB_304000_NS6detail27convert_result_type_wrapperIS8_S9_N2at6native12_GLOBAL__N_19CustomMaxEEEEE10hipError_tPvRmT0_T1_jT2_SQ_T4_T3_P12ihipStream_tbEUlT_E_NS1_11comp_targetILNS1_3genE5ELNS1_11target_archE942ELNS1_3gpuE9ELNS1_3repE0EEENS1_30default_config_static_selectorELNS0_4arch9wavefront6targetE0EEEvSP_,comdat
.Lfunc_end10:
	.size	_ZN7rocprim17ROCPRIM_400000_NS6detail17trampoline_kernelINS0_14default_configENS1_32segmented_reduce_config_selectorIdEEZNS1_21segmented_reduce_implIS3_PKdPdPKidN6hipcub16HIPCUB_304000_NS6detail27convert_result_type_wrapperIS8_S9_N2at6native12_GLOBAL__N_19CustomMaxEEEEE10hipError_tPvRmT0_T1_jT2_SQ_T4_T3_P12ihipStream_tbEUlT_E_NS1_11comp_targetILNS1_3genE5ELNS1_11target_archE942ELNS1_3gpuE9ELNS1_3repE0EEENS1_30default_config_static_selectorELNS0_4arch9wavefront6targetE0EEEvSP_, .Lfunc_end10-_ZN7rocprim17ROCPRIM_400000_NS6detail17trampoline_kernelINS0_14default_configENS1_32segmented_reduce_config_selectorIdEEZNS1_21segmented_reduce_implIS3_PKdPdPKidN6hipcub16HIPCUB_304000_NS6detail27convert_result_type_wrapperIS8_S9_N2at6native12_GLOBAL__N_19CustomMaxEEEEE10hipError_tPvRmT0_T1_jT2_SQ_T4_T3_P12ihipStream_tbEUlT_E_NS1_11comp_targetILNS1_3genE5ELNS1_11target_archE942ELNS1_3gpuE9ELNS1_3repE0EEENS1_30default_config_static_selectorELNS0_4arch9wavefront6targetE0EEEvSP_
                                        ; -- End function
	.set _ZN7rocprim17ROCPRIM_400000_NS6detail17trampoline_kernelINS0_14default_configENS1_32segmented_reduce_config_selectorIdEEZNS1_21segmented_reduce_implIS3_PKdPdPKidN6hipcub16HIPCUB_304000_NS6detail27convert_result_type_wrapperIS8_S9_N2at6native12_GLOBAL__N_19CustomMaxEEEEE10hipError_tPvRmT0_T1_jT2_SQ_T4_T3_P12ihipStream_tbEUlT_E_NS1_11comp_targetILNS1_3genE5ELNS1_11target_archE942ELNS1_3gpuE9ELNS1_3repE0EEENS1_30default_config_static_selectorELNS0_4arch9wavefront6targetE0EEEvSP_.num_vgpr, 0
	.set _ZN7rocprim17ROCPRIM_400000_NS6detail17trampoline_kernelINS0_14default_configENS1_32segmented_reduce_config_selectorIdEEZNS1_21segmented_reduce_implIS3_PKdPdPKidN6hipcub16HIPCUB_304000_NS6detail27convert_result_type_wrapperIS8_S9_N2at6native12_GLOBAL__N_19CustomMaxEEEEE10hipError_tPvRmT0_T1_jT2_SQ_T4_T3_P12ihipStream_tbEUlT_E_NS1_11comp_targetILNS1_3genE5ELNS1_11target_archE942ELNS1_3gpuE9ELNS1_3repE0EEENS1_30default_config_static_selectorELNS0_4arch9wavefront6targetE0EEEvSP_.num_agpr, 0
	.set _ZN7rocprim17ROCPRIM_400000_NS6detail17trampoline_kernelINS0_14default_configENS1_32segmented_reduce_config_selectorIdEEZNS1_21segmented_reduce_implIS3_PKdPdPKidN6hipcub16HIPCUB_304000_NS6detail27convert_result_type_wrapperIS8_S9_N2at6native12_GLOBAL__N_19CustomMaxEEEEE10hipError_tPvRmT0_T1_jT2_SQ_T4_T3_P12ihipStream_tbEUlT_E_NS1_11comp_targetILNS1_3genE5ELNS1_11target_archE942ELNS1_3gpuE9ELNS1_3repE0EEENS1_30default_config_static_selectorELNS0_4arch9wavefront6targetE0EEEvSP_.numbered_sgpr, 0
	.set _ZN7rocprim17ROCPRIM_400000_NS6detail17trampoline_kernelINS0_14default_configENS1_32segmented_reduce_config_selectorIdEEZNS1_21segmented_reduce_implIS3_PKdPdPKidN6hipcub16HIPCUB_304000_NS6detail27convert_result_type_wrapperIS8_S9_N2at6native12_GLOBAL__N_19CustomMaxEEEEE10hipError_tPvRmT0_T1_jT2_SQ_T4_T3_P12ihipStream_tbEUlT_E_NS1_11comp_targetILNS1_3genE5ELNS1_11target_archE942ELNS1_3gpuE9ELNS1_3repE0EEENS1_30default_config_static_selectorELNS0_4arch9wavefront6targetE0EEEvSP_.num_named_barrier, 0
	.set _ZN7rocprim17ROCPRIM_400000_NS6detail17trampoline_kernelINS0_14default_configENS1_32segmented_reduce_config_selectorIdEEZNS1_21segmented_reduce_implIS3_PKdPdPKidN6hipcub16HIPCUB_304000_NS6detail27convert_result_type_wrapperIS8_S9_N2at6native12_GLOBAL__N_19CustomMaxEEEEE10hipError_tPvRmT0_T1_jT2_SQ_T4_T3_P12ihipStream_tbEUlT_E_NS1_11comp_targetILNS1_3genE5ELNS1_11target_archE942ELNS1_3gpuE9ELNS1_3repE0EEENS1_30default_config_static_selectorELNS0_4arch9wavefront6targetE0EEEvSP_.private_seg_size, 0
	.set _ZN7rocprim17ROCPRIM_400000_NS6detail17trampoline_kernelINS0_14default_configENS1_32segmented_reduce_config_selectorIdEEZNS1_21segmented_reduce_implIS3_PKdPdPKidN6hipcub16HIPCUB_304000_NS6detail27convert_result_type_wrapperIS8_S9_N2at6native12_GLOBAL__N_19CustomMaxEEEEE10hipError_tPvRmT0_T1_jT2_SQ_T4_T3_P12ihipStream_tbEUlT_E_NS1_11comp_targetILNS1_3genE5ELNS1_11target_archE942ELNS1_3gpuE9ELNS1_3repE0EEENS1_30default_config_static_selectorELNS0_4arch9wavefront6targetE0EEEvSP_.uses_vcc, 0
	.set _ZN7rocprim17ROCPRIM_400000_NS6detail17trampoline_kernelINS0_14default_configENS1_32segmented_reduce_config_selectorIdEEZNS1_21segmented_reduce_implIS3_PKdPdPKidN6hipcub16HIPCUB_304000_NS6detail27convert_result_type_wrapperIS8_S9_N2at6native12_GLOBAL__N_19CustomMaxEEEEE10hipError_tPvRmT0_T1_jT2_SQ_T4_T3_P12ihipStream_tbEUlT_E_NS1_11comp_targetILNS1_3genE5ELNS1_11target_archE942ELNS1_3gpuE9ELNS1_3repE0EEENS1_30default_config_static_selectorELNS0_4arch9wavefront6targetE0EEEvSP_.uses_flat_scratch, 0
	.set _ZN7rocprim17ROCPRIM_400000_NS6detail17trampoline_kernelINS0_14default_configENS1_32segmented_reduce_config_selectorIdEEZNS1_21segmented_reduce_implIS3_PKdPdPKidN6hipcub16HIPCUB_304000_NS6detail27convert_result_type_wrapperIS8_S9_N2at6native12_GLOBAL__N_19CustomMaxEEEEE10hipError_tPvRmT0_T1_jT2_SQ_T4_T3_P12ihipStream_tbEUlT_E_NS1_11comp_targetILNS1_3genE5ELNS1_11target_archE942ELNS1_3gpuE9ELNS1_3repE0EEENS1_30default_config_static_selectorELNS0_4arch9wavefront6targetE0EEEvSP_.has_dyn_sized_stack, 0
	.set _ZN7rocprim17ROCPRIM_400000_NS6detail17trampoline_kernelINS0_14default_configENS1_32segmented_reduce_config_selectorIdEEZNS1_21segmented_reduce_implIS3_PKdPdPKidN6hipcub16HIPCUB_304000_NS6detail27convert_result_type_wrapperIS8_S9_N2at6native12_GLOBAL__N_19CustomMaxEEEEE10hipError_tPvRmT0_T1_jT2_SQ_T4_T3_P12ihipStream_tbEUlT_E_NS1_11comp_targetILNS1_3genE5ELNS1_11target_archE942ELNS1_3gpuE9ELNS1_3repE0EEENS1_30default_config_static_selectorELNS0_4arch9wavefront6targetE0EEEvSP_.has_recursion, 0
	.set _ZN7rocprim17ROCPRIM_400000_NS6detail17trampoline_kernelINS0_14default_configENS1_32segmented_reduce_config_selectorIdEEZNS1_21segmented_reduce_implIS3_PKdPdPKidN6hipcub16HIPCUB_304000_NS6detail27convert_result_type_wrapperIS8_S9_N2at6native12_GLOBAL__N_19CustomMaxEEEEE10hipError_tPvRmT0_T1_jT2_SQ_T4_T3_P12ihipStream_tbEUlT_E_NS1_11comp_targetILNS1_3genE5ELNS1_11target_archE942ELNS1_3gpuE9ELNS1_3repE0EEENS1_30default_config_static_selectorELNS0_4arch9wavefront6targetE0EEEvSP_.has_indirect_call, 0
	.section	.AMDGPU.csdata,"",@progbits
; Kernel info:
; codeLenInByte = 0
; TotalNumSgprs: 0
; NumVgprs: 0
; ScratchSize: 0
; MemoryBound: 0
; FloatMode: 240
; IeeeMode: 1
; LDSByteSize: 0 bytes/workgroup (compile time only)
; SGPRBlocks: 0
; VGPRBlocks: 0
; NumSGPRsForWavesPerEU: 1
; NumVGPRsForWavesPerEU: 1
; NamedBarCnt: 0
; Occupancy: 16
; WaveLimiterHint : 0
; COMPUTE_PGM_RSRC2:SCRATCH_EN: 0
; COMPUTE_PGM_RSRC2:USER_SGPR: 2
; COMPUTE_PGM_RSRC2:TRAP_HANDLER: 0
; COMPUTE_PGM_RSRC2:TGID_X_EN: 1
; COMPUTE_PGM_RSRC2:TGID_Y_EN: 0
; COMPUTE_PGM_RSRC2:TGID_Z_EN: 0
; COMPUTE_PGM_RSRC2:TIDIG_COMP_CNT: 0
	.section	.text._ZN7rocprim17ROCPRIM_400000_NS6detail17trampoline_kernelINS0_14default_configENS1_32segmented_reduce_config_selectorIdEEZNS1_21segmented_reduce_implIS3_PKdPdPKidN6hipcub16HIPCUB_304000_NS6detail27convert_result_type_wrapperIS8_S9_N2at6native12_GLOBAL__N_19CustomMaxEEEEE10hipError_tPvRmT0_T1_jT2_SQ_T4_T3_P12ihipStream_tbEUlT_E_NS1_11comp_targetILNS1_3genE10ELNS1_11target_archE1201ELNS1_3gpuE5ELNS1_3repE0EEENS1_30default_config_static_selectorELNS0_4arch9wavefront6targetE0EEEvSP_,"axG",@progbits,_ZN7rocprim17ROCPRIM_400000_NS6detail17trampoline_kernelINS0_14default_configENS1_32segmented_reduce_config_selectorIdEEZNS1_21segmented_reduce_implIS3_PKdPdPKidN6hipcub16HIPCUB_304000_NS6detail27convert_result_type_wrapperIS8_S9_N2at6native12_GLOBAL__N_19CustomMaxEEEEE10hipError_tPvRmT0_T1_jT2_SQ_T4_T3_P12ihipStream_tbEUlT_E_NS1_11comp_targetILNS1_3genE10ELNS1_11target_archE1201ELNS1_3gpuE5ELNS1_3repE0EEENS1_30default_config_static_selectorELNS0_4arch9wavefront6targetE0EEEvSP_,comdat
	.globl	_ZN7rocprim17ROCPRIM_400000_NS6detail17trampoline_kernelINS0_14default_configENS1_32segmented_reduce_config_selectorIdEEZNS1_21segmented_reduce_implIS3_PKdPdPKidN6hipcub16HIPCUB_304000_NS6detail27convert_result_type_wrapperIS8_S9_N2at6native12_GLOBAL__N_19CustomMaxEEEEE10hipError_tPvRmT0_T1_jT2_SQ_T4_T3_P12ihipStream_tbEUlT_E_NS1_11comp_targetILNS1_3genE10ELNS1_11target_archE1201ELNS1_3gpuE5ELNS1_3repE0EEENS1_30default_config_static_selectorELNS0_4arch9wavefront6targetE0EEEvSP_ ; -- Begin function _ZN7rocprim17ROCPRIM_400000_NS6detail17trampoline_kernelINS0_14default_configENS1_32segmented_reduce_config_selectorIdEEZNS1_21segmented_reduce_implIS3_PKdPdPKidN6hipcub16HIPCUB_304000_NS6detail27convert_result_type_wrapperIS8_S9_N2at6native12_GLOBAL__N_19CustomMaxEEEEE10hipError_tPvRmT0_T1_jT2_SQ_T4_T3_P12ihipStream_tbEUlT_E_NS1_11comp_targetILNS1_3genE10ELNS1_11target_archE1201ELNS1_3gpuE5ELNS1_3repE0EEENS1_30default_config_static_selectorELNS0_4arch9wavefront6targetE0EEEvSP_
	.p2align	8
	.type	_ZN7rocprim17ROCPRIM_400000_NS6detail17trampoline_kernelINS0_14default_configENS1_32segmented_reduce_config_selectorIdEEZNS1_21segmented_reduce_implIS3_PKdPdPKidN6hipcub16HIPCUB_304000_NS6detail27convert_result_type_wrapperIS8_S9_N2at6native12_GLOBAL__N_19CustomMaxEEEEE10hipError_tPvRmT0_T1_jT2_SQ_T4_T3_P12ihipStream_tbEUlT_E_NS1_11comp_targetILNS1_3genE10ELNS1_11target_archE1201ELNS1_3gpuE5ELNS1_3repE0EEENS1_30default_config_static_selectorELNS0_4arch9wavefront6targetE0EEEvSP_,@function
_ZN7rocprim17ROCPRIM_400000_NS6detail17trampoline_kernelINS0_14default_configENS1_32segmented_reduce_config_selectorIdEEZNS1_21segmented_reduce_implIS3_PKdPdPKidN6hipcub16HIPCUB_304000_NS6detail27convert_result_type_wrapperIS8_S9_N2at6native12_GLOBAL__N_19CustomMaxEEEEE10hipError_tPvRmT0_T1_jT2_SQ_T4_T3_P12ihipStream_tbEUlT_E_NS1_11comp_targetILNS1_3genE10ELNS1_11target_archE1201ELNS1_3gpuE5ELNS1_3repE0EEENS1_30default_config_static_selectorELNS0_4arch9wavefront6targetE0EEEvSP_: ; @_ZN7rocprim17ROCPRIM_400000_NS6detail17trampoline_kernelINS0_14default_configENS1_32segmented_reduce_config_selectorIdEEZNS1_21segmented_reduce_implIS3_PKdPdPKidN6hipcub16HIPCUB_304000_NS6detail27convert_result_type_wrapperIS8_S9_N2at6native12_GLOBAL__N_19CustomMaxEEEEE10hipError_tPvRmT0_T1_jT2_SQ_T4_T3_P12ihipStream_tbEUlT_E_NS1_11comp_targetILNS1_3genE10ELNS1_11target_archE1201ELNS1_3gpuE5ELNS1_3repE0EEENS1_30default_config_static_selectorELNS0_4arch9wavefront6targetE0EEEvSP_
; %bb.0:
	.section	.rodata,"a",@progbits
	.p2align	6, 0x0
	.amdhsa_kernel _ZN7rocprim17ROCPRIM_400000_NS6detail17trampoline_kernelINS0_14default_configENS1_32segmented_reduce_config_selectorIdEEZNS1_21segmented_reduce_implIS3_PKdPdPKidN6hipcub16HIPCUB_304000_NS6detail27convert_result_type_wrapperIS8_S9_N2at6native12_GLOBAL__N_19CustomMaxEEEEE10hipError_tPvRmT0_T1_jT2_SQ_T4_T3_P12ihipStream_tbEUlT_E_NS1_11comp_targetILNS1_3genE10ELNS1_11target_archE1201ELNS1_3gpuE5ELNS1_3repE0EEENS1_30default_config_static_selectorELNS0_4arch9wavefront6targetE0EEEvSP_
		.amdhsa_group_segment_fixed_size 0
		.amdhsa_private_segment_fixed_size 0
		.amdhsa_kernarg_size 56
		.amdhsa_user_sgpr_count 2
		.amdhsa_user_sgpr_dispatch_ptr 0
		.amdhsa_user_sgpr_queue_ptr 0
		.amdhsa_user_sgpr_kernarg_segment_ptr 1
		.amdhsa_user_sgpr_dispatch_id 0
		.amdhsa_user_sgpr_kernarg_preload_length 0
		.amdhsa_user_sgpr_kernarg_preload_offset 0
		.amdhsa_user_sgpr_private_segment_size 0
		.amdhsa_wavefront_size32 1
		.amdhsa_uses_dynamic_stack 0
		.amdhsa_enable_private_segment 0
		.amdhsa_system_sgpr_workgroup_id_x 1
		.amdhsa_system_sgpr_workgroup_id_y 0
		.amdhsa_system_sgpr_workgroup_id_z 0
		.amdhsa_system_sgpr_workgroup_info 0
		.amdhsa_system_vgpr_workitem_id 0
		.amdhsa_next_free_vgpr 1
		.amdhsa_next_free_sgpr 1
		.amdhsa_named_barrier_count 0
		.amdhsa_reserve_vcc 0
		.amdhsa_float_round_mode_32 0
		.amdhsa_float_round_mode_16_64 0
		.amdhsa_float_denorm_mode_32 3
		.amdhsa_float_denorm_mode_16_64 3
		.amdhsa_fp16_overflow 0
		.amdhsa_memory_ordered 1
		.amdhsa_forward_progress 1
		.amdhsa_inst_pref_size 0
		.amdhsa_round_robin_scheduling 0
		.amdhsa_exception_fp_ieee_invalid_op 0
		.amdhsa_exception_fp_denorm_src 0
		.amdhsa_exception_fp_ieee_div_zero 0
		.amdhsa_exception_fp_ieee_overflow 0
		.amdhsa_exception_fp_ieee_underflow 0
		.amdhsa_exception_fp_ieee_inexact 0
		.amdhsa_exception_int_div_zero 0
	.end_amdhsa_kernel
	.section	.text._ZN7rocprim17ROCPRIM_400000_NS6detail17trampoline_kernelINS0_14default_configENS1_32segmented_reduce_config_selectorIdEEZNS1_21segmented_reduce_implIS3_PKdPdPKidN6hipcub16HIPCUB_304000_NS6detail27convert_result_type_wrapperIS8_S9_N2at6native12_GLOBAL__N_19CustomMaxEEEEE10hipError_tPvRmT0_T1_jT2_SQ_T4_T3_P12ihipStream_tbEUlT_E_NS1_11comp_targetILNS1_3genE10ELNS1_11target_archE1201ELNS1_3gpuE5ELNS1_3repE0EEENS1_30default_config_static_selectorELNS0_4arch9wavefront6targetE0EEEvSP_,"axG",@progbits,_ZN7rocprim17ROCPRIM_400000_NS6detail17trampoline_kernelINS0_14default_configENS1_32segmented_reduce_config_selectorIdEEZNS1_21segmented_reduce_implIS3_PKdPdPKidN6hipcub16HIPCUB_304000_NS6detail27convert_result_type_wrapperIS8_S9_N2at6native12_GLOBAL__N_19CustomMaxEEEEE10hipError_tPvRmT0_T1_jT2_SQ_T4_T3_P12ihipStream_tbEUlT_E_NS1_11comp_targetILNS1_3genE10ELNS1_11target_archE1201ELNS1_3gpuE5ELNS1_3repE0EEENS1_30default_config_static_selectorELNS0_4arch9wavefront6targetE0EEEvSP_,comdat
.Lfunc_end11:
	.size	_ZN7rocprim17ROCPRIM_400000_NS6detail17trampoline_kernelINS0_14default_configENS1_32segmented_reduce_config_selectorIdEEZNS1_21segmented_reduce_implIS3_PKdPdPKidN6hipcub16HIPCUB_304000_NS6detail27convert_result_type_wrapperIS8_S9_N2at6native12_GLOBAL__N_19CustomMaxEEEEE10hipError_tPvRmT0_T1_jT2_SQ_T4_T3_P12ihipStream_tbEUlT_E_NS1_11comp_targetILNS1_3genE10ELNS1_11target_archE1201ELNS1_3gpuE5ELNS1_3repE0EEENS1_30default_config_static_selectorELNS0_4arch9wavefront6targetE0EEEvSP_, .Lfunc_end11-_ZN7rocprim17ROCPRIM_400000_NS6detail17trampoline_kernelINS0_14default_configENS1_32segmented_reduce_config_selectorIdEEZNS1_21segmented_reduce_implIS3_PKdPdPKidN6hipcub16HIPCUB_304000_NS6detail27convert_result_type_wrapperIS8_S9_N2at6native12_GLOBAL__N_19CustomMaxEEEEE10hipError_tPvRmT0_T1_jT2_SQ_T4_T3_P12ihipStream_tbEUlT_E_NS1_11comp_targetILNS1_3genE10ELNS1_11target_archE1201ELNS1_3gpuE5ELNS1_3repE0EEENS1_30default_config_static_selectorELNS0_4arch9wavefront6targetE0EEEvSP_
                                        ; -- End function
	.set _ZN7rocprim17ROCPRIM_400000_NS6detail17trampoline_kernelINS0_14default_configENS1_32segmented_reduce_config_selectorIdEEZNS1_21segmented_reduce_implIS3_PKdPdPKidN6hipcub16HIPCUB_304000_NS6detail27convert_result_type_wrapperIS8_S9_N2at6native12_GLOBAL__N_19CustomMaxEEEEE10hipError_tPvRmT0_T1_jT2_SQ_T4_T3_P12ihipStream_tbEUlT_E_NS1_11comp_targetILNS1_3genE10ELNS1_11target_archE1201ELNS1_3gpuE5ELNS1_3repE0EEENS1_30default_config_static_selectorELNS0_4arch9wavefront6targetE0EEEvSP_.num_vgpr, 0
	.set _ZN7rocprim17ROCPRIM_400000_NS6detail17trampoline_kernelINS0_14default_configENS1_32segmented_reduce_config_selectorIdEEZNS1_21segmented_reduce_implIS3_PKdPdPKidN6hipcub16HIPCUB_304000_NS6detail27convert_result_type_wrapperIS8_S9_N2at6native12_GLOBAL__N_19CustomMaxEEEEE10hipError_tPvRmT0_T1_jT2_SQ_T4_T3_P12ihipStream_tbEUlT_E_NS1_11comp_targetILNS1_3genE10ELNS1_11target_archE1201ELNS1_3gpuE5ELNS1_3repE0EEENS1_30default_config_static_selectorELNS0_4arch9wavefront6targetE0EEEvSP_.num_agpr, 0
	.set _ZN7rocprim17ROCPRIM_400000_NS6detail17trampoline_kernelINS0_14default_configENS1_32segmented_reduce_config_selectorIdEEZNS1_21segmented_reduce_implIS3_PKdPdPKidN6hipcub16HIPCUB_304000_NS6detail27convert_result_type_wrapperIS8_S9_N2at6native12_GLOBAL__N_19CustomMaxEEEEE10hipError_tPvRmT0_T1_jT2_SQ_T4_T3_P12ihipStream_tbEUlT_E_NS1_11comp_targetILNS1_3genE10ELNS1_11target_archE1201ELNS1_3gpuE5ELNS1_3repE0EEENS1_30default_config_static_selectorELNS0_4arch9wavefront6targetE0EEEvSP_.numbered_sgpr, 0
	.set _ZN7rocprim17ROCPRIM_400000_NS6detail17trampoline_kernelINS0_14default_configENS1_32segmented_reduce_config_selectorIdEEZNS1_21segmented_reduce_implIS3_PKdPdPKidN6hipcub16HIPCUB_304000_NS6detail27convert_result_type_wrapperIS8_S9_N2at6native12_GLOBAL__N_19CustomMaxEEEEE10hipError_tPvRmT0_T1_jT2_SQ_T4_T3_P12ihipStream_tbEUlT_E_NS1_11comp_targetILNS1_3genE10ELNS1_11target_archE1201ELNS1_3gpuE5ELNS1_3repE0EEENS1_30default_config_static_selectorELNS0_4arch9wavefront6targetE0EEEvSP_.num_named_barrier, 0
	.set _ZN7rocprim17ROCPRIM_400000_NS6detail17trampoline_kernelINS0_14default_configENS1_32segmented_reduce_config_selectorIdEEZNS1_21segmented_reduce_implIS3_PKdPdPKidN6hipcub16HIPCUB_304000_NS6detail27convert_result_type_wrapperIS8_S9_N2at6native12_GLOBAL__N_19CustomMaxEEEEE10hipError_tPvRmT0_T1_jT2_SQ_T4_T3_P12ihipStream_tbEUlT_E_NS1_11comp_targetILNS1_3genE10ELNS1_11target_archE1201ELNS1_3gpuE5ELNS1_3repE0EEENS1_30default_config_static_selectorELNS0_4arch9wavefront6targetE0EEEvSP_.private_seg_size, 0
	.set _ZN7rocprim17ROCPRIM_400000_NS6detail17trampoline_kernelINS0_14default_configENS1_32segmented_reduce_config_selectorIdEEZNS1_21segmented_reduce_implIS3_PKdPdPKidN6hipcub16HIPCUB_304000_NS6detail27convert_result_type_wrapperIS8_S9_N2at6native12_GLOBAL__N_19CustomMaxEEEEE10hipError_tPvRmT0_T1_jT2_SQ_T4_T3_P12ihipStream_tbEUlT_E_NS1_11comp_targetILNS1_3genE10ELNS1_11target_archE1201ELNS1_3gpuE5ELNS1_3repE0EEENS1_30default_config_static_selectorELNS0_4arch9wavefront6targetE0EEEvSP_.uses_vcc, 0
	.set _ZN7rocprim17ROCPRIM_400000_NS6detail17trampoline_kernelINS0_14default_configENS1_32segmented_reduce_config_selectorIdEEZNS1_21segmented_reduce_implIS3_PKdPdPKidN6hipcub16HIPCUB_304000_NS6detail27convert_result_type_wrapperIS8_S9_N2at6native12_GLOBAL__N_19CustomMaxEEEEE10hipError_tPvRmT0_T1_jT2_SQ_T4_T3_P12ihipStream_tbEUlT_E_NS1_11comp_targetILNS1_3genE10ELNS1_11target_archE1201ELNS1_3gpuE5ELNS1_3repE0EEENS1_30default_config_static_selectorELNS0_4arch9wavefront6targetE0EEEvSP_.uses_flat_scratch, 0
	.set _ZN7rocprim17ROCPRIM_400000_NS6detail17trampoline_kernelINS0_14default_configENS1_32segmented_reduce_config_selectorIdEEZNS1_21segmented_reduce_implIS3_PKdPdPKidN6hipcub16HIPCUB_304000_NS6detail27convert_result_type_wrapperIS8_S9_N2at6native12_GLOBAL__N_19CustomMaxEEEEE10hipError_tPvRmT0_T1_jT2_SQ_T4_T3_P12ihipStream_tbEUlT_E_NS1_11comp_targetILNS1_3genE10ELNS1_11target_archE1201ELNS1_3gpuE5ELNS1_3repE0EEENS1_30default_config_static_selectorELNS0_4arch9wavefront6targetE0EEEvSP_.has_dyn_sized_stack, 0
	.set _ZN7rocprim17ROCPRIM_400000_NS6detail17trampoline_kernelINS0_14default_configENS1_32segmented_reduce_config_selectorIdEEZNS1_21segmented_reduce_implIS3_PKdPdPKidN6hipcub16HIPCUB_304000_NS6detail27convert_result_type_wrapperIS8_S9_N2at6native12_GLOBAL__N_19CustomMaxEEEEE10hipError_tPvRmT0_T1_jT2_SQ_T4_T3_P12ihipStream_tbEUlT_E_NS1_11comp_targetILNS1_3genE10ELNS1_11target_archE1201ELNS1_3gpuE5ELNS1_3repE0EEENS1_30default_config_static_selectorELNS0_4arch9wavefront6targetE0EEEvSP_.has_recursion, 0
	.set _ZN7rocprim17ROCPRIM_400000_NS6detail17trampoline_kernelINS0_14default_configENS1_32segmented_reduce_config_selectorIdEEZNS1_21segmented_reduce_implIS3_PKdPdPKidN6hipcub16HIPCUB_304000_NS6detail27convert_result_type_wrapperIS8_S9_N2at6native12_GLOBAL__N_19CustomMaxEEEEE10hipError_tPvRmT0_T1_jT2_SQ_T4_T3_P12ihipStream_tbEUlT_E_NS1_11comp_targetILNS1_3genE10ELNS1_11target_archE1201ELNS1_3gpuE5ELNS1_3repE0EEENS1_30default_config_static_selectorELNS0_4arch9wavefront6targetE0EEEvSP_.has_indirect_call, 0
	.section	.AMDGPU.csdata,"",@progbits
; Kernel info:
; codeLenInByte = 0
; TotalNumSgprs: 0
; NumVgprs: 0
; ScratchSize: 0
; MemoryBound: 0
; FloatMode: 240
; IeeeMode: 1
; LDSByteSize: 0 bytes/workgroup (compile time only)
; SGPRBlocks: 0
; VGPRBlocks: 0
; NumSGPRsForWavesPerEU: 1
; NumVGPRsForWavesPerEU: 1
; NamedBarCnt: 0
; Occupancy: 16
; WaveLimiterHint : 0
; COMPUTE_PGM_RSRC2:SCRATCH_EN: 0
; COMPUTE_PGM_RSRC2:USER_SGPR: 2
; COMPUTE_PGM_RSRC2:TRAP_HANDLER: 0
; COMPUTE_PGM_RSRC2:TGID_X_EN: 1
; COMPUTE_PGM_RSRC2:TGID_Y_EN: 0
; COMPUTE_PGM_RSRC2:TGID_Z_EN: 0
; COMPUTE_PGM_RSRC2:TIDIG_COMP_CNT: 0
	.section	.text._ZN7rocprim17ROCPRIM_400000_NS6detail17trampoline_kernelINS0_14default_configENS1_32segmented_reduce_config_selectorIdEEZNS1_21segmented_reduce_implIS3_PKdPdPKidN6hipcub16HIPCUB_304000_NS6detail27convert_result_type_wrapperIS8_S9_N2at6native12_GLOBAL__N_19CustomMaxEEEEE10hipError_tPvRmT0_T1_jT2_SQ_T4_T3_P12ihipStream_tbEUlT_E_NS1_11comp_targetILNS1_3genE4ELNS1_11target_archE910ELNS1_3gpuE8ELNS1_3repE0EEENS1_30default_config_static_selectorELNS0_4arch9wavefront6targetE0EEEvSP_,"axG",@progbits,_ZN7rocprim17ROCPRIM_400000_NS6detail17trampoline_kernelINS0_14default_configENS1_32segmented_reduce_config_selectorIdEEZNS1_21segmented_reduce_implIS3_PKdPdPKidN6hipcub16HIPCUB_304000_NS6detail27convert_result_type_wrapperIS8_S9_N2at6native12_GLOBAL__N_19CustomMaxEEEEE10hipError_tPvRmT0_T1_jT2_SQ_T4_T3_P12ihipStream_tbEUlT_E_NS1_11comp_targetILNS1_3genE4ELNS1_11target_archE910ELNS1_3gpuE8ELNS1_3repE0EEENS1_30default_config_static_selectorELNS0_4arch9wavefront6targetE0EEEvSP_,comdat
	.globl	_ZN7rocprim17ROCPRIM_400000_NS6detail17trampoline_kernelINS0_14default_configENS1_32segmented_reduce_config_selectorIdEEZNS1_21segmented_reduce_implIS3_PKdPdPKidN6hipcub16HIPCUB_304000_NS6detail27convert_result_type_wrapperIS8_S9_N2at6native12_GLOBAL__N_19CustomMaxEEEEE10hipError_tPvRmT0_T1_jT2_SQ_T4_T3_P12ihipStream_tbEUlT_E_NS1_11comp_targetILNS1_3genE4ELNS1_11target_archE910ELNS1_3gpuE8ELNS1_3repE0EEENS1_30default_config_static_selectorELNS0_4arch9wavefront6targetE0EEEvSP_ ; -- Begin function _ZN7rocprim17ROCPRIM_400000_NS6detail17trampoline_kernelINS0_14default_configENS1_32segmented_reduce_config_selectorIdEEZNS1_21segmented_reduce_implIS3_PKdPdPKidN6hipcub16HIPCUB_304000_NS6detail27convert_result_type_wrapperIS8_S9_N2at6native12_GLOBAL__N_19CustomMaxEEEEE10hipError_tPvRmT0_T1_jT2_SQ_T4_T3_P12ihipStream_tbEUlT_E_NS1_11comp_targetILNS1_3genE4ELNS1_11target_archE910ELNS1_3gpuE8ELNS1_3repE0EEENS1_30default_config_static_selectorELNS0_4arch9wavefront6targetE0EEEvSP_
	.p2align	8
	.type	_ZN7rocprim17ROCPRIM_400000_NS6detail17trampoline_kernelINS0_14default_configENS1_32segmented_reduce_config_selectorIdEEZNS1_21segmented_reduce_implIS3_PKdPdPKidN6hipcub16HIPCUB_304000_NS6detail27convert_result_type_wrapperIS8_S9_N2at6native12_GLOBAL__N_19CustomMaxEEEEE10hipError_tPvRmT0_T1_jT2_SQ_T4_T3_P12ihipStream_tbEUlT_E_NS1_11comp_targetILNS1_3genE4ELNS1_11target_archE910ELNS1_3gpuE8ELNS1_3repE0EEENS1_30default_config_static_selectorELNS0_4arch9wavefront6targetE0EEEvSP_,@function
_ZN7rocprim17ROCPRIM_400000_NS6detail17trampoline_kernelINS0_14default_configENS1_32segmented_reduce_config_selectorIdEEZNS1_21segmented_reduce_implIS3_PKdPdPKidN6hipcub16HIPCUB_304000_NS6detail27convert_result_type_wrapperIS8_S9_N2at6native12_GLOBAL__N_19CustomMaxEEEEE10hipError_tPvRmT0_T1_jT2_SQ_T4_T3_P12ihipStream_tbEUlT_E_NS1_11comp_targetILNS1_3genE4ELNS1_11target_archE910ELNS1_3gpuE8ELNS1_3repE0EEENS1_30default_config_static_selectorELNS0_4arch9wavefront6targetE0EEEvSP_: ; @_ZN7rocprim17ROCPRIM_400000_NS6detail17trampoline_kernelINS0_14default_configENS1_32segmented_reduce_config_selectorIdEEZNS1_21segmented_reduce_implIS3_PKdPdPKidN6hipcub16HIPCUB_304000_NS6detail27convert_result_type_wrapperIS8_S9_N2at6native12_GLOBAL__N_19CustomMaxEEEEE10hipError_tPvRmT0_T1_jT2_SQ_T4_T3_P12ihipStream_tbEUlT_E_NS1_11comp_targetILNS1_3genE4ELNS1_11target_archE910ELNS1_3gpuE8ELNS1_3repE0EEENS1_30default_config_static_selectorELNS0_4arch9wavefront6targetE0EEEvSP_
; %bb.0:
	.section	.rodata,"a",@progbits
	.p2align	6, 0x0
	.amdhsa_kernel _ZN7rocprim17ROCPRIM_400000_NS6detail17trampoline_kernelINS0_14default_configENS1_32segmented_reduce_config_selectorIdEEZNS1_21segmented_reduce_implIS3_PKdPdPKidN6hipcub16HIPCUB_304000_NS6detail27convert_result_type_wrapperIS8_S9_N2at6native12_GLOBAL__N_19CustomMaxEEEEE10hipError_tPvRmT0_T1_jT2_SQ_T4_T3_P12ihipStream_tbEUlT_E_NS1_11comp_targetILNS1_3genE4ELNS1_11target_archE910ELNS1_3gpuE8ELNS1_3repE0EEENS1_30default_config_static_selectorELNS0_4arch9wavefront6targetE0EEEvSP_
		.amdhsa_group_segment_fixed_size 0
		.amdhsa_private_segment_fixed_size 0
		.amdhsa_kernarg_size 56
		.amdhsa_user_sgpr_count 2
		.amdhsa_user_sgpr_dispatch_ptr 0
		.amdhsa_user_sgpr_queue_ptr 0
		.amdhsa_user_sgpr_kernarg_segment_ptr 1
		.amdhsa_user_sgpr_dispatch_id 0
		.amdhsa_user_sgpr_kernarg_preload_length 0
		.amdhsa_user_sgpr_kernarg_preload_offset 0
		.amdhsa_user_sgpr_private_segment_size 0
		.amdhsa_wavefront_size32 1
		.amdhsa_uses_dynamic_stack 0
		.amdhsa_enable_private_segment 0
		.amdhsa_system_sgpr_workgroup_id_x 1
		.amdhsa_system_sgpr_workgroup_id_y 0
		.amdhsa_system_sgpr_workgroup_id_z 0
		.amdhsa_system_sgpr_workgroup_info 0
		.amdhsa_system_vgpr_workitem_id 0
		.amdhsa_next_free_vgpr 1
		.amdhsa_next_free_sgpr 1
		.amdhsa_named_barrier_count 0
		.amdhsa_reserve_vcc 0
		.amdhsa_float_round_mode_32 0
		.amdhsa_float_round_mode_16_64 0
		.amdhsa_float_denorm_mode_32 3
		.amdhsa_float_denorm_mode_16_64 3
		.amdhsa_fp16_overflow 0
		.amdhsa_memory_ordered 1
		.amdhsa_forward_progress 1
		.amdhsa_inst_pref_size 0
		.amdhsa_round_robin_scheduling 0
		.amdhsa_exception_fp_ieee_invalid_op 0
		.amdhsa_exception_fp_denorm_src 0
		.amdhsa_exception_fp_ieee_div_zero 0
		.amdhsa_exception_fp_ieee_overflow 0
		.amdhsa_exception_fp_ieee_underflow 0
		.amdhsa_exception_fp_ieee_inexact 0
		.amdhsa_exception_int_div_zero 0
	.end_amdhsa_kernel
	.section	.text._ZN7rocprim17ROCPRIM_400000_NS6detail17trampoline_kernelINS0_14default_configENS1_32segmented_reduce_config_selectorIdEEZNS1_21segmented_reduce_implIS3_PKdPdPKidN6hipcub16HIPCUB_304000_NS6detail27convert_result_type_wrapperIS8_S9_N2at6native12_GLOBAL__N_19CustomMaxEEEEE10hipError_tPvRmT0_T1_jT2_SQ_T4_T3_P12ihipStream_tbEUlT_E_NS1_11comp_targetILNS1_3genE4ELNS1_11target_archE910ELNS1_3gpuE8ELNS1_3repE0EEENS1_30default_config_static_selectorELNS0_4arch9wavefront6targetE0EEEvSP_,"axG",@progbits,_ZN7rocprim17ROCPRIM_400000_NS6detail17trampoline_kernelINS0_14default_configENS1_32segmented_reduce_config_selectorIdEEZNS1_21segmented_reduce_implIS3_PKdPdPKidN6hipcub16HIPCUB_304000_NS6detail27convert_result_type_wrapperIS8_S9_N2at6native12_GLOBAL__N_19CustomMaxEEEEE10hipError_tPvRmT0_T1_jT2_SQ_T4_T3_P12ihipStream_tbEUlT_E_NS1_11comp_targetILNS1_3genE4ELNS1_11target_archE910ELNS1_3gpuE8ELNS1_3repE0EEENS1_30default_config_static_selectorELNS0_4arch9wavefront6targetE0EEEvSP_,comdat
.Lfunc_end12:
	.size	_ZN7rocprim17ROCPRIM_400000_NS6detail17trampoline_kernelINS0_14default_configENS1_32segmented_reduce_config_selectorIdEEZNS1_21segmented_reduce_implIS3_PKdPdPKidN6hipcub16HIPCUB_304000_NS6detail27convert_result_type_wrapperIS8_S9_N2at6native12_GLOBAL__N_19CustomMaxEEEEE10hipError_tPvRmT0_T1_jT2_SQ_T4_T3_P12ihipStream_tbEUlT_E_NS1_11comp_targetILNS1_3genE4ELNS1_11target_archE910ELNS1_3gpuE8ELNS1_3repE0EEENS1_30default_config_static_selectorELNS0_4arch9wavefront6targetE0EEEvSP_, .Lfunc_end12-_ZN7rocprim17ROCPRIM_400000_NS6detail17trampoline_kernelINS0_14default_configENS1_32segmented_reduce_config_selectorIdEEZNS1_21segmented_reduce_implIS3_PKdPdPKidN6hipcub16HIPCUB_304000_NS6detail27convert_result_type_wrapperIS8_S9_N2at6native12_GLOBAL__N_19CustomMaxEEEEE10hipError_tPvRmT0_T1_jT2_SQ_T4_T3_P12ihipStream_tbEUlT_E_NS1_11comp_targetILNS1_3genE4ELNS1_11target_archE910ELNS1_3gpuE8ELNS1_3repE0EEENS1_30default_config_static_selectorELNS0_4arch9wavefront6targetE0EEEvSP_
                                        ; -- End function
	.set _ZN7rocprim17ROCPRIM_400000_NS6detail17trampoline_kernelINS0_14default_configENS1_32segmented_reduce_config_selectorIdEEZNS1_21segmented_reduce_implIS3_PKdPdPKidN6hipcub16HIPCUB_304000_NS6detail27convert_result_type_wrapperIS8_S9_N2at6native12_GLOBAL__N_19CustomMaxEEEEE10hipError_tPvRmT0_T1_jT2_SQ_T4_T3_P12ihipStream_tbEUlT_E_NS1_11comp_targetILNS1_3genE4ELNS1_11target_archE910ELNS1_3gpuE8ELNS1_3repE0EEENS1_30default_config_static_selectorELNS0_4arch9wavefront6targetE0EEEvSP_.num_vgpr, 0
	.set _ZN7rocprim17ROCPRIM_400000_NS6detail17trampoline_kernelINS0_14default_configENS1_32segmented_reduce_config_selectorIdEEZNS1_21segmented_reduce_implIS3_PKdPdPKidN6hipcub16HIPCUB_304000_NS6detail27convert_result_type_wrapperIS8_S9_N2at6native12_GLOBAL__N_19CustomMaxEEEEE10hipError_tPvRmT0_T1_jT2_SQ_T4_T3_P12ihipStream_tbEUlT_E_NS1_11comp_targetILNS1_3genE4ELNS1_11target_archE910ELNS1_3gpuE8ELNS1_3repE0EEENS1_30default_config_static_selectorELNS0_4arch9wavefront6targetE0EEEvSP_.num_agpr, 0
	.set _ZN7rocprim17ROCPRIM_400000_NS6detail17trampoline_kernelINS0_14default_configENS1_32segmented_reduce_config_selectorIdEEZNS1_21segmented_reduce_implIS3_PKdPdPKidN6hipcub16HIPCUB_304000_NS6detail27convert_result_type_wrapperIS8_S9_N2at6native12_GLOBAL__N_19CustomMaxEEEEE10hipError_tPvRmT0_T1_jT2_SQ_T4_T3_P12ihipStream_tbEUlT_E_NS1_11comp_targetILNS1_3genE4ELNS1_11target_archE910ELNS1_3gpuE8ELNS1_3repE0EEENS1_30default_config_static_selectorELNS0_4arch9wavefront6targetE0EEEvSP_.numbered_sgpr, 0
	.set _ZN7rocprim17ROCPRIM_400000_NS6detail17trampoline_kernelINS0_14default_configENS1_32segmented_reduce_config_selectorIdEEZNS1_21segmented_reduce_implIS3_PKdPdPKidN6hipcub16HIPCUB_304000_NS6detail27convert_result_type_wrapperIS8_S9_N2at6native12_GLOBAL__N_19CustomMaxEEEEE10hipError_tPvRmT0_T1_jT2_SQ_T4_T3_P12ihipStream_tbEUlT_E_NS1_11comp_targetILNS1_3genE4ELNS1_11target_archE910ELNS1_3gpuE8ELNS1_3repE0EEENS1_30default_config_static_selectorELNS0_4arch9wavefront6targetE0EEEvSP_.num_named_barrier, 0
	.set _ZN7rocprim17ROCPRIM_400000_NS6detail17trampoline_kernelINS0_14default_configENS1_32segmented_reduce_config_selectorIdEEZNS1_21segmented_reduce_implIS3_PKdPdPKidN6hipcub16HIPCUB_304000_NS6detail27convert_result_type_wrapperIS8_S9_N2at6native12_GLOBAL__N_19CustomMaxEEEEE10hipError_tPvRmT0_T1_jT2_SQ_T4_T3_P12ihipStream_tbEUlT_E_NS1_11comp_targetILNS1_3genE4ELNS1_11target_archE910ELNS1_3gpuE8ELNS1_3repE0EEENS1_30default_config_static_selectorELNS0_4arch9wavefront6targetE0EEEvSP_.private_seg_size, 0
	.set _ZN7rocprim17ROCPRIM_400000_NS6detail17trampoline_kernelINS0_14default_configENS1_32segmented_reduce_config_selectorIdEEZNS1_21segmented_reduce_implIS3_PKdPdPKidN6hipcub16HIPCUB_304000_NS6detail27convert_result_type_wrapperIS8_S9_N2at6native12_GLOBAL__N_19CustomMaxEEEEE10hipError_tPvRmT0_T1_jT2_SQ_T4_T3_P12ihipStream_tbEUlT_E_NS1_11comp_targetILNS1_3genE4ELNS1_11target_archE910ELNS1_3gpuE8ELNS1_3repE0EEENS1_30default_config_static_selectorELNS0_4arch9wavefront6targetE0EEEvSP_.uses_vcc, 0
	.set _ZN7rocprim17ROCPRIM_400000_NS6detail17trampoline_kernelINS0_14default_configENS1_32segmented_reduce_config_selectorIdEEZNS1_21segmented_reduce_implIS3_PKdPdPKidN6hipcub16HIPCUB_304000_NS6detail27convert_result_type_wrapperIS8_S9_N2at6native12_GLOBAL__N_19CustomMaxEEEEE10hipError_tPvRmT0_T1_jT2_SQ_T4_T3_P12ihipStream_tbEUlT_E_NS1_11comp_targetILNS1_3genE4ELNS1_11target_archE910ELNS1_3gpuE8ELNS1_3repE0EEENS1_30default_config_static_selectorELNS0_4arch9wavefront6targetE0EEEvSP_.uses_flat_scratch, 0
	.set _ZN7rocprim17ROCPRIM_400000_NS6detail17trampoline_kernelINS0_14default_configENS1_32segmented_reduce_config_selectorIdEEZNS1_21segmented_reduce_implIS3_PKdPdPKidN6hipcub16HIPCUB_304000_NS6detail27convert_result_type_wrapperIS8_S9_N2at6native12_GLOBAL__N_19CustomMaxEEEEE10hipError_tPvRmT0_T1_jT2_SQ_T4_T3_P12ihipStream_tbEUlT_E_NS1_11comp_targetILNS1_3genE4ELNS1_11target_archE910ELNS1_3gpuE8ELNS1_3repE0EEENS1_30default_config_static_selectorELNS0_4arch9wavefront6targetE0EEEvSP_.has_dyn_sized_stack, 0
	.set _ZN7rocprim17ROCPRIM_400000_NS6detail17trampoline_kernelINS0_14default_configENS1_32segmented_reduce_config_selectorIdEEZNS1_21segmented_reduce_implIS3_PKdPdPKidN6hipcub16HIPCUB_304000_NS6detail27convert_result_type_wrapperIS8_S9_N2at6native12_GLOBAL__N_19CustomMaxEEEEE10hipError_tPvRmT0_T1_jT2_SQ_T4_T3_P12ihipStream_tbEUlT_E_NS1_11comp_targetILNS1_3genE4ELNS1_11target_archE910ELNS1_3gpuE8ELNS1_3repE0EEENS1_30default_config_static_selectorELNS0_4arch9wavefront6targetE0EEEvSP_.has_recursion, 0
	.set _ZN7rocprim17ROCPRIM_400000_NS6detail17trampoline_kernelINS0_14default_configENS1_32segmented_reduce_config_selectorIdEEZNS1_21segmented_reduce_implIS3_PKdPdPKidN6hipcub16HIPCUB_304000_NS6detail27convert_result_type_wrapperIS8_S9_N2at6native12_GLOBAL__N_19CustomMaxEEEEE10hipError_tPvRmT0_T1_jT2_SQ_T4_T3_P12ihipStream_tbEUlT_E_NS1_11comp_targetILNS1_3genE4ELNS1_11target_archE910ELNS1_3gpuE8ELNS1_3repE0EEENS1_30default_config_static_selectorELNS0_4arch9wavefront6targetE0EEEvSP_.has_indirect_call, 0
	.section	.AMDGPU.csdata,"",@progbits
; Kernel info:
; codeLenInByte = 0
; TotalNumSgprs: 0
; NumVgprs: 0
; ScratchSize: 0
; MemoryBound: 0
; FloatMode: 240
; IeeeMode: 1
; LDSByteSize: 0 bytes/workgroup (compile time only)
; SGPRBlocks: 0
; VGPRBlocks: 0
; NumSGPRsForWavesPerEU: 1
; NumVGPRsForWavesPerEU: 1
; NamedBarCnt: 0
; Occupancy: 16
; WaveLimiterHint : 0
; COMPUTE_PGM_RSRC2:SCRATCH_EN: 0
; COMPUTE_PGM_RSRC2:USER_SGPR: 2
; COMPUTE_PGM_RSRC2:TRAP_HANDLER: 0
; COMPUTE_PGM_RSRC2:TGID_X_EN: 1
; COMPUTE_PGM_RSRC2:TGID_Y_EN: 0
; COMPUTE_PGM_RSRC2:TGID_Z_EN: 0
; COMPUTE_PGM_RSRC2:TIDIG_COMP_CNT: 0
	.section	.text._ZN7rocprim17ROCPRIM_400000_NS6detail17trampoline_kernelINS0_14default_configENS1_32segmented_reduce_config_selectorIdEEZNS1_21segmented_reduce_implIS3_PKdPdPKidN6hipcub16HIPCUB_304000_NS6detail27convert_result_type_wrapperIS8_S9_N2at6native12_GLOBAL__N_19CustomMaxEEEEE10hipError_tPvRmT0_T1_jT2_SQ_T4_T3_P12ihipStream_tbEUlT_E_NS1_11comp_targetILNS1_3genE3ELNS1_11target_archE908ELNS1_3gpuE7ELNS1_3repE0EEENS1_30default_config_static_selectorELNS0_4arch9wavefront6targetE0EEEvSP_,"axG",@progbits,_ZN7rocprim17ROCPRIM_400000_NS6detail17trampoline_kernelINS0_14default_configENS1_32segmented_reduce_config_selectorIdEEZNS1_21segmented_reduce_implIS3_PKdPdPKidN6hipcub16HIPCUB_304000_NS6detail27convert_result_type_wrapperIS8_S9_N2at6native12_GLOBAL__N_19CustomMaxEEEEE10hipError_tPvRmT0_T1_jT2_SQ_T4_T3_P12ihipStream_tbEUlT_E_NS1_11comp_targetILNS1_3genE3ELNS1_11target_archE908ELNS1_3gpuE7ELNS1_3repE0EEENS1_30default_config_static_selectorELNS0_4arch9wavefront6targetE0EEEvSP_,comdat
	.globl	_ZN7rocprim17ROCPRIM_400000_NS6detail17trampoline_kernelINS0_14default_configENS1_32segmented_reduce_config_selectorIdEEZNS1_21segmented_reduce_implIS3_PKdPdPKidN6hipcub16HIPCUB_304000_NS6detail27convert_result_type_wrapperIS8_S9_N2at6native12_GLOBAL__N_19CustomMaxEEEEE10hipError_tPvRmT0_T1_jT2_SQ_T4_T3_P12ihipStream_tbEUlT_E_NS1_11comp_targetILNS1_3genE3ELNS1_11target_archE908ELNS1_3gpuE7ELNS1_3repE0EEENS1_30default_config_static_selectorELNS0_4arch9wavefront6targetE0EEEvSP_ ; -- Begin function _ZN7rocprim17ROCPRIM_400000_NS6detail17trampoline_kernelINS0_14default_configENS1_32segmented_reduce_config_selectorIdEEZNS1_21segmented_reduce_implIS3_PKdPdPKidN6hipcub16HIPCUB_304000_NS6detail27convert_result_type_wrapperIS8_S9_N2at6native12_GLOBAL__N_19CustomMaxEEEEE10hipError_tPvRmT0_T1_jT2_SQ_T4_T3_P12ihipStream_tbEUlT_E_NS1_11comp_targetILNS1_3genE3ELNS1_11target_archE908ELNS1_3gpuE7ELNS1_3repE0EEENS1_30default_config_static_selectorELNS0_4arch9wavefront6targetE0EEEvSP_
	.p2align	8
	.type	_ZN7rocprim17ROCPRIM_400000_NS6detail17trampoline_kernelINS0_14default_configENS1_32segmented_reduce_config_selectorIdEEZNS1_21segmented_reduce_implIS3_PKdPdPKidN6hipcub16HIPCUB_304000_NS6detail27convert_result_type_wrapperIS8_S9_N2at6native12_GLOBAL__N_19CustomMaxEEEEE10hipError_tPvRmT0_T1_jT2_SQ_T4_T3_P12ihipStream_tbEUlT_E_NS1_11comp_targetILNS1_3genE3ELNS1_11target_archE908ELNS1_3gpuE7ELNS1_3repE0EEENS1_30default_config_static_selectorELNS0_4arch9wavefront6targetE0EEEvSP_,@function
_ZN7rocprim17ROCPRIM_400000_NS6detail17trampoline_kernelINS0_14default_configENS1_32segmented_reduce_config_selectorIdEEZNS1_21segmented_reduce_implIS3_PKdPdPKidN6hipcub16HIPCUB_304000_NS6detail27convert_result_type_wrapperIS8_S9_N2at6native12_GLOBAL__N_19CustomMaxEEEEE10hipError_tPvRmT0_T1_jT2_SQ_T4_T3_P12ihipStream_tbEUlT_E_NS1_11comp_targetILNS1_3genE3ELNS1_11target_archE908ELNS1_3gpuE7ELNS1_3repE0EEENS1_30default_config_static_selectorELNS0_4arch9wavefront6targetE0EEEvSP_: ; @_ZN7rocprim17ROCPRIM_400000_NS6detail17trampoline_kernelINS0_14default_configENS1_32segmented_reduce_config_selectorIdEEZNS1_21segmented_reduce_implIS3_PKdPdPKidN6hipcub16HIPCUB_304000_NS6detail27convert_result_type_wrapperIS8_S9_N2at6native12_GLOBAL__N_19CustomMaxEEEEE10hipError_tPvRmT0_T1_jT2_SQ_T4_T3_P12ihipStream_tbEUlT_E_NS1_11comp_targetILNS1_3genE3ELNS1_11target_archE908ELNS1_3gpuE7ELNS1_3repE0EEENS1_30default_config_static_selectorELNS0_4arch9wavefront6targetE0EEEvSP_
; %bb.0:
	.section	.rodata,"a",@progbits
	.p2align	6, 0x0
	.amdhsa_kernel _ZN7rocprim17ROCPRIM_400000_NS6detail17trampoline_kernelINS0_14default_configENS1_32segmented_reduce_config_selectorIdEEZNS1_21segmented_reduce_implIS3_PKdPdPKidN6hipcub16HIPCUB_304000_NS6detail27convert_result_type_wrapperIS8_S9_N2at6native12_GLOBAL__N_19CustomMaxEEEEE10hipError_tPvRmT0_T1_jT2_SQ_T4_T3_P12ihipStream_tbEUlT_E_NS1_11comp_targetILNS1_3genE3ELNS1_11target_archE908ELNS1_3gpuE7ELNS1_3repE0EEENS1_30default_config_static_selectorELNS0_4arch9wavefront6targetE0EEEvSP_
		.amdhsa_group_segment_fixed_size 0
		.amdhsa_private_segment_fixed_size 0
		.amdhsa_kernarg_size 56
		.amdhsa_user_sgpr_count 2
		.amdhsa_user_sgpr_dispatch_ptr 0
		.amdhsa_user_sgpr_queue_ptr 0
		.amdhsa_user_sgpr_kernarg_segment_ptr 1
		.amdhsa_user_sgpr_dispatch_id 0
		.amdhsa_user_sgpr_kernarg_preload_length 0
		.amdhsa_user_sgpr_kernarg_preload_offset 0
		.amdhsa_user_sgpr_private_segment_size 0
		.amdhsa_wavefront_size32 1
		.amdhsa_uses_dynamic_stack 0
		.amdhsa_enable_private_segment 0
		.amdhsa_system_sgpr_workgroup_id_x 1
		.amdhsa_system_sgpr_workgroup_id_y 0
		.amdhsa_system_sgpr_workgroup_id_z 0
		.amdhsa_system_sgpr_workgroup_info 0
		.amdhsa_system_vgpr_workitem_id 0
		.amdhsa_next_free_vgpr 1
		.amdhsa_next_free_sgpr 1
		.amdhsa_named_barrier_count 0
		.amdhsa_reserve_vcc 0
		.amdhsa_float_round_mode_32 0
		.amdhsa_float_round_mode_16_64 0
		.amdhsa_float_denorm_mode_32 3
		.amdhsa_float_denorm_mode_16_64 3
		.amdhsa_fp16_overflow 0
		.amdhsa_memory_ordered 1
		.amdhsa_forward_progress 1
		.amdhsa_inst_pref_size 0
		.amdhsa_round_robin_scheduling 0
		.amdhsa_exception_fp_ieee_invalid_op 0
		.amdhsa_exception_fp_denorm_src 0
		.amdhsa_exception_fp_ieee_div_zero 0
		.amdhsa_exception_fp_ieee_overflow 0
		.amdhsa_exception_fp_ieee_underflow 0
		.amdhsa_exception_fp_ieee_inexact 0
		.amdhsa_exception_int_div_zero 0
	.end_amdhsa_kernel
	.section	.text._ZN7rocprim17ROCPRIM_400000_NS6detail17trampoline_kernelINS0_14default_configENS1_32segmented_reduce_config_selectorIdEEZNS1_21segmented_reduce_implIS3_PKdPdPKidN6hipcub16HIPCUB_304000_NS6detail27convert_result_type_wrapperIS8_S9_N2at6native12_GLOBAL__N_19CustomMaxEEEEE10hipError_tPvRmT0_T1_jT2_SQ_T4_T3_P12ihipStream_tbEUlT_E_NS1_11comp_targetILNS1_3genE3ELNS1_11target_archE908ELNS1_3gpuE7ELNS1_3repE0EEENS1_30default_config_static_selectorELNS0_4arch9wavefront6targetE0EEEvSP_,"axG",@progbits,_ZN7rocprim17ROCPRIM_400000_NS6detail17trampoline_kernelINS0_14default_configENS1_32segmented_reduce_config_selectorIdEEZNS1_21segmented_reduce_implIS3_PKdPdPKidN6hipcub16HIPCUB_304000_NS6detail27convert_result_type_wrapperIS8_S9_N2at6native12_GLOBAL__N_19CustomMaxEEEEE10hipError_tPvRmT0_T1_jT2_SQ_T4_T3_P12ihipStream_tbEUlT_E_NS1_11comp_targetILNS1_3genE3ELNS1_11target_archE908ELNS1_3gpuE7ELNS1_3repE0EEENS1_30default_config_static_selectorELNS0_4arch9wavefront6targetE0EEEvSP_,comdat
.Lfunc_end13:
	.size	_ZN7rocprim17ROCPRIM_400000_NS6detail17trampoline_kernelINS0_14default_configENS1_32segmented_reduce_config_selectorIdEEZNS1_21segmented_reduce_implIS3_PKdPdPKidN6hipcub16HIPCUB_304000_NS6detail27convert_result_type_wrapperIS8_S9_N2at6native12_GLOBAL__N_19CustomMaxEEEEE10hipError_tPvRmT0_T1_jT2_SQ_T4_T3_P12ihipStream_tbEUlT_E_NS1_11comp_targetILNS1_3genE3ELNS1_11target_archE908ELNS1_3gpuE7ELNS1_3repE0EEENS1_30default_config_static_selectorELNS0_4arch9wavefront6targetE0EEEvSP_, .Lfunc_end13-_ZN7rocprim17ROCPRIM_400000_NS6detail17trampoline_kernelINS0_14default_configENS1_32segmented_reduce_config_selectorIdEEZNS1_21segmented_reduce_implIS3_PKdPdPKidN6hipcub16HIPCUB_304000_NS6detail27convert_result_type_wrapperIS8_S9_N2at6native12_GLOBAL__N_19CustomMaxEEEEE10hipError_tPvRmT0_T1_jT2_SQ_T4_T3_P12ihipStream_tbEUlT_E_NS1_11comp_targetILNS1_3genE3ELNS1_11target_archE908ELNS1_3gpuE7ELNS1_3repE0EEENS1_30default_config_static_selectorELNS0_4arch9wavefront6targetE0EEEvSP_
                                        ; -- End function
	.set _ZN7rocprim17ROCPRIM_400000_NS6detail17trampoline_kernelINS0_14default_configENS1_32segmented_reduce_config_selectorIdEEZNS1_21segmented_reduce_implIS3_PKdPdPKidN6hipcub16HIPCUB_304000_NS6detail27convert_result_type_wrapperIS8_S9_N2at6native12_GLOBAL__N_19CustomMaxEEEEE10hipError_tPvRmT0_T1_jT2_SQ_T4_T3_P12ihipStream_tbEUlT_E_NS1_11comp_targetILNS1_3genE3ELNS1_11target_archE908ELNS1_3gpuE7ELNS1_3repE0EEENS1_30default_config_static_selectorELNS0_4arch9wavefront6targetE0EEEvSP_.num_vgpr, 0
	.set _ZN7rocprim17ROCPRIM_400000_NS6detail17trampoline_kernelINS0_14default_configENS1_32segmented_reduce_config_selectorIdEEZNS1_21segmented_reduce_implIS3_PKdPdPKidN6hipcub16HIPCUB_304000_NS6detail27convert_result_type_wrapperIS8_S9_N2at6native12_GLOBAL__N_19CustomMaxEEEEE10hipError_tPvRmT0_T1_jT2_SQ_T4_T3_P12ihipStream_tbEUlT_E_NS1_11comp_targetILNS1_3genE3ELNS1_11target_archE908ELNS1_3gpuE7ELNS1_3repE0EEENS1_30default_config_static_selectorELNS0_4arch9wavefront6targetE0EEEvSP_.num_agpr, 0
	.set _ZN7rocprim17ROCPRIM_400000_NS6detail17trampoline_kernelINS0_14default_configENS1_32segmented_reduce_config_selectorIdEEZNS1_21segmented_reduce_implIS3_PKdPdPKidN6hipcub16HIPCUB_304000_NS6detail27convert_result_type_wrapperIS8_S9_N2at6native12_GLOBAL__N_19CustomMaxEEEEE10hipError_tPvRmT0_T1_jT2_SQ_T4_T3_P12ihipStream_tbEUlT_E_NS1_11comp_targetILNS1_3genE3ELNS1_11target_archE908ELNS1_3gpuE7ELNS1_3repE0EEENS1_30default_config_static_selectorELNS0_4arch9wavefront6targetE0EEEvSP_.numbered_sgpr, 0
	.set _ZN7rocprim17ROCPRIM_400000_NS6detail17trampoline_kernelINS0_14default_configENS1_32segmented_reduce_config_selectorIdEEZNS1_21segmented_reduce_implIS3_PKdPdPKidN6hipcub16HIPCUB_304000_NS6detail27convert_result_type_wrapperIS8_S9_N2at6native12_GLOBAL__N_19CustomMaxEEEEE10hipError_tPvRmT0_T1_jT2_SQ_T4_T3_P12ihipStream_tbEUlT_E_NS1_11comp_targetILNS1_3genE3ELNS1_11target_archE908ELNS1_3gpuE7ELNS1_3repE0EEENS1_30default_config_static_selectorELNS0_4arch9wavefront6targetE0EEEvSP_.num_named_barrier, 0
	.set _ZN7rocprim17ROCPRIM_400000_NS6detail17trampoline_kernelINS0_14default_configENS1_32segmented_reduce_config_selectorIdEEZNS1_21segmented_reduce_implIS3_PKdPdPKidN6hipcub16HIPCUB_304000_NS6detail27convert_result_type_wrapperIS8_S9_N2at6native12_GLOBAL__N_19CustomMaxEEEEE10hipError_tPvRmT0_T1_jT2_SQ_T4_T3_P12ihipStream_tbEUlT_E_NS1_11comp_targetILNS1_3genE3ELNS1_11target_archE908ELNS1_3gpuE7ELNS1_3repE0EEENS1_30default_config_static_selectorELNS0_4arch9wavefront6targetE0EEEvSP_.private_seg_size, 0
	.set _ZN7rocprim17ROCPRIM_400000_NS6detail17trampoline_kernelINS0_14default_configENS1_32segmented_reduce_config_selectorIdEEZNS1_21segmented_reduce_implIS3_PKdPdPKidN6hipcub16HIPCUB_304000_NS6detail27convert_result_type_wrapperIS8_S9_N2at6native12_GLOBAL__N_19CustomMaxEEEEE10hipError_tPvRmT0_T1_jT2_SQ_T4_T3_P12ihipStream_tbEUlT_E_NS1_11comp_targetILNS1_3genE3ELNS1_11target_archE908ELNS1_3gpuE7ELNS1_3repE0EEENS1_30default_config_static_selectorELNS0_4arch9wavefront6targetE0EEEvSP_.uses_vcc, 0
	.set _ZN7rocprim17ROCPRIM_400000_NS6detail17trampoline_kernelINS0_14default_configENS1_32segmented_reduce_config_selectorIdEEZNS1_21segmented_reduce_implIS3_PKdPdPKidN6hipcub16HIPCUB_304000_NS6detail27convert_result_type_wrapperIS8_S9_N2at6native12_GLOBAL__N_19CustomMaxEEEEE10hipError_tPvRmT0_T1_jT2_SQ_T4_T3_P12ihipStream_tbEUlT_E_NS1_11comp_targetILNS1_3genE3ELNS1_11target_archE908ELNS1_3gpuE7ELNS1_3repE0EEENS1_30default_config_static_selectorELNS0_4arch9wavefront6targetE0EEEvSP_.uses_flat_scratch, 0
	.set _ZN7rocprim17ROCPRIM_400000_NS6detail17trampoline_kernelINS0_14default_configENS1_32segmented_reduce_config_selectorIdEEZNS1_21segmented_reduce_implIS3_PKdPdPKidN6hipcub16HIPCUB_304000_NS6detail27convert_result_type_wrapperIS8_S9_N2at6native12_GLOBAL__N_19CustomMaxEEEEE10hipError_tPvRmT0_T1_jT2_SQ_T4_T3_P12ihipStream_tbEUlT_E_NS1_11comp_targetILNS1_3genE3ELNS1_11target_archE908ELNS1_3gpuE7ELNS1_3repE0EEENS1_30default_config_static_selectorELNS0_4arch9wavefront6targetE0EEEvSP_.has_dyn_sized_stack, 0
	.set _ZN7rocprim17ROCPRIM_400000_NS6detail17trampoline_kernelINS0_14default_configENS1_32segmented_reduce_config_selectorIdEEZNS1_21segmented_reduce_implIS3_PKdPdPKidN6hipcub16HIPCUB_304000_NS6detail27convert_result_type_wrapperIS8_S9_N2at6native12_GLOBAL__N_19CustomMaxEEEEE10hipError_tPvRmT0_T1_jT2_SQ_T4_T3_P12ihipStream_tbEUlT_E_NS1_11comp_targetILNS1_3genE3ELNS1_11target_archE908ELNS1_3gpuE7ELNS1_3repE0EEENS1_30default_config_static_selectorELNS0_4arch9wavefront6targetE0EEEvSP_.has_recursion, 0
	.set _ZN7rocprim17ROCPRIM_400000_NS6detail17trampoline_kernelINS0_14default_configENS1_32segmented_reduce_config_selectorIdEEZNS1_21segmented_reduce_implIS3_PKdPdPKidN6hipcub16HIPCUB_304000_NS6detail27convert_result_type_wrapperIS8_S9_N2at6native12_GLOBAL__N_19CustomMaxEEEEE10hipError_tPvRmT0_T1_jT2_SQ_T4_T3_P12ihipStream_tbEUlT_E_NS1_11comp_targetILNS1_3genE3ELNS1_11target_archE908ELNS1_3gpuE7ELNS1_3repE0EEENS1_30default_config_static_selectorELNS0_4arch9wavefront6targetE0EEEvSP_.has_indirect_call, 0
	.section	.AMDGPU.csdata,"",@progbits
; Kernel info:
; codeLenInByte = 0
; TotalNumSgprs: 0
; NumVgprs: 0
; ScratchSize: 0
; MemoryBound: 0
; FloatMode: 240
; IeeeMode: 1
; LDSByteSize: 0 bytes/workgroup (compile time only)
; SGPRBlocks: 0
; VGPRBlocks: 0
; NumSGPRsForWavesPerEU: 1
; NumVGPRsForWavesPerEU: 1
; NamedBarCnt: 0
; Occupancy: 16
; WaveLimiterHint : 0
; COMPUTE_PGM_RSRC2:SCRATCH_EN: 0
; COMPUTE_PGM_RSRC2:USER_SGPR: 2
; COMPUTE_PGM_RSRC2:TRAP_HANDLER: 0
; COMPUTE_PGM_RSRC2:TGID_X_EN: 1
; COMPUTE_PGM_RSRC2:TGID_Y_EN: 0
; COMPUTE_PGM_RSRC2:TGID_Z_EN: 0
; COMPUTE_PGM_RSRC2:TIDIG_COMP_CNT: 0
	.section	.text._ZN7rocprim17ROCPRIM_400000_NS6detail17trampoline_kernelINS0_14default_configENS1_32segmented_reduce_config_selectorIdEEZNS1_21segmented_reduce_implIS3_PKdPdPKidN6hipcub16HIPCUB_304000_NS6detail27convert_result_type_wrapperIS8_S9_N2at6native12_GLOBAL__N_19CustomMaxEEEEE10hipError_tPvRmT0_T1_jT2_SQ_T4_T3_P12ihipStream_tbEUlT_E_NS1_11comp_targetILNS1_3genE2ELNS1_11target_archE906ELNS1_3gpuE6ELNS1_3repE0EEENS1_30default_config_static_selectorELNS0_4arch9wavefront6targetE0EEEvSP_,"axG",@progbits,_ZN7rocprim17ROCPRIM_400000_NS6detail17trampoline_kernelINS0_14default_configENS1_32segmented_reduce_config_selectorIdEEZNS1_21segmented_reduce_implIS3_PKdPdPKidN6hipcub16HIPCUB_304000_NS6detail27convert_result_type_wrapperIS8_S9_N2at6native12_GLOBAL__N_19CustomMaxEEEEE10hipError_tPvRmT0_T1_jT2_SQ_T4_T3_P12ihipStream_tbEUlT_E_NS1_11comp_targetILNS1_3genE2ELNS1_11target_archE906ELNS1_3gpuE6ELNS1_3repE0EEENS1_30default_config_static_selectorELNS0_4arch9wavefront6targetE0EEEvSP_,comdat
	.globl	_ZN7rocprim17ROCPRIM_400000_NS6detail17trampoline_kernelINS0_14default_configENS1_32segmented_reduce_config_selectorIdEEZNS1_21segmented_reduce_implIS3_PKdPdPKidN6hipcub16HIPCUB_304000_NS6detail27convert_result_type_wrapperIS8_S9_N2at6native12_GLOBAL__N_19CustomMaxEEEEE10hipError_tPvRmT0_T1_jT2_SQ_T4_T3_P12ihipStream_tbEUlT_E_NS1_11comp_targetILNS1_3genE2ELNS1_11target_archE906ELNS1_3gpuE6ELNS1_3repE0EEENS1_30default_config_static_selectorELNS0_4arch9wavefront6targetE0EEEvSP_ ; -- Begin function _ZN7rocprim17ROCPRIM_400000_NS6detail17trampoline_kernelINS0_14default_configENS1_32segmented_reduce_config_selectorIdEEZNS1_21segmented_reduce_implIS3_PKdPdPKidN6hipcub16HIPCUB_304000_NS6detail27convert_result_type_wrapperIS8_S9_N2at6native12_GLOBAL__N_19CustomMaxEEEEE10hipError_tPvRmT0_T1_jT2_SQ_T4_T3_P12ihipStream_tbEUlT_E_NS1_11comp_targetILNS1_3genE2ELNS1_11target_archE906ELNS1_3gpuE6ELNS1_3repE0EEENS1_30default_config_static_selectorELNS0_4arch9wavefront6targetE0EEEvSP_
	.p2align	8
	.type	_ZN7rocprim17ROCPRIM_400000_NS6detail17trampoline_kernelINS0_14default_configENS1_32segmented_reduce_config_selectorIdEEZNS1_21segmented_reduce_implIS3_PKdPdPKidN6hipcub16HIPCUB_304000_NS6detail27convert_result_type_wrapperIS8_S9_N2at6native12_GLOBAL__N_19CustomMaxEEEEE10hipError_tPvRmT0_T1_jT2_SQ_T4_T3_P12ihipStream_tbEUlT_E_NS1_11comp_targetILNS1_3genE2ELNS1_11target_archE906ELNS1_3gpuE6ELNS1_3repE0EEENS1_30default_config_static_selectorELNS0_4arch9wavefront6targetE0EEEvSP_,@function
_ZN7rocprim17ROCPRIM_400000_NS6detail17trampoline_kernelINS0_14default_configENS1_32segmented_reduce_config_selectorIdEEZNS1_21segmented_reduce_implIS3_PKdPdPKidN6hipcub16HIPCUB_304000_NS6detail27convert_result_type_wrapperIS8_S9_N2at6native12_GLOBAL__N_19CustomMaxEEEEE10hipError_tPvRmT0_T1_jT2_SQ_T4_T3_P12ihipStream_tbEUlT_E_NS1_11comp_targetILNS1_3genE2ELNS1_11target_archE906ELNS1_3gpuE6ELNS1_3repE0EEENS1_30default_config_static_selectorELNS0_4arch9wavefront6targetE0EEEvSP_: ; @_ZN7rocprim17ROCPRIM_400000_NS6detail17trampoline_kernelINS0_14default_configENS1_32segmented_reduce_config_selectorIdEEZNS1_21segmented_reduce_implIS3_PKdPdPKidN6hipcub16HIPCUB_304000_NS6detail27convert_result_type_wrapperIS8_S9_N2at6native12_GLOBAL__N_19CustomMaxEEEEE10hipError_tPvRmT0_T1_jT2_SQ_T4_T3_P12ihipStream_tbEUlT_E_NS1_11comp_targetILNS1_3genE2ELNS1_11target_archE906ELNS1_3gpuE6ELNS1_3repE0EEENS1_30default_config_static_selectorELNS0_4arch9wavefront6targetE0EEEvSP_
; %bb.0:
	.section	.rodata,"a",@progbits
	.p2align	6, 0x0
	.amdhsa_kernel _ZN7rocprim17ROCPRIM_400000_NS6detail17trampoline_kernelINS0_14default_configENS1_32segmented_reduce_config_selectorIdEEZNS1_21segmented_reduce_implIS3_PKdPdPKidN6hipcub16HIPCUB_304000_NS6detail27convert_result_type_wrapperIS8_S9_N2at6native12_GLOBAL__N_19CustomMaxEEEEE10hipError_tPvRmT0_T1_jT2_SQ_T4_T3_P12ihipStream_tbEUlT_E_NS1_11comp_targetILNS1_3genE2ELNS1_11target_archE906ELNS1_3gpuE6ELNS1_3repE0EEENS1_30default_config_static_selectorELNS0_4arch9wavefront6targetE0EEEvSP_
		.amdhsa_group_segment_fixed_size 0
		.amdhsa_private_segment_fixed_size 0
		.amdhsa_kernarg_size 56
		.amdhsa_user_sgpr_count 2
		.amdhsa_user_sgpr_dispatch_ptr 0
		.amdhsa_user_sgpr_queue_ptr 0
		.amdhsa_user_sgpr_kernarg_segment_ptr 1
		.amdhsa_user_sgpr_dispatch_id 0
		.amdhsa_user_sgpr_kernarg_preload_length 0
		.amdhsa_user_sgpr_kernarg_preload_offset 0
		.amdhsa_user_sgpr_private_segment_size 0
		.amdhsa_wavefront_size32 1
		.amdhsa_uses_dynamic_stack 0
		.amdhsa_enable_private_segment 0
		.amdhsa_system_sgpr_workgroup_id_x 1
		.amdhsa_system_sgpr_workgroup_id_y 0
		.amdhsa_system_sgpr_workgroup_id_z 0
		.amdhsa_system_sgpr_workgroup_info 0
		.amdhsa_system_vgpr_workitem_id 0
		.amdhsa_next_free_vgpr 1
		.amdhsa_next_free_sgpr 1
		.amdhsa_named_barrier_count 0
		.amdhsa_reserve_vcc 0
		.amdhsa_float_round_mode_32 0
		.amdhsa_float_round_mode_16_64 0
		.amdhsa_float_denorm_mode_32 3
		.amdhsa_float_denorm_mode_16_64 3
		.amdhsa_fp16_overflow 0
		.amdhsa_memory_ordered 1
		.amdhsa_forward_progress 1
		.amdhsa_inst_pref_size 0
		.amdhsa_round_robin_scheduling 0
		.amdhsa_exception_fp_ieee_invalid_op 0
		.amdhsa_exception_fp_denorm_src 0
		.amdhsa_exception_fp_ieee_div_zero 0
		.amdhsa_exception_fp_ieee_overflow 0
		.amdhsa_exception_fp_ieee_underflow 0
		.amdhsa_exception_fp_ieee_inexact 0
		.amdhsa_exception_int_div_zero 0
	.end_amdhsa_kernel
	.section	.text._ZN7rocprim17ROCPRIM_400000_NS6detail17trampoline_kernelINS0_14default_configENS1_32segmented_reduce_config_selectorIdEEZNS1_21segmented_reduce_implIS3_PKdPdPKidN6hipcub16HIPCUB_304000_NS6detail27convert_result_type_wrapperIS8_S9_N2at6native12_GLOBAL__N_19CustomMaxEEEEE10hipError_tPvRmT0_T1_jT2_SQ_T4_T3_P12ihipStream_tbEUlT_E_NS1_11comp_targetILNS1_3genE2ELNS1_11target_archE906ELNS1_3gpuE6ELNS1_3repE0EEENS1_30default_config_static_selectorELNS0_4arch9wavefront6targetE0EEEvSP_,"axG",@progbits,_ZN7rocprim17ROCPRIM_400000_NS6detail17trampoline_kernelINS0_14default_configENS1_32segmented_reduce_config_selectorIdEEZNS1_21segmented_reduce_implIS3_PKdPdPKidN6hipcub16HIPCUB_304000_NS6detail27convert_result_type_wrapperIS8_S9_N2at6native12_GLOBAL__N_19CustomMaxEEEEE10hipError_tPvRmT0_T1_jT2_SQ_T4_T3_P12ihipStream_tbEUlT_E_NS1_11comp_targetILNS1_3genE2ELNS1_11target_archE906ELNS1_3gpuE6ELNS1_3repE0EEENS1_30default_config_static_selectorELNS0_4arch9wavefront6targetE0EEEvSP_,comdat
.Lfunc_end14:
	.size	_ZN7rocprim17ROCPRIM_400000_NS6detail17trampoline_kernelINS0_14default_configENS1_32segmented_reduce_config_selectorIdEEZNS1_21segmented_reduce_implIS3_PKdPdPKidN6hipcub16HIPCUB_304000_NS6detail27convert_result_type_wrapperIS8_S9_N2at6native12_GLOBAL__N_19CustomMaxEEEEE10hipError_tPvRmT0_T1_jT2_SQ_T4_T3_P12ihipStream_tbEUlT_E_NS1_11comp_targetILNS1_3genE2ELNS1_11target_archE906ELNS1_3gpuE6ELNS1_3repE0EEENS1_30default_config_static_selectorELNS0_4arch9wavefront6targetE0EEEvSP_, .Lfunc_end14-_ZN7rocprim17ROCPRIM_400000_NS6detail17trampoline_kernelINS0_14default_configENS1_32segmented_reduce_config_selectorIdEEZNS1_21segmented_reduce_implIS3_PKdPdPKidN6hipcub16HIPCUB_304000_NS6detail27convert_result_type_wrapperIS8_S9_N2at6native12_GLOBAL__N_19CustomMaxEEEEE10hipError_tPvRmT0_T1_jT2_SQ_T4_T3_P12ihipStream_tbEUlT_E_NS1_11comp_targetILNS1_3genE2ELNS1_11target_archE906ELNS1_3gpuE6ELNS1_3repE0EEENS1_30default_config_static_selectorELNS0_4arch9wavefront6targetE0EEEvSP_
                                        ; -- End function
	.set _ZN7rocprim17ROCPRIM_400000_NS6detail17trampoline_kernelINS0_14default_configENS1_32segmented_reduce_config_selectorIdEEZNS1_21segmented_reduce_implIS3_PKdPdPKidN6hipcub16HIPCUB_304000_NS6detail27convert_result_type_wrapperIS8_S9_N2at6native12_GLOBAL__N_19CustomMaxEEEEE10hipError_tPvRmT0_T1_jT2_SQ_T4_T3_P12ihipStream_tbEUlT_E_NS1_11comp_targetILNS1_3genE2ELNS1_11target_archE906ELNS1_3gpuE6ELNS1_3repE0EEENS1_30default_config_static_selectorELNS0_4arch9wavefront6targetE0EEEvSP_.num_vgpr, 0
	.set _ZN7rocprim17ROCPRIM_400000_NS6detail17trampoline_kernelINS0_14default_configENS1_32segmented_reduce_config_selectorIdEEZNS1_21segmented_reduce_implIS3_PKdPdPKidN6hipcub16HIPCUB_304000_NS6detail27convert_result_type_wrapperIS8_S9_N2at6native12_GLOBAL__N_19CustomMaxEEEEE10hipError_tPvRmT0_T1_jT2_SQ_T4_T3_P12ihipStream_tbEUlT_E_NS1_11comp_targetILNS1_3genE2ELNS1_11target_archE906ELNS1_3gpuE6ELNS1_3repE0EEENS1_30default_config_static_selectorELNS0_4arch9wavefront6targetE0EEEvSP_.num_agpr, 0
	.set _ZN7rocprim17ROCPRIM_400000_NS6detail17trampoline_kernelINS0_14default_configENS1_32segmented_reduce_config_selectorIdEEZNS1_21segmented_reduce_implIS3_PKdPdPKidN6hipcub16HIPCUB_304000_NS6detail27convert_result_type_wrapperIS8_S9_N2at6native12_GLOBAL__N_19CustomMaxEEEEE10hipError_tPvRmT0_T1_jT2_SQ_T4_T3_P12ihipStream_tbEUlT_E_NS1_11comp_targetILNS1_3genE2ELNS1_11target_archE906ELNS1_3gpuE6ELNS1_3repE0EEENS1_30default_config_static_selectorELNS0_4arch9wavefront6targetE0EEEvSP_.numbered_sgpr, 0
	.set _ZN7rocprim17ROCPRIM_400000_NS6detail17trampoline_kernelINS0_14default_configENS1_32segmented_reduce_config_selectorIdEEZNS1_21segmented_reduce_implIS3_PKdPdPKidN6hipcub16HIPCUB_304000_NS6detail27convert_result_type_wrapperIS8_S9_N2at6native12_GLOBAL__N_19CustomMaxEEEEE10hipError_tPvRmT0_T1_jT2_SQ_T4_T3_P12ihipStream_tbEUlT_E_NS1_11comp_targetILNS1_3genE2ELNS1_11target_archE906ELNS1_3gpuE6ELNS1_3repE0EEENS1_30default_config_static_selectorELNS0_4arch9wavefront6targetE0EEEvSP_.num_named_barrier, 0
	.set _ZN7rocprim17ROCPRIM_400000_NS6detail17trampoline_kernelINS0_14default_configENS1_32segmented_reduce_config_selectorIdEEZNS1_21segmented_reduce_implIS3_PKdPdPKidN6hipcub16HIPCUB_304000_NS6detail27convert_result_type_wrapperIS8_S9_N2at6native12_GLOBAL__N_19CustomMaxEEEEE10hipError_tPvRmT0_T1_jT2_SQ_T4_T3_P12ihipStream_tbEUlT_E_NS1_11comp_targetILNS1_3genE2ELNS1_11target_archE906ELNS1_3gpuE6ELNS1_3repE0EEENS1_30default_config_static_selectorELNS0_4arch9wavefront6targetE0EEEvSP_.private_seg_size, 0
	.set _ZN7rocprim17ROCPRIM_400000_NS6detail17trampoline_kernelINS0_14default_configENS1_32segmented_reduce_config_selectorIdEEZNS1_21segmented_reduce_implIS3_PKdPdPKidN6hipcub16HIPCUB_304000_NS6detail27convert_result_type_wrapperIS8_S9_N2at6native12_GLOBAL__N_19CustomMaxEEEEE10hipError_tPvRmT0_T1_jT2_SQ_T4_T3_P12ihipStream_tbEUlT_E_NS1_11comp_targetILNS1_3genE2ELNS1_11target_archE906ELNS1_3gpuE6ELNS1_3repE0EEENS1_30default_config_static_selectorELNS0_4arch9wavefront6targetE0EEEvSP_.uses_vcc, 0
	.set _ZN7rocprim17ROCPRIM_400000_NS6detail17trampoline_kernelINS0_14default_configENS1_32segmented_reduce_config_selectorIdEEZNS1_21segmented_reduce_implIS3_PKdPdPKidN6hipcub16HIPCUB_304000_NS6detail27convert_result_type_wrapperIS8_S9_N2at6native12_GLOBAL__N_19CustomMaxEEEEE10hipError_tPvRmT0_T1_jT2_SQ_T4_T3_P12ihipStream_tbEUlT_E_NS1_11comp_targetILNS1_3genE2ELNS1_11target_archE906ELNS1_3gpuE6ELNS1_3repE0EEENS1_30default_config_static_selectorELNS0_4arch9wavefront6targetE0EEEvSP_.uses_flat_scratch, 0
	.set _ZN7rocprim17ROCPRIM_400000_NS6detail17trampoline_kernelINS0_14default_configENS1_32segmented_reduce_config_selectorIdEEZNS1_21segmented_reduce_implIS3_PKdPdPKidN6hipcub16HIPCUB_304000_NS6detail27convert_result_type_wrapperIS8_S9_N2at6native12_GLOBAL__N_19CustomMaxEEEEE10hipError_tPvRmT0_T1_jT2_SQ_T4_T3_P12ihipStream_tbEUlT_E_NS1_11comp_targetILNS1_3genE2ELNS1_11target_archE906ELNS1_3gpuE6ELNS1_3repE0EEENS1_30default_config_static_selectorELNS0_4arch9wavefront6targetE0EEEvSP_.has_dyn_sized_stack, 0
	.set _ZN7rocprim17ROCPRIM_400000_NS6detail17trampoline_kernelINS0_14default_configENS1_32segmented_reduce_config_selectorIdEEZNS1_21segmented_reduce_implIS3_PKdPdPKidN6hipcub16HIPCUB_304000_NS6detail27convert_result_type_wrapperIS8_S9_N2at6native12_GLOBAL__N_19CustomMaxEEEEE10hipError_tPvRmT0_T1_jT2_SQ_T4_T3_P12ihipStream_tbEUlT_E_NS1_11comp_targetILNS1_3genE2ELNS1_11target_archE906ELNS1_3gpuE6ELNS1_3repE0EEENS1_30default_config_static_selectorELNS0_4arch9wavefront6targetE0EEEvSP_.has_recursion, 0
	.set _ZN7rocprim17ROCPRIM_400000_NS6detail17trampoline_kernelINS0_14default_configENS1_32segmented_reduce_config_selectorIdEEZNS1_21segmented_reduce_implIS3_PKdPdPKidN6hipcub16HIPCUB_304000_NS6detail27convert_result_type_wrapperIS8_S9_N2at6native12_GLOBAL__N_19CustomMaxEEEEE10hipError_tPvRmT0_T1_jT2_SQ_T4_T3_P12ihipStream_tbEUlT_E_NS1_11comp_targetILNS1_3genE2ELNS1_11target_archE906ELNS1_3gpuE6ELNS1_3repE0EEENS1_30default_config_static_selectorELNS0_4arch9wavefront6targetE0EEEvSP_.has_indirect_call, 0
	.section	.AMDGPU.csdata,"",@progbits
; Kernel info:
; codeLenInByte = 0
; TotalNumSgprs: 0
; NumVgprs: 0
; ScratchSize: 0
; MemoryBound: 0
; FloatMode: 240
; IeeeMode: 1
; LDSByteSize: 0 bytes/workgroup (compile time only)
; SGPRBlocks: 0
; VGPRBlocks: 0
; NumSGPRsForWavesPerEU: 1
; NumVGPRsForWavesPerEU: 1
; NamedBarCnt: 0
; Occupancy: 16
; WaveLimiterHint : 0
; COMPUTE_PGM_RSRC2:SCRATCH_EN: 0
; COMPUTE_PGM_RSRC2:USER_SGPR: 2
; COMPUTE_PGM_RSRC2:TRAP_HANDLER: 0
; COMPUTE_PGM_RSRC2:TGID_X_EN: 1
; COMPUTE_PGM_RSRC2:TGID_Y_EN: 0
; COMPUTE_PGM_RSRC2:TGID_Z_EN: 0
; COMPUTE_PGM_RSRC2:TIDIG_COMP_CNT: 0
	.section	.text._ZN7rocprim17ROCPRIM_400000_NS6detail17trampoline_kernelINS0_14default_configENS1_32segmented_reduce_config_selectorIdEEZNS1_21segmented_reduce_implIS3_PKdPdPKidN6hipcub16HIPCUB_304000_NS6detail27convert_result_type_wrapperIS8_S9_N2at6native12_GLOBAL__N_19CustomMaxEEEEE10hipError_tPvRmT0_T1_jT2_SQ_T4_T3_P12ihipStream_tbEUlT_E_NS1_11comp_targetILNS1_3genE9ELNS1_11target_archE1100ELNS1_3gpuE3ELNS1_3repE0EEENS1_30default_config_static_selectorELNS0_4arch9wavefront6targetE0EEEvSP_,"axG",@progbits,_ZN7rocprim17ROCPRIM_400000_NS6detail17trampoline_kernelINS0_14default_configENS1_32segmented_reduce_config_selectorIdEEZNS1_21segmented_reduce_implIS3_PKdPdPKidN6hipcub16HIPCUB_304000_NS6detail27convert_result_type_wrapperIS8_S9_N2at6native12_GLOBAL__N_19CustomMaxEEEEE10hipError_tPvRmT0_T1_jT2_SQ_T4_T3_P12ihipStream_tbEUlT_E_NS1_11comp_targetILNS1_3genE9ELNS1_11target_archE1100ELNS1_3gpuE3ELNS1_3repE0EEENS1_30default_config_static_selectorELNS0_4arch9wavefront6targetE0EEEvSP_,comdat
	.globl	_ZN7rocprim17ROCPRIM_400000_NS6detail17trampoline_kernelINS0_14default_configENS1_32segmented_reduce_config_selectorIdEEZNS1_21segmented_reduce_implIS3_PKdPdPKidN6hipcub16HIPCUB_304000_NS6detail27convert_result_type_wrapperIS8_S9_N2at6native12_GLOBAL__N_19CustomMaxEEEEE10hipError_tPvRmT0_T1_jT2_SQ_T4_T3_P12ihipStream_tbEUlT_E_NS1_11comp_targetILNS1_3genE9ELNS1_11target_archE1100ELNS1_3gpuE3ELNS1_3repE0EEENS1_30default_config_static_selectorELNS0_4arch9wavefront6targetE0EEEvSP_ ; -- Begin function _ZN7rocprim17ROCPRIM_400000_NS6detail17trampoline_kernelINS0_14default_configENS1_32segmented_reduce_config_selectorIdEEZNS1_21segmented_reduce_implIS3_PKdPdPKidN6hipcub16HIPCUB_304000_NS6detail27convert_result_type_wrapperIS8_S9_N2at6native12_GLOBAL__N_19CustomMaxEEEEE10hipError_tPvRmT0_T1_jT2_SQ_T4_T3_P12ihipStream_tbEUlT_E_NS1_11comp_targetILNS1_3genE9ELNS1_11target_archE1100ELNS1_3gpuE3ELNS1_3repE0EEENS1_30default_config_static_selectorELNS0_4arch9wavefront6targetE0EEEvSP_
	.p2align	8
	.type	_ZN7rocprim17ROCPRIM_400000_NS6detail17trampoline_kernelINS0_14default_configENS1_32segmented_reduce_config_selectorIdEEZNS1_21segmented_reduce_implIS3_PKdPdPKidN6hipcub16HIPCUB_304000_NS6detail27convert_result_type_wrapperIS8_S9_N2at6native12_GLOBAL__N_19CustomMaxEEEEE10hipError_tPvRmT0_T1_jT2_SQ_T4_T3_P12ihipStream_tbEUlT_E_NS1_11comp_targetILNS1_3genE9ELNS1_11target_archE1100ELNS1_3gpuE3ELNS1_3repE0EEENS1_30default_config_static_selectorELNS0_4arch9wavefront6targetE0EEEvSP_,@function
_ZN7rocprim17ROCPRIM_400000_NS6detail17trampoline_kernelINS0_14default_configENS1_32segmented_reduce_config_selectorIdEEZNS1_21segmented_reduce_implIS3_PKdPdPKidN6hipcub16HIPCUB_304000_NS6detail27convert_result_type_wrapperIS8_S9_N2at6native12_GLOBAL__N_19CustomMaxEEEEE10hipError_tPvRmT0_T1_jT2_SQ_T4_T3_P12ihipStream_tbEUlT_E_NS1_11comp_targetILNS1_3genE9ELNS1_11target_archE1100ELNS1_3gpuE3ELNS1_3repE0EEENS1_30default_config_static_selectorELNS0_4arch9wavefront6targetE0EEEvSP_: ; @_ZN7rocprim17ROCPRIM_400000_NS6detail17trampoline_kernelINS0_14default_configENS1_32segmented_reduce_config_selectorIdEEZNS1_21segmented_reduce_implIS3_PKdPdPKidN6hipcub16HIPCUB_304000_NS6detail27convert_result_type_wrapperIS8_S9_N2at6native12_GLOBAL__N_19CustomMaxEEEEE10hipError_tPvRmT0_T1_jT2_SQ_T4_T3_P12ihipStream_tbEUlT_E_NS1_11comp_targetILNS1_3genE9ELNS1_11target_archE1100ELNS1_3gpuE3ELNS1_3repE0EEENS1_30default_config_static_selectorELNS0_4arch9wavefront6targetE0EEEvSP_
; %bb.0:
	.section	.rodata,"a",@progbits
	.p2align	6, 0x0
	.amdhsa_kernel _ZN7rocprim17ROCPRIM_400000_NS6detail17trampoline_kernelINS0_14default_configENS1_32segmented_reduce_config_selectorIdEEZNS1_21segmented_reduce_implIS3_PKdPdPKidN6hipcub16HIPCUB_304000_NS6detail27convert_result_type_wrapperIS8_S9_N2at6native12_GLOBAL__N_19CustomMaxEEEEE10hipError_tPvRmT0_T1_jT2_SQ_T4_T3_P12ihipStream_tbEUlT_E_NS1_11comp_targetILNS1_3genE9ELNS1_11target_archE1100ELNS1_3gpuE3ELNS1_3repE0EEENS1_30default_config_static_selectorELNS0_4arch9wavefront6targetE0EEEvSP_
		.amdhsa_group_segment_fixed_size 0
		.amdhsa_private_segment_fixed_size 0
		.amdhsa_kernarg_size 56
		.amdhsa_user_sgpr_count 2
		.amdhsa_user_sgpr_dispatch_ptr 0
		.amdhsa_user_sgpr_queue_ptr 0
		.amdhsa_user_sgpr_kernarg_segment_ptr 1
		.amdhsa_user_sgpr_dispatch_id 0
		.amdhsa_user_sgpr_kernarg_preload_length 0
		.amdhsa_user_sgpr_kernarg_preload_offset 0
		.amdhsa_user_sgpr_private_segment_size 0
		.amdhsa_wavefront_size32 1
		.amdhsa_uses_dynamic_stack 0
		.amdhsa_enable_private_segment 0
		.amdhsa_system_sgpr_workgroup_id_x 1
		.amdhsa_system_sgpr_workgroup_id_y 0
		.amdhsa_system_sgpr_workgroup_id_z 0
		.amdhsa_system_sgpr_workgroup_info 0
		.amdhsa_system_vgpr_workitem_id 0
		.amdhsa_next_free_vgpr 1
		.amdhsa_next_free_sgpr 1
		.amdhsa_named_barrier_count 0
		.amdhsa_reserve_vcc 0
		.amdhsa_float_round_mode_32 0
		.amdhsa_float_round_mode_16_64 0
		.amdhsa_float_denorm_mode_32 3
		.amdhsa_float_denorm_mode_16_64 3
		.amdhsa_fp16_overflow 0
		.amdhsa_memory_ordered 1
		.amdhsa_forward_progress 1
		.amdhsa_inst_pref_size 0
		.amdhsa_round_robin_scheduling 0
		.amdhsa_exception_fp_ieee_invalid_op 0
		.amdhsa_exception_fp_denorm_src 0
		.amdhsa_exception_fp_ieee_div_zero 0
		.amdhsa_exception_fp_ieee_overflow 0
		.amdhsa_exception_fp_ieee_underflow 0
		.amdhsa_exception_fp_ieee_inexact 0
		.amdhsa_exception_int_div_zero 0
	.end_amdhsa_kernel
	.section	.text._ZN7rocprim17ROCPRIM_400000_NS6detail17trampoline_kernelINS0_14default_configENS1_32segmented_reduce_config_selectorIdEEZNS1_21segmented_reduce_implIS3_PKdPdPKidN6hipcub16HIPCUB_304000_NS6detail27convert_result_type_wrapperIS8_S9_N2at6native12_GLOBAL__N_19CustomMaxEEEEE10hipError_tPvRmT0_T1_jT2_SQ_T4_T3_P12ihipStream_tbEUlT_E_NS1_11comp_targetILNS1_3genE9ELNS1_11target_archE1100ELNS1_3gpuE3ELNS1_3repE0EEENS1_30default_config_static_selectorELNS0_4arch9wavefront6targetE0EEEvSP_,"axG",@progbits,_ZN7rocprim17ROCPRIM_400000_NS6detail17trampoline_kernelINS0_14default_configENS1_32segmented_reduce_config_selectorIdEEZNS1_21segmented_reduce_implIS3_PKdPdPKidN6hipcub16HIPCUB_304000_NS6detail27convert_result_type_wrapperIS8_S9_N2at6native12_GLOBAL__N_19CustomMaxEEEEE10hipError_tPvRmT0_T1_jT2_SQ_T4_T3_P12ihipStream_tbEUlT_E_NS1_11comp_targetILNS1_3genE9ELNS1_11target_archE1100ELNS1_3gpuE3ELNS1_3repE0EEENS1_30default_config_static_selectorELNS0_4arch9wavefront6targetE0EEEvSP_,comdat
.Lfunc_end15:
	.size	_ZN7rocprim17ROCPRIM_400000_NS6detail17trampoline_kernelINS0_14default_configENS1_32segmented_reduce_config_selectorIdEEZNS1_21segmented_reduce_implIS3_PKdPdPKidN6hipcub16HIPCUB_304000_NS6detail27convert_result_type_wrapperIS8_S9_N2at6native12_GLOBAL__N_19CustomMaxEEEEE10hipError_tPvRmT0_T1_jT2_SQ_T4_T3_P12ihipStream_tbEUlT_E_NS1_11comp_targetILNS1_3genE9ELNS1_11target_archE1100ELNS1_3gpuE3ELNS1_3repE0EEENS1_30default_config_static_selectorELNS0_4arch9wavefront6targetE0EEEvSP_, .Lfunc_end15-_ZN7rocprim17ROCPRIM_400000_NS6detail17trampoline_kernelINS0_14default_configENS1_32segmented_reduce_config_selectorIdEEZNS1_21segmented_reduce_implIS3_PKdPdPKidN6hipcub16HIPCUB_304000_NS6detail27convert_result_type_wrapperIS8_S9_N2at6native12_GLOBAL__N_19CustomMaxEEEEE10hipError_tPvRmT0_T1_jT2_SQ_T4_T3_P12ihipStream_tbEUlT_E_NS1_11comp_targetILNS1_3genE9ELNS1_11target_archE1100ELNS1_3gpuE3ELNS1_3repE0EEENS1_30default_config_static_selectorELNS0_4arch9wavefront6targetE0EEEvSP_
                                        ; -- End function
	.set _ZN7rocprim17ROCPRIM_400000_NS6detail17trampoline_kernelINS0_14default_configENS1_32segmented_reduce_config_selectorIdEEZNS1_21segmented_reduce_implIS3_PKdPdPKidN6hipcub16HIPCUB_304000_NS6detail27convert_result_type_wrapperIS8_S9_N2at6native12_GLOBAL__N_19CustomMaxEEEEE10hipError_tPvRmT0_T1_jT2_SQ_T4_T3_P12ihipStream_tbEUlT_E_NS1_11comp_targetILNS1_3genE9ELNS1_11target_archE1100ELNS1_3gpuE3ELNS1_3repE0EEENS1_30default_config_static_selectorELNS0_4arch9wavefront6targetE0EEEvSP_.num_vgpr, 0
	.set _ZN7rocprim17ROCPRIM_400000_NS6detail17trampoline_kernelINS0_14default_configENS1_32segmented_reduce_config_selectorIdEEZNS1_21segmented_reduce_implIS3_PKdPdPKidN6hipcub16HIPCUB_304000_NS6detail27convert_result_type_wrapperIS8_S9_N2at6native12_GLOBAL__N_19CustomMaxEEEEE10hipError_tPvRmT0_T1_jT2_SQ_T4_T3_P12ihipStream_tbEUlT_E_NS1_11comp_targetILNS1_3genE9ELNS1_11target_archE1100ELNS1_3gpuE3ELNS1_3repE0EEENS1_30default_config_static_selectorELNS0_4arch9wavefront6targetE0EEEvSP_.num_agpr, 0
	.set _ZN7rocprim17ROCPRIM_400000_NS6detail17trampoline_kernelINS0_14default_configENS1_32segmented_reduce_config_selectorIdEEZNS1_21segmented_reduce_implIS3_PKdPdPKidN6hipcub16HIPCUB_304000_NS6detail27convert_result_type_wrapperIS8_S9_N2at6native12_GLOBAL__N_19CustomMaxEEEEE10hipError_tPvRmT0_T1_jT2_SQ_T4_T3_P12ihipStream_tbEUlT_E_NS1_11comp_targetILNS1_3genE9ELNS1_11target_archE1100ELNS1_3gpuE3ELNS1_3repE0EEENS1_30default_config_static_selectorELNS0_4arch9wavefront6targetE0EEEvSP_.numbered_sgpr, 0
	.set _ZN7rocprim17ROCPRIM_400000_NS6detail17trampoline_kernelINS0_14default_configENS1_32segmented_reduce_config_selectorIdEEZNS1_21segmented_reduce_implIS3_PKdPdPKidN6hipcub16HIPCUB_304000_NS6detail27convert_result_type_wrapperIS8_S9_N2at6native12_GLOBAL__N_19CustomMaxEEEEE10hipError_tPvRmT0_T1_jT2_SQ_T4_T3_P12ihipStream_tbEUlT_E_NS1_11comp_targetILNS1_3genE9ELNS1_11target_archE1100ELNS1_3gpuE3ELNS1_3repE0EEENS1_30default_config_static_selectorELNS0_4arch9wavefront6targetE0EEEvSP_.num_named_barrier, 0
	.set _ZN7rocprim17ROCPRIM_400000_NS6detail17trampoline_kernelINS0_14default_configENS1_32segmented_reduce_config_selectorIdEEZNS1_21segmented_reduce_implIS3_PKdPdPKidN6hipcub16HIPCUB_304000_NS6detail27convert_result_type_wrapperIS8_S9_N2at6native12_GLOBAL__N_19CustomMaxEEEEE10hipError_tPvRmT0_T1_jT2_SQ_T4_T3_P12ihipStream_tbEUlT_E_NS1_11comp_targetILNS1_3genE9ELNS1_11target_archE1100ELNS1_3gpuE3ELNS1_3repE0EEENS1_30default_config_static_selectorELNS0_4arch9wavefront6targetE0EEEvSP_.private_seg_size, 0
	.set _ZN7rocprim17ROCPRIM_400000_NS6detail17trampoline_kernelINS0_14default_configENS1_32segmented_reduce_config_selectorIdEEZNS1_21segmented_reduce_implIS3_PKdPdPKidN6hipcub16HIPCUB_304000_NS6detail27convert_result_type_wrapperIS8_S9_N2at6native12_GLOBAL__N_19CustomMaxEEEEE10hipError_tPvRmT0_T1_jT2_SQ_T4_T3_P12ihipStream_tbEUlT_E_NS1_11comp_targetILNS1_3genE9ELNS1_11target_archE1100ELNS1_3gpuE3ELNS1_3repE0EEENS1_30default_config_static_selectorELNS0_4arch9wavefront6targetE0EEEvSP_.uses_vcc, 0
	.set _ZN7rocprim17ROCPRIM_400000_NS6detail17trampoline_kernelINS0_14default_configENS1_32segmented_reduce_config_selectorIdEEZNS1_21segmented_reduce_implIS3_PKdPdPKidN6hipcub16HIPCUB_304000_NS6detail27convert_result_type_wrapperIS8_S9_N2at6native12_GLOBAL__N_19CustomMaxEEEEE10hipError_tPvRmT0_T1_jT2_SQ_T4_T3_P12ihipStream_tbEUlT_E_NS1_11comp_targetILNS1_3genE9ELNS1_11target_archE1100ELNS1_3gpuE3ELNS1_3repE0EEENS1_30default_config_static_selectorELNS0_4arch9wavefront6targetE0EEEvSP_.uses_flat_scratch, 0
	.set _ZN7rocprim17ROCPRIM_400000_NS6detail17trampoline_kernelINS0_14default_configENS1_32segmented_reduce_config_selectorIdEEZNS1_21segmented_reduce_implIS3_PKdPdPKidN6hipcub16HIPCUB_304000_NS6detail27convert_result_type_wrapperIS8_S9_N2at6native12_GLOBAL__N_19CustomMaxEEEEE10hipError_tPvRmT0_T1_jT2_SQ_T4_T3_P12ihipStream_tbEUlT_E_NS1_11comp_targetILNS1_3genE9ELNS1_11target_archE1100ELNS1_3gpuE3ELNS1_3repE0EEENS1_30default_config_static_selectorELNS0_4arch9wavefront6targetE0EEEvSP_.has_dyn_sized_stack, 0
	.set _ZN7rocprim17ROCPRIM_400000_NS6detail17trampoline_kernelINS0_14default_configENS1_32segmented_reduce_config_selectorIdEEZNS1_21segmented_reduce_implIS3_PKdPdPKidN6hipcub16HIPCUB_304000_NS6detail27convert_result_type_wrapperIS8_S9_N2at6native12_GLOBAL__N_19CustomMaxEEEEE10hipError_tPvRmT0_T1_jT2_SQ_T4_T3_P12ihipStream_tbEUlT_E_NS1_11comp_targetILNS1_3genE9ELNS1_11target_archE1100ELNS1_3gpuE3ELNS1_3repE0EEENS1_30default_config_static_selectorELNS0_4arch9wavefront6targetE0EEEvSP_.has_recursion, 0
	.set _ZN7rocprim17ROCPRIM_400000_NS6detail17trampoline_kernelINS0_14default_configENS1_32segmented_reduce_config_selectorIdEEZNS1_21segmented_reduce_implIS3_PKdPdPKidN6hipcub16HIPCUB_304000_NS6detail27convert_result_type_wrapperIS8_S9_N2at6native12_GLOBAL__N_19CustomMaxEEEEE10hipError_tPvRmT0_T1_jT2_SQ_T4_T3_P12ihipStream_tbEUlT_E_NS1_11comp_targetILNS1_3genE9ELNS1_11target_archE1100ELNS1_3gpuE3ELNS1_3repE0EEENS1_30default_config_static_selectorELNS0_4arch9wavefront6targetE0EEEvSP_.has_indirect_call, 0
	.section	.AMDGPU.csdata,"",@progbits
; Kernel info:
; codeLenInByte = 0
; TotalNumSgprs: 0
; NumVgprs: 0
; ScratchSize: 0
; MemoryBound: 0
; FloatMode: 240
; IeeeMode: 1
; LDSByteSize: 0 bytes/workgroup (compile time only)
; SGPRBlocks: 0
; VGPRBlocks: 0
; NumSGPRsForWavesPerEU: 1
; NumVGPRsForWavesPerEU: 1
; NamedBarCnt: 0
; Occupancy: 16
; WaveLimiterHint : 0
; COMPUTE_PGM_RSRC2:SCRATCH_EN: 0
; COMPUTE_PGM_RSRC2:USER_SGPR: 2
; COMPUTE_PGM_RSRC2:TRAP_HANDLER: 0
; COMPUTE_PGM_RSRC2:TGID_X_EN: 1
; COMPUTE_PGM_RSRC2:TGID_Y_EN: 0
; COMPUTE_PGM_RSRC2:TGID_Z_EN: 0
; COMPUTE_PGM_RSRC2:TIDIG_COMP_CNT: 0
	.section	.text._ZN7rocprim17ROCPRIM_400000_NS6detail17trampoline_kernelINS0_14default_configENS1_32segmented_reduce_config_selectorIdEEZNS1_21segmented_reduce_implIS3_PKdPdPKidN6hipcub16HIPCUB_304000_NS6detail27convert_result_type_wrapperIS8_S9_N2at6native12_GLOBAL__N_19CustomMaxEEEEE10hipError_tPvRmT0_T1_jT2_SQ_T4_T3_P12ihipStream_tbEUlT_E_NS1_11comp_targetILNS1_3genE8ELNS1_11target_archE1030ELNS1_3gpuE2ELNS1_3repE0EEENS1_30default_config_static_selectorELNS0_4arch9wavefront6targetE0EEEvSP_,"axG",@progbits,_ZN7rocprim17ROCPRIM_400000_NS6detail17trampoline_kernelINS0_14default_configENS1_32segmented_reduce_config_selectorIdEEZNS1_21segmented_reduce_implIS3_PKdPdPKidN6hipcub16HIPCUB_304000_NS6detail27convert_result_type_wrapperIS8_S9_N2at6native12_GLOBAL__N_19CustomMaxEEEEE10hipError_tPvRmT0_T1_jT2_SQ_T4_T3_P12ihipStream_tbEUlT_E_NS1_11comp_targetILNS1_3genE8ELNS1_11target_archE1030ELNS1_3gpuE2ELNS1_3repE0EEENS1_30default_config_static_selectorELNS0_4arch9wavefront6targetE0EEEvSP_,comdat
	.globl	_ZN7rocprim17ROCPRIM_400000_NS6detail17trampoline_kernelINS0_14default_configENS1_32segmented_reduce_config_selectorIdEEZNS1_21segmented_reduce_implIS3_PKdPdPKidN6hipcub16HIPCUB_304000_NS6detail27convert_result_type_wrapperIS8_S9_N2at6native12_GLOBAL__N_19CustomMaxEEEEE10hipError_tPvRmT0_T1_jT2_SQ_T4_T3_P12ihipStream_tbEUlT_E_NS1_11comp_targetILNS1_3genE8ELNS1_11target_archE1030ELNS1_3gpuE2ELNS1_3repE0EEENS1_30default_config_static_selectorELNS0_4arch9wavefront6targetE0EEEvSP_ ; -- Begin function _ZN7rocprim17ROCPRIM_400000_NS6detail17trampoline_kernelINS0_14default_configENS1_32segmented_reduce_config_selectorIdEEZNS1_21segmented_reduce_implIS3_PKdPdPKidN6hipcub16HIPCUB_304000_NS6detail27convert_result_type_wrapperIS8_S9_N2at6native12_GLOBAL__N_19CustomMaxEEEEE10hipError_tPvRmT0_T1_jT2_SQ_T4_T3_P12ihipStream_tbEUlT_E_NS1_11comp_targetILNS1_3genE8ELNS1_11target_archE1030ELNS1_3gpuE2ELNS1_3repE0EEENS1_30default_config_static_selectorELNS0_4arch9wavefront6targetE0EEEvSP_
	.p2align	8
	.type	_ZN7rocprim17ROCPRIM_400000_NS6detail17trampoline_kernelINS0_14default_configENS1_32segmented_reduce_config_selectorIdEEZNS1_21segmented_reduce_implIS3_PKdPdPKidN6hipcub16HIPCUB_304000_NS6detail27convert_result_type_wrapperIS8_S9_N2at6native12_GLOBAL__N_19CustomMaxEEEEE10hipError_tPvRmT0_T1_jT2_SQ_T4_T3_P12ihipStream_tbEUlT_E_NS1_11comp_targetILNS1_3genE8ELNS1_11target_archE1030ELNS1_3gpuE2ELNS1_3repE0EEENS1_30default_config_static_selectorELNS0_4arch9wavefront6targetE0EEEvSP_,@function
_ZN7rocprim17ROCPRIM_400000_NS6detail17trampoline_kernelINS0_14default_configENS1_32segmented_reduce_config_selectorIdEEZNS1_21segmented_reduce_implIS3_PKdPdPKidN6hipcub16HIPCUB_304000_NS6detail27convert_result_type_wrapperIS8_S9_N2at6native12_GLOBAL__N_19CustomMaxEEEEE10hipError_tPvRmT0_T1_jT2_SQ_T4_T3_P12ihipStream_tbEUlT_E_NS1_11comp_targetILNS1_3genE8ELNS1_11target_archE1030ELNS1_3gpuE2ELNS1_3repE0EEENS1_30default_config_static_selectorELNS0_4arch9wavefront6targetE0EEEvSP_: ; @_ZN7rocprim17ROCPRIM_400000_NS6detail17trampoline_kernelINS0_14default_configENS1_32segmented_reduce_config_selectorIdEEZNS1_21segmented_reduce_implIS3_PKdPdPKidN6hipcub16HIPCUB_304000_NS6detail27convert_result_type_wrapperIS8_S9_N2at6native12_GLOBAL__N_19CustomMaxEEEEE10hipError_tPvRmT0_T1_jT2_SQ_T4_T3_P12ihipStream_tbEUlT_E_NS1_11comp_targetILNS1_3genE8ELNS1_11target_archE1030ELNS1_3gpuE2ELNS1_3repE0EEENS1_30default_config_static_selectorELNS0_4arch9wavefront6targetE0EEEvSP_
; %bb.0:
	.section	.rodata,"a",@progbits
	.p2align	6, 0x0
	.amdhsa_kernel _ZN7rocprim17ROCPRIM_400000_NS6detail17trampoline_kernelINS0_14default_configENS1_32segmented_reduce_config_selectorIdEEZNS1_21segmented_reduce_implIS3_PKdPdPKidN6hipcub16HIPCUB_304000_NS6detail27convert_result_type_wrapperIS8_S9_N2at6native12_GLOBAL__N_19CustomMaxEEEEE10hipError_tPvRmT0_T1_jT2_SQ_T4_T3_P12ihipStream_tbEUlT_E_NS1_11comp_targetILNS1_3genE8ELNS1_11target_archE1030ELNS1_3gpuE2ELNS1_3repE0EEENS1_30default_config_static_selectorELNS0_4arch9wavefront6targetE0EEEvSP_
		.amdhsa_group_segment_fixed_size 0
		.amdhsa_private_segment_fixed_size 0
		.amdhsa_kernarg_size 56
		.amdhsa_user_sgpr_count 2
		.amdhsa_user_sgpr_dispatch_ptr 0
		.amdhsa_user_sgpr_queue_ptr 0
		.amdhsa_user_sgpr_kernarg_segment_ptr 1
		.amdhsa_user_sgpr_dispatch_id 0
		.amdhsa_user_sgpr_kernarg_preload_length 0
		.amdhsa_user_sgpr_kernarg_preload_offset 0
		.amdhsa_user_sgpr_private_segment_size 0
		.amdhsa_wavefront_size32 1
		.amdhsa_uses_dynamic_stack 0
		.amdhsa_enable_private_segment 0
		.amdhsa_system_sgpr_workgroup_id_x 1
		.amdhsa_system_sgpr_workgroup_id_y 0
		.amdhsa_system_sgpr_workgroup_id_z 0
		.amdhsa_system_sgpr_workgroup_info 0
		.amdhsa_system_vgpr_workitem_id 0
		.amdhsa_next_free_vgpr 1
		.amdhsa_next_free_sgpr 1
		.amdhsa_named_barrier_count 0
		.amdhsa_reserve_vcc 0
		.amdhsa_float_round_mode_32 0
		.amdhsa_float_round_mode_16_64 0
		.amdhsa_float_denorm_mode_32 3
		.amdhsa_float_denorm_mode_16_64 3
		.amdhsa_fp16_overflow 0
		.amdhsa_memory_ordered 1
		.amdhsa_forward_progress 1
		.amdhsa_inst_pref_size 0
		.amdhsa_round_robin_scheduling 0
		.amdhsa_exception_fp_ieee_invalid_op 0
		.amdhsa_exception_fp_denorm_src 0
		.amdhsa_exception_fp_ieee_div_zero 0
		.amdhsa_exception_fp_ieee_overflow 0
		.amdhsa_exception_fp_ieee_underflow 0
		.amdhsa_exception_fp_ieee_inexact 0
		.amdhsa_exception_int_div_zero 0
	.end_amdhsa_kernel
	.section	.text._ZN7rocprim17ROCPRIM_400000_NS6detail17trampoline_kernelINS0_14default_configENS1_32segmented_reduce_config_selectorIdEEZNS1_21segmented_reduce_implIS3_PKdPdPKidN6hipcub16HIPCUB_304000_NS6detail27convert_result_type_wrapperIS8_S9_N2at6native12_GLOBAL__N_19CustomMaxEEEEE10hipError_tPvRmT0_T1_jT2_SQ_T4_T3_P12ihipStream_tbEUlT_E_NS1_11comp_targetILNS1_3genE8ELNS1_11target_archE1030ELNS1_3gpuE2ELNS1_3repE0EEENS1_30default_config_static_selectorELNS0_4arch9wavefront6targetE0EEEvSP_,"axG",@progbits,_ZN7rocprim17ROCPRIM_400000_NS6detail17trampoline_kernelINS0_14default_configENS1_32segmented_reduce_config_selectorIdEEZNS1_21segmented_reduce_implIS3_PKdPdPKidN6hipcub16HIPCUB_304000_NS6detail27convert_result_type_wrapperIS8_S9_N2at6native12_GLOBAL__N_19CustomMaxEEEEE10hipError_tPvRmT0_T1_jT2_SQ_T4_T3_P12ihipStream_tbEUlT_E_NS1_11comp_targetILNS1_3genE8ELNS1_11target_archE1030ELNS1_3gpuE2ELNS1_3repE0EEENS1_30default_config_static_selectorELNS0_4arch9wavefront6targetE0EEEvSP_,comdat
.Lfunc_end16:
	.size	_ZN7rocprim17ROCPRIM_400000_NS6detail17trampoline_kernelINS0_14default_configENS1_32segmented_reduce_config_selectorIdEEZNS1_21segmented_reduce_implIS3_PKdPdPKidN6hipcub16HIPCUB_304000_NS6detail27convert_result_type_wrapperIS8_S9_N2at6native12_GLOBAL__N_19CustomMaxEEEEE10hipError_tPvRmT0_T1_jT2_SQ_T4_T3_P12ihipStream_tbEUlT_E_NS1_11comp_targetILNS1_3genE8ELNS1_11target_archE1030ELNS1_3gpuE2ELNS1_3repE0EEENS1_30default_config_static_selectorELNS0_4arch9wavefront6targetE0EEEvSP_, .Lfunc_end16-_ZN7rocprim17ROCPRIM_400000_NS6detail17trampoline_kernelINS0_14default_configENS1_32segmented_reduce_config_selectorIdEEZNS1_21segmented_reduce_implIS3_PKdPdPKidN6hipcub16HIPCUB_304000_NS6detail27convert_result_type_wrapperIS8_S9_N2at6native12_GLOBAL__N_19CustomMaxEEEEE10hipError_tPvRmT0_T1_jT2_SQ_T4_T3_P12ihipStream_tbEUlT_E_NS1_11comp_targetILNS1_3genE8ELNS1_11target_archE1030ELNS1_3gpuE2ELNS1_3repE0EEENS1_30default_config_static_selectorELNS0_4arch9wavefront6targetE0EEEvSP_
                                        ; -- End function
	.set _ZN7rocprim17ROCPRIM_400000_NS6detail17trampoline_kernelINS0_14default_configENS1_32segmented_reduce_config_selectorIdEEZNS1_21segmented_reduce_implIS3_PKdPdPKidN6hipcub16HIPCUB_304000_NS6detail27convert_result_type_wrapperIS8_S9_N2at6native12_GLOBAL__N_19CustomMaxEEEEE10hipError_tPvRmT0_T1_jT2_SQ_T4_T3_P12ihipStream_tbEUlT_E_NS1_11comp_targetILNS1_3genE8ELNS1_11target_archE1030ELNS1_3gpuE2ELNS1_3repE0EEENS1_30default_config_static_selectorELNS0_4arch9wavefront6targetE0EEEvSP_.num_vgpr, 0
	.set _ZN7rocprim17ROCPRIM_400000_NS6detail17trampoline_kernelINS0_14default_configENS1_32segmented_reduce_config_selectorIdEEZNS1_21segmented_reduce_implIS3_PKdPdPKidN6hipcub16HIPCUB_304000_NS6detail27convert_result_type_wrapperIS8_S9_N2at6native12_GLOBAL__N_19CustomMaxEEEEE10hipError_tPvRmT0_T1_jT2_SQ_T4_T3_P12ihipStream_tbEUlT_E_NS1_11comp_targetILNS1_3genE8ELNS1_11target_archE1030ELNS1_3gpuE2ELNS1_3repE0EEENS1_30default_config_static_selectorELNS0_4arch9wavefront6targetE0EEEvSP_.num_agpr, 0
	.set _ZN7rocprim17ROCPRIM_400000_NS6detail17trampoline_kernelINS0_14default_configENS1_32segmented_reduce_config_selectorIdEEZNS1_21segmented_reduce_implIS3_PKdPdPKidN6hipcub16HIPCUB_304000_NS6detail27convert_result_type_wrapperIS8_S9_N2at6native12_GLOBAL__N_19CustomMaxEEEEE10hipError_tPvRmT0_T1_jT2_SQ_T4_T3_P12ihipStream_tbEUlT_E_NS1_11comp_targetILNS1_3genE8ELNS1_11target_archE1030ELNS1_3gpuE2ELNS1_3repE0EEENS1_30default_config_static_selectorELNS0_4arch9wavefront6targetE0EEEvSP_.numbered_sgpr, 0
	.set _ZN7rocprim17ROCPRIM_400000_NS6detail17trampoline_kernelINS0_14default_configENS1_32segmented_reduce_config_selectorIdEEZNS1_21segmented_reduce_implIS3_PKdPdPKidN6hipcub16HIPCUB_304000_NS6detail27convert_result_type_wrapperIS8_S9_N2at6native12_GLOBAL__N_19CustomMaxEEEEE10hipError_tPvRmT0_T1_jT2_SQ_T4_T3_P12ihipStream_tbEUlT_E_NS1_11comp_targetILNS1_3genE8ELNS1_11target_archE1030ELNS1_3gpuE2ELNS1_3repE0EEENS1_30default_config_static_selectorELNS0_4arch9wavefront6targetE0EEEvSP_.num_named_barrier, 0
	.set _ZN7rocprim17ROCPRIM_400000_NS6detail17trampoline_kernelINS0_14default_configENS1_32segmented_reduce_config_selectorIdEEZNS1_21segmented_reduce_implIS3_PKdPdPKidN6hipcub16HIPCUB_304000_NS6detail27convert_result_type_wrapperIS8_S9_N2at6native12_GLOBAL__N_19CustomMaxEEEEE10hipError_tPvRmT0_T1_jT2_SQ_T4_T3_P12ihipStream_tbEUlT_E_NS1_11comp_targetILNS1_3genE8ELNS1_11target_archE1030ELNS1_3gpuE2ELNS1_3repE0EEENS1_30default_config_static_selectorELNS0_4arch9wavefront6targetE0EEEvSP_.private_seg_size, 0
	.set _ZN7rocprim17ROCPRIM_400000_NS6detail17trampoline_kernelINS0_14default_configENS1_32segmented_reduce_config_selectorIdEEZNS1_21segmented_reduce_implIS3_PKdPdPKidN6hipcub16HIPCUB_304000_NS6detail27convert_result_type_wrapperIS8_S9_N2at6native12_GLOBAL__N_19CustomMaxEEEEE10hipError_tPvRmT0_T1_jT2_SQ_T4_T3_P12ihipStream_tbEUlT_E_NS1_11comp_targetILNS1_3genE8ELNS1_11target_archE1030ELNS1_3gpuE2ELNS1_3repE0EEENS1_30default_config_static_selectorELNS0_4arch9wavefront6targetE0EEEvSP_.uses_vcc, 0
	.set _ZN7rocprim17ROCPRIM_400000_NS6detail17trampoline_kernelINS0_14default_configENS1_32segmented_reduce_config_selectorIdEEZNS1_21segmented_reduce_implIS3_PKdPdPKidN6hipcub16HIPCUB_304000_NS6detail27convert_result_type_wrapperIS8_S9_N2at6native12_GLOBAL__N_19CustomMaxEEEEE10hipError_tPvRmT0_T1_jT2_SQ_T4_T3_P12ihipStream_tbEUlT_E_NS1_11comp_targetILNS1_3genE8ELNS1_11target_archE1030ELNS1_3gpuE2ELNS1_3repE0EEENS1_30default_config_static_selectorELNS0_4arch9wavefront6targetE0EEEvSP_.uses_flat_scratch, 0
	.set _ZN7rocprim17ROCPRIM_400000_NS6detail17trampoline_kernelINS0_14default_configENS1_32segmented_reduce_config_selectorIdEEZNS1_21segmented_reduce_implIS3_PKdPdPKidN6hipcub16HIPCUB_304000_NS6detail27convert_result_type_wrapperIS8_S9_N2at6native12_GLOBAL__N_19CustomMaxEEEEE10hipError_tPvRmT0_T1_jT2_SQ_T4_T3_P12ihipStream_tbEUlT_E_NS1_11comp_targetILNS1_3genE8ELNS1_11target_archE1030ELNS1_3gpuE2ELNS1_3repE0EEENS1_30default_config_static_selectorELNS0_4arch9wavefront6targetE0EEEvSP_.has_dyn_sized_stack, 0
	.set _ZN7rocprim17ROCPRIM_400000_NS6detail17trampoline_kernelINS0_14default_configENS1_32segmented_reduce_config_selectorIdEEZNS1_21segmented_reduce_implIS3_PKdPdPKidN6hipcub16HIPCUB_304000_NS6detail27convert_result_type_wrapperIS8_S9_N2at6native12_GLOBAL__N_19CustomMaxEEEEE10hipError_tPvRmT0_T1_jT2_SQ_T4_T3_P12ihipStream_tbEUlT_E_NS1_11comp_targetILNS1_3genE8ELNS1_11target_archE1030ELNS1_3gpuE2ELNS1_3repE0EEENS1_30default_config_static_selectorELNS0_4arch9wavefront6targetE0EEEvSP_.has_recursion, 0
	.set _ZN7rocprim17ROCPRIM_400000_NS6detail17trampoline_kernelINS0_14default_configENS1_32segmented_reduce_config_selectorIdEEZNS1_21segmented_reduce_implIS3_PKdPdPKidN6hipcub16HIPCUB_304000_NS6detail27convert_result_type_wrapperIS8_S9_N2at6native12_GLOBAL__N_19CustomMaxEEEEE10hipError_tPvRmT0_T1_jT2_SQ_T4_T3_P12ihipStream_tbEUlT_E_NS1_11comp_targetILNS1_3genE8ELNS1_11target_archE1030ELNS1_3gpuE2ELNS1_3repE0EEENS1_30default_config_static_selectorELNS0_4arch9wavefront6targetE0EEEvSP_.has_indirect_call, 0
	.section	.AMDGPU.csdata,"",@progbits
; Kernel info:
; codeLenInByte = 0
; TotalNumSgprs: 0
; NumVgprs: 0
; ScratchSize: 0
; MemoryBound: 0
; FloatMode: 240
; IeeeMode: 1
; LDSByteSize: 0 bytes/workgroup (compile time only)
; SGPRBlocks: 0
; VGPRBlocks: 0
; NumSGPRsForWavesPerEU: 1
; NumVGPRsForWavesPerEU: 1
; NamedBarCnt: 0
; Occupancy: 16
; WaveLimiterHint : 0
; COMPUTE_PGM_RSRC2:SCRATCH_EN: 0
; COMPUTE_PGM_RSRC2:USER_SGPR: 2
; COMPUTE_PGM_RSRC2:TRAP_HANDLER: 0
; COMPUTE_PGM_RSRC2:TGID_X_EN: 1
; COMPUTE_PGM_RSRC2:TGID_Y_EN: 0
; COMPUTE_PGM_RSRC2:TGID_Z_EN: 0
; COMPUTE_PGM_RSRC2:TIDIG_COMP_CNT: 0
	.section	.text._ZN7rocprim17ROCPRIM_400000_NS6detail17trampoline_kernelINS0_14default_configENS1_32segmented_reduce_config_selectorIdEEZNS1_21segmented_reduce_implIS3_PKdPdPKidN6hipcub16HIPCUB_304000_NS6detail27convert_result_type_wrapperIS8_S9_N2at6native12_GLOBAL__N_19CustomSumEEEEE10hipError_tPvRmT0_T1_jT2_SQ_T4_T3_P12ihipStream_tbEUlT_E_NS1_11comp_targetILNS1_3genE0ELNS1_11target_archE4294967295ELNS1_3gpuE0ELNS1_3repE0EEENS1_30default_config_static_selectorELNS0_4arch9wavefront6targetE0EEEvSP_,"axG",@progbits,_ZN7rocprim17ROCPRIM_400000_NS6detail17trampoline_kernelINS0_14default_configENS1_32segmented_reduce_config_selectorIdEEZNS1_21segmented_reduce_implIS3_PKdPdPKidN6hipcub16HIPCUB_304000_NS6detail27convert_result_type_wrapperIS8_S9_N2at6native12_GLOBAL__N_19CustomSumEEEEE10hipError_tPvRmT0_T1_jT2_SQ_T4_T3_P12ihipStream_tbEUlT_E_NS1_11comp_targetILNS1_3genE0ELNS1_11target_archE4294967295ELNS1_3gpuE0ELNS1_3repE0EEENS1_30default_config_static_selectorELNS0_4arch9wavefront6targetE0EEEvSP_,comdat
	.globl	_ZN7rocprim17ROCPRIM_400000_NS6detail17trampoline_kernelINS0_14default_configENS1_32segmented_reduce_config_selectorIdEEZNS1_21segmented_reduce_implIS3_PKdPdPKidN6hipcub16HIPCUB_304000_NS6detail27convert_result_type_wrapperIS8_S9_N2at6native12_GLOBAL__N_19CustomSumEEEEE10hipError_tPvRmT0_T1_jT2_SQ_T4_T3_P12ihipStream_tbEUlT_E_NS1_11comp_targetILNS1_3genE0ELNS1_11target_archE4294967295ELNS1_3gpuE0ELNS1_3repE0EEENS1_30default_config_static_selectorELNS0_4arch9wavefront6targetE0EEEvSP_ ; -- Begin function _ZN7rocprim17ROCPRIM_400000_NS6detail17trampoline_kernelINS0_14default_configENS1_32segmented_reduce_config_selectorIdEEZNS1_21segmented_reduce_implIS3_PKdPdPKidN6hipcub16HIPCUB_304000_NS6detail27convert_result_type_wrapperIS8_S9_N2at6native12_GLOBAL__N_19CustomSumEEEEE10hipError_tPvRmT0_T1_jT2_SQ_T4_T3_P12ihipStream_tbEUlT_E_NS1_11comp_targetILNS1_3genE0ELNS1_11target_archE4294967295ELNS1_3gpuE0ELNS1_3repE0EEENS1_30default_config_static_selectorELNS0_4arch9wavefront6targetE0EEEvSP_
	.p2align	8
	.type	_ZN7rocprim17ROCPRIM_400000_NS6detail17trampoline_kernelINS0_14default_configENS1_32segmented_reduce_config_selectorIdEEZNS1_21segmented_reduce_implIS3_PKdPdPKidN6hipcub16HIPCUB_304000_NS6detail27convert_result_type_wrapperIS8_S9_N2at6native12_GLOBAL__N_19CustomSumEEEEE10hipError_tPvRmT0_T1_jT2_SQ_T4_T3_P12ihipStream_tbEUlT_E_NS1_11comp_targetILNS1_3genE0ELNS1_11target_archE4294967295ELNS1_3gpuE0ELNS1_3repE0EEENS1_30default_config_static_selectorELNS0_4arch9wavefront6targetE0EEEvSP_,@function
_ZN7rocprim17ROCPRIM_400000_NS6detail17trampoline_kernelINS0_14default_configENS1_32segmented_reduce_config_selectorIdEEZNS1_21segmented_reduce_implIS3_PKdPdPKidN6hipcub16HIPCUB_304000_NS6detail27convert_result_type_wrapperIS8_S9_N2at6native12_GLOBAL__N_19CustomSumEEEEE10hipError_tPvRmT0_T1_jT2_SQ_T4_T3_P12ihipStream_tbEUlT_E_NS1_11comp_targetILNS1_3genE0ELNS1_11target_archE4294967295ELNS1_3gpuE0ELNS1_3repE0EEENS1_30default_config_static_selectorELNS0_4arch9wavefront6targetE0EEEvSP_: ; @_ZN7rocprim17ROCPRIM_400000_NS6detail17trampoline_kernelINS0_14default_configENS1_32segmented_reduce_config_selectorIdEEZNS1_21segmented_reduce_implIS3_PKdPdPKidN6hipcub16HIPCUB_304000_NS6detail27convert_result_type_wrapperIS8_S9_N2at6native12_GLOBAL__N_19CustomSumEEEEE10hipError_tPvRmT0_T1_jT2_SQ_T4_T3_P12ihipStream_tbEUlT_E_NS1_11comp_targetILNS1_3genE0ELNS1_11target_archE4294967295ELNS1_3gpuE0ELNS1_3repE0EEENS1_30default_config_static_selectorELNS0_4arch9wavefront6targetE0EEEvSP_
; %bb.0:
	s_clause 0x1
	s_load_b256 s[8:15], s[0:1], 0x0
	s_load_b64 s[2:3], s[0:1], 0x20
	s_bfe_u32 s4, ttmp6, 0x4000c
	s_and_b32 s5, ttmp6, 15
	s_add_co_i32 s4, s4, 1
	s_getreg_b32 s6, hwreg(HW_REG_IB_STS2, 6, 4)
	s_mul_i32 s4, ttmp9, s4
	s_load_b64 s[16:17], s[0:1], 0x30
	s_add_co_i32 s7, s5, s4
	v_cmp_eq_u32_e32 vcc_lo, 0, v0
	s_wait_kmcnt 0x0
	s_lshl_b64 s[0:1], s[12:13], 2
	s_cmp_eq_u32 s6, 0
	s_add_nc_u64 s[4:5], s[14:15], s[0:1]
	s_cselect_b32 s14, ttmp9, s7
	s_add_nc_u64 s[0:1], s[2:3], s[0:1]
	s_load_b32 s18, s[4:5], s14 offset:0x0 scale_offset
	s_load_b32 s22, s[0:1], s14 offset:0x0 scale_offset
	s_mov_b32 s15, 0
	s_wait_xcnt 0x0
	s_mov_b32 s0, -1
	s_mov_b32 s7, 0
	s_wait_kmcnt 0x0
	s_cmp_gt_i32 s22, s18
	s_cbranch_scc1 .LBB17_2
; %bb.1:
	s_mov_b32 s0, 0
	s_and_b32 s7, vcc_lo, exec_lo
.LBB17_2:
	s_and_not1_b32 vcc_lo, exec_lo, s0
	s_cbranch_vccnz .LBB17_28
; %bb.3:
	s_add_co_i32 s0, s18, 0x800
	s_delay_alu instid0(SALU_CYCLE_1)
	s_cmp_le_i32 s0, s22
	s_cbranch_scc0 .LBB17_29
; %bb.4:
	s_ashr_i32 s19, s18, 31
	s_add_co_i32 s1, s18, 0x1000
	s_lshl_b64 s[2:3], s[18:19], 3
	s_cmp_ge_i32 s1, s22
	s_add_nc_u64 s[2:3], s[8:9], s[2:3]
	s_clause 0x7
	global_load_b64 v[16:17], v0, s[2:3] scale_offset
	global_load_b64 v[14:15], v0, s[2:3] offset:2048 scale_offset
	global_load_b64 v[12:13], v0, s[2:3] offset:4096 scale_offset
	;; [unrolled: 1-line block ×7, first 2 shown]
	s_wait_loadcnt 0x6
	v_dual_add_f64 v[18:19], v[16:17], v[14:15] :: v_dual_mov_b32 v21, 0
	s_wait_loadcnt 0x5
	s_delay_alu instid0(VALU_DEP_1) | instskip(SKIP_1) | instid1(VALU_DEP_1)
	v_add_f64_e32 v[18:19], v[18:19], v[12:13]
	s_wait_loadcnt 0x4
	v_add_f64_e32 v[18:19], v[18:19], v[10:11]
	s_wait_loadcnt 0x3
	s_delay_alu instid0(VALU_DEP_1) | instskip(SKIP_1) | instid1(VALU_DEP_1)
	v_add_f64_e32 v[18:19], v[18:19], v[8:9]
	s_wait_loadcnt 0x2
	v_add_f64_e32 v[18:19], v[18:19], v[6:7]
	;; [unrolled: 5-line block ×3, first 2 shown]
	s_cbranch_scc1 .LBB17_7
; %bb.5:
	v_lshlrev_b32_e32 v20, 3, v0
	s_delay_alu instid0(VALU_DEP_1)
	v_add_nc_u64_e32 v[20:21], s[8:9], v[20:21]
.LBB17_6:                               ; =>This Inner Loop Header: Depth=1
	s_ashr_i32 s1, s0, 31
	s_delay_alu instid0(VALU_DEP_1) | instid1(SALU_CYCLE_1)
	v_lshl_add_u64 v[22:23], s[0:1], 3, v[20:21]
	s_add_co_i32 s1, s0, 0x1000
	s_addk_co_i32 s0, 0x800
	s_cmp_lt_i32 s1, s22
	s_clause 0x7
	global_load_b64 v[16:17], v[22:23], off
	global_load_b64 v[14:15], v[22:23], off offset:2048
	global_load_b64 v[12:13], v[22:23], off offset:4096
	;; [unrolled: 1-line block ×7, first 2 shown]
	s_wait_loadcnt 0x7
	v_add_f64_e32 v[18:19], v[18:19], v[16:17]
	s_wait_loadcnt 0x6
	s_delay_alu instid0(VALU_DEP_1) | instskip(SKIP_1) | instid1(VALU_DEP_1)
	v_add_f64_e32 v[18:19], v[18:19], v[14:15]
	s_wait_loadcnt 0x5
	v_add_f64_e32 v[18:19], v[18:19], v[12:13]
	s_wait_loadcnt 0x4
	s_delay_alu instid0(VALU_DEP_1) | instskip(SKIP_1) | instid1(VALU_DEP_1)
	v_add_f64_e32 v[18:19], v[18:19], v[10:11]
	;; [unrolled: 5-line block ×3, first 2 shown]
	s_wait_loadcnt 0x1
	v_add_f64_e32 v[18:19], v[18:19], v[4:5]
	s_wait_loadcnt 0x0
	s_delay_alu instid0(VALU_DEP_1)
	v_add_f64_e32 v[18:19], v[18:19], v[2:3]
	s_cbranch_scc1 .LBB17_6
.LBB17_7:
	s_sub_co_i32 s6, s22, s0
	s_ashr_i32 s1, s0, 31
	v_cmp_gt_u32_e32 vcc_lo, s6, v0
	s_lshl_b64 s[0:1], s[0:1], 3
	s_delay_alu instid0(SALU_CYCLE_1)
	s_add_nc_u64 s[20:21], s[8:9], s[0:1]
	s_and_saveexec_b32 s0, vcc_lo
	s_cbranch_execz .LBB17_9
; %bb.8:
	global_load_b64 v[16:17], v0, s[20:21] scale_offset
.LBB17_9:
	s_wait_xcnt 0x0
	s_or_b32 exec_lo, exec_lo, s0
	v_or_b32_e32 v1, 0x100, v0
	s_delay_alu instid0(VALU_DEP_1)
	v_cmp_gt_u32_e64 s0, s6, v1
	s_and_saveexec_b32 s1, s0
	s_cbranch_execz .LBB17_11
; %bb.10:
	global_load_b64 v[14:15], v0, s[20:21] offset:2048 scale_offset
.LBB17_11:
	s_wait_xcnt 0x0
	s_or_b32 exec_lo, exec_lo, s1
	v_or_b32_e32 v1, 0x200, v0
	s_delay_alu instid0(VALU_DEP_1)
	v_cmp_gt_u32_e64 s1, s6, v1
	s_and_saveexec_b32 s2, s1
	s_cbranch_execz .LBB17_13
; %bb.12:
	global_load_b64 v[12:13], v0, s[20:21] offset:4096 scale_offset
.LBB17_13:
	;; [unrolled: 10-line block ×7, first 2 shown]
	s_wait_xcnt 0x0
	s_or_b32 exec_lo, exec_lo, s19
	s_wait_loadcnt 0x0
	v_dual_add_f64 v[16:17], v[18:19], v[16:17] :: v_dual_mov_b32 v1, 0
	s_delay_alu instid0(VALU_DEP_1) | instskip(NEXT) | instid1(VALU_DEP_1)
	v_dual_cndmask_b32 v17, v19, v17 :: v_dual_cndmask_b32 v16, v18, v16
	v_add_f64_e32 v[14:15], v[14:15], v[16:17]
	s_delay_alu instid0(VALU_DEP_1) | instskip(SKIP_1) | instid1(VALU_DEP_1)
	v_dual_cndmask_b32 v15, v17, v15, s0 :: v_dual_cndmask_b32 v14, v16, v14, s0
	s_mov_b32 s0, exec_lo
	v_add_f64_e32 v[12:13], v[12:13], v[14:15]
	s_delay_alu instid0(VALU_DEP_1) | instskip(NEXT) | instid1(VALU_DEP_1)
	v_dual_cndmask_b32 v13, v15, v13, s1 :: v_dual_cndmask_b32 v12, v14, v12, s1
	v_add_f64_e32 v[10:11], v[10:11], v[12:13]
	s_delay_alu instid0(VALU_DEP_1) | instskip(NEXT) | instid1(VALU_DEP_1)
	v_dual_cndmask_b32 v11, v13, v11, s2 :: v_dual_cndmask_b32 v10, v12, v10, s2
	;; [unrolled: 3-line block ×6, first 2 shown]
	v_mov_b32_dpp v5, v3 quad_perm:[1,0,3,2] row_mask:0xf bank_mask:0xf
	s_delay_alu instid0(VALU_DEP_2) | instskip(NEXT) | instid1(VALU_DEP_1)
	v_mov_b32_dpp v4, v2 quad_perm:[1,0,3,2] row_mask:0xf bank_mask:0xf
	v_add_f64_e32 v[2:3], v[2:3], v[4:5]
	s_delay_alu instid0(VALU_DEP_1) | instskip(NEXT) | instid1(VALU_DEP_2)
	v_mov_b32_dpp v4, v2 quad_perm:[2,3,0,1] row_mask:0xf bank_mask:0xf
	v_mov_b32_dpp v5, v3 quad_perm:[2,3,0,1] row_mask:0xf bank_mask:0xf
	s_delay_alu instid0(VALU_DEP_1) | instskip(NEXT) | instid1(VALU_DEP_1)
	v_add_f64_e32 v[2:3], v[2:3], v[4:5]
	v_mov_b32_dpp v4, v2 row_ror:4 row_mask:0xf bank_mask:0xf
	s_delay_alu instid0(VALU_DEP_2) | instskip(NEXT) | instid1(VALU_DEP_1)
	v_mov_b32_dpp v5, v3 row_ror:4 row_mask:0xf bank_mask:0xf
	v_add_f64_e32 v[2:3], v[2:3], v[4:5]
	s_delay_alu instid0(VALU_DEP_1) | instskip(NEXT) | instid1(VALU_DEP_2)
	v_mov_b32_dpp v4, v2 row_ror:8 row_mask:0xf bank_mask:0xf
	v_mov_b32_dpp v5, v3 row_ror:8 row_mask:0xf bank_mask:0xf
	s_delay_alu instid0(VALU_DEP_1)
	v_add_f64_e32 v[2:3], v[2:3], v[4:5]
	ds_swizzle_b32 v4, v2 offset:swizzle(BROADCAST,32,15)
	ds_swizzle_b32 v5, v3 offset:swizzle(BROADCAST,32,15)
	s_wait_dscnt 0x0
	v_add_f64_e32 v[2:3], v[2:3], v[4:5]
	ds_bpermute_b32 v2, v1, v2 offset:124
	ds_bpermute_b32 v3, v1, v3 offset:124
	v_mbcnt_lo_u32_b32 v1, -1, 0
	s_delay_alu instid0(VALU_DEP_1)
	v_cmpx_eq_u32_e32 0, v1
	s_cbranch_execz .LBB17_25
; %bb.24:
	v_lshrrev_b32_e32 v4, 2, v0
	s_delay_alu instid0(VALU_DEP_1)
	v_and_b32_e32 v4, 56, v4
	s_wait_dscnt 0x0
	ds_store_b64 v4, v[2:3]
.LBB17_25:
	s_or_b32 exec_lo, exec_lo, s0
	s_delay_alu instid0(SALU_CYCLE_1)
	s_mov_b32 s0, exec_lo
	s_wait_dscnt 0x0
	s_barrier_signal -1
	s_barrier_wait -1
	v_cmpx_gt_u32_e32 32, v0
	s_cbranch_execz .LBB17_27
; %bb.26:
	v_and_b32_e32 v6, 7, v1
	s_delay_alu instid0(VALU_DEP_1) | instskip(SKIP_1) | instid1(VALU_DEP_1)
	v_cmp_ne_u32_e32 vcc_lo, 7, v6
	v_add_co_ci_u32_e64 v4, null, 0, v1, vcc_lo
	v_dual_lshlrev_b32 v5, 2, v4 :: v_dual_lshlrev_b32 v2, 3, v6
	v_cmp_gt_u32_e32 vcc_lo, 6, v6
	ds_load_b64 v[2:3], v2
	s_wait_dscnt 0x0
	ds_bpermute_b32 v4, v5, v2
	ds_bpermute_b32 v5, v5, v3
	s_wait_dscnt 0x0
	v_add_f64_e32 v[2:3], v[2:3], v[4:5]
	v_cndmask_b32_e64 v4, 0, 2, vcc_lo
	s_delay_alu instid0(VALU_DEP_1) | instskip(SKIP_1) | instid1(VALU_DEP_1)
	v_add_lshl_u32 v5, v4, v1, 2
	v_lshlrev_b32_e32 v1, 2, v1
	v_or_b32_e32 v1, 16, v1
	ds_bpermute_b32 v4, v5, v2
	ds_bpermute_b32 v5, v5, v3
	s_wait_dscnt 0x0
	v_add_f64_e32 v[2:3], v[2:3], v[4:5]
	ds_bpermute_b32 v4, v1, v2
	ds_bpermute_b32 v5, v1, v3
	s_wait_dscnt 0x0
	v_add_f64_e32 v[2:3], v[2:3], v[4:5]
.LBB17_27:
	s_or_b32 exec_lo, exec_lo, s0
	s_branch .LBB17_64
.LBB17_28:
	v_mov_b64_e32 v[4:5], s[16:17]
	s_and_saveexec_b32 s0, s7
	s_cbranch_execnz .LBB17_67
	s_branch .LBB17_68
.LBB17_29:
                                        ; implicit-def: $vgpr2_vgpr3
	s_cbranch_execz .LBB17_64
; %bb.30:
	s_sub_co_i32 s0, s22, s18
	s_mov_b32 s1, exec_lo
                                        ; implicit-def: $vgpr4_vgpr5
	v_cmpx_gt_u32_e64 s0, v0
	s_cbranch_execz .LBB17_36
; %bb.31:
	v_add_nc_u32_e32 v1, s18, v0
	s_mov_b32 s2, exec_lo
	global_load_b64 v[4:5], v1, s[8:9] scale_offset
	s_wait_xcnt 0x0
	v_add_nc_u32_e32 v1, 0x100, v1
	s_delay_alu instid0(VALU_DEP_1)
	v_cmpx_gt_i32_e64 s22, v1
	s_cbranch_execz .LBB17_35
; %bb.32:
	s_mov_b32 s3, 0
.LBB17_33:                              ; =>This Inner Loop Header: Depth=1
	global_load_b64 v[2:3], v1, s[8:9] scale_offset
	s_wait_xcnt 0x0
	v_add_nc_u32_e32 v1, 0x100, v1
	s_delay_alu instid0(VALU_DEP_1)
	v_cmp_le_i32_e32 vcc_lo, s22, v1
	s_or_b32 s3, vcc_lo, s3
	s_wait_loadcnt 0x0
	v_add_f64_e32 v[4:5], v[4:5], v[2:3]
	s_and_not1_b32 exec_lo, exec_lo, s3
	s_cbranch_execnz .LBB17_33
; %bb.34:
	s_or_b32 exec_lo, exec_lo, s3
.LBB17_35:
	s_delay_alu instid0(SALU_CYCLE_1)
	s_or_b32 exec_lo, exec_lo, s2
.LBB17_36:
	s_delay_alu instid0(SALU_CYCLE_1)
	s_or_b32 exec_lo, exec_lo, s1
	v_mbcnt_lo_u32_b32 v1, -1, 0
	s_cmp_lt_u32 s0, 0x100
	s_cbranch_scc0 .LBB17_58
; %bb.37:
	s_delay_alu instid0(VALU_DEP_1) | instskip(SKIP_1) | instid1(VALU_DEP_3)
	v_cmp_ne_u32_e32 vcc_lo, 31, v1
	s_wait_loadcnt 0x0
	v_dual_mov_b32 v10, v5 :: v_dual_mov_b32 v11, v4
	v_add_co_ci_u32_e64 v2, null, 0, v1, vcc_lo
	s_delay_alu instid0(VALU_DEP_1) | instskip(SKIP_3) | instid1(VALU_DEP_1)
	v_lshlrev_b32_e32 v2, 2, v2
	ds_bpermute_b32 v6, v2, v4
	ds_bpermute_b32 v7, v2, v5
	v_and_b32_e32 v2, 0xe0, v0
	v_sub_nc_u32_e64 v8, s0, v2 clamp
	v_add_nc_u32_e32 v2, 1, v1
	s_delay_alu instid0(VALU_DEP_1)
	v_cmp_lt_u32_e32 vcc_lo, v2, v8
	v_mov_b64_e32 v[2:3], v[4:5]
	s_and_saveexec_b32 s1, vcc_lo
	s_cbranch_execz .LBB17_39
; %bb.38:
	s_wait_dscnt 0x0
	v_add_f64_e32 v[2:3], v[4:5], v[6:7]
	s_delay_alu instid0(VALU_DEP_1)
	v_dual_mov_b32 v10, v3 :: v_dual_mov_b32 v11, v2
.LBB17_39:
	s_or_b32 exec_lo, exec_lo, s1
	v_cmp_gt_u32_e32 vcc_lo, 30, v1
	v_add_nc_u32_e32 v9, 2, v1
	s_mov_b32 s1, exec_lo
	s_wait_dscnt 0x1
	v_cndmask_b32_e64 v6, 0, 2, vcc_lo
	s_wait_dscnt 0x0
	s_delay_alu instid0(VALU_DEP_1)
	v_add_lshl_u32 v7, v6, v1, 2
	ds_bpermute_b32 v6, v7, v11
	ds_bpermute_b32 v7, v7, v10
	v_cmpx_lt_u32_e64 v9, v8
	s_cbranch_execz .LBB17_41
; %bb.40:
	s_wait_dscnt 0x0
	v_add_f64_e32 v[2:3], v[2:3], v[6:7]
	s_delay_alu instid0(VALU_DEP_1)
	v_dual_mov_b32 v10, v3 :: v_dual_mov_b32 v11, v2
.LBB17_41:
	s_or_b32 exec_lo, exec_lo, s1
	v_cmp_gt_u32_e32 vcc_lo, 28, v1
	v_add_nc_u32_e32 v9, 4, v1
	s_mov_b32 s1, exec_lo
	s_wait_dscnt 0x1
	v_cndmask_b32_e64 v6, 0, 4, vcc_lo
	s_wait_dscnt 0x0
	s_delay_alu instid0(VALU_DEP_1)
	v_add_lshl_u32 v7, v6, v1, 2
	ds_bpermute_b32 v6, v7, v11
	ds_bpermute_b32 v7, v7, v10
	v_cmpx_lt_u32_e64 v9, v8
	;; [unrolled: 19-line block ×3, first 2 shown]
	s_cbranch_execz .LBB17_45
; %bb.44:
	s_wait_dscnt 0x0
	v_add_f64_e32 v[2:3], v[2:3], v[6:7]
	s_delay_alu instid0(VALU_DEP_1)
	v_dual_mov_b32 v10, v3 :: v_dual_mov_b32 v11, v2
.LBB17_45:
	s_or_b32 exec_lo, exec_lo, s1
	v_lshlrev_b32_e32 v9, 2, v1
	s_mov_b32 s1, exec_lo
	s_wait_dscnt 0x0
	s_delay_alu instid0(VALU_DEP_1) | instskip(SKIP_3) | instid1(VALU_DEP_1)
	v_or_b32_e32 v7, 64, v9
	ds_bpermute_b32 v6, v7, v11
	ds_bpermute_b32 v7, v7, v10
	v_add_nc_u32_e32 v10, 16, v1
	v_cmpx_lt_u32_e64 v10, v8
	s_cbranch_execz .LBB17_47
; %bb.46:
	s_wait_dscnt 0x0
	v_add_f64_e32 v[2:3], v[2:3], v[6:7]
.LBB17_47:
	s_or_b32 exec_lo, exec_lo, s1
	s_delay_alu instid0(SALU_CYCLE_1)
	s_mov_b32 s1, exec_lo
	v_cmpx_eq_u32_e32 0, v1
	s_cbranch_execz .LBB17_49
; %bb.48:
	s_wait_dscnt 0x1
	v_lshrrev_b32_e32 v6, 2, v0
	s_delay_alu instid0(VALU_DEP_1)
	v_and_b32_e32 v6, 56, v6
	ds_store_b64 v6, v[2:3]
.LBB17_49:
	s_or_b32 exec_lo, exec_lo, s1
	s_delay_alu instid0(SALU_CYCLE_1)
	s_mov_b32 s1, exec_lo
	s_wait_dscnt 0x0
	s_barrier_signal -1
	s_barrier_wait -1
	v_cmpx_gt_u32_e32 8, v0
	s_cbranch_execz .LBB17_57
; %bb.50:
	v_dual_lshlrev_b32 v2, 3, v1 :: v_dual_bitop2_b32 v8, 7, v1 bitop3:0x40
	s_add_co_i32 s0, s0, 31
	s_mov_b32 s2, exec_lo
	s_lshr_b32 s0, s0, 5
	ds_load_b64 v[2:3], v2
	v_cmp_ne_u32_e32 vcc_lo, 7, v8
	v_add_nc_u32_e32 v10, 1, v8
	v_add_co_ci_u32_e64 v6, null, 0, v1, vcc_lo
	s_delay_alu instid0(VALU_DEP_1)
	v_lshlrev_b32_e32 v7, 2, v6
	s_wait_dscnt 0x0
	ds_bpermute_b32 v6, v7, v2
	ds_bpermute_b32 v7, v7, v3
	v_cmpx_gt_u32_e64 s0, v10
	s_cbranch_execz .LBB17_52
; %bb.51:
	s_wait_dscnt 0x0
	v_add_f64_e32 v[2:3], v[2:3], v[6:7]
.LBB17_52:
	s_or_b32 exec_lo, exec_lo, s2
	v_cmp_gt_u32_e32 vcc_lo, 6, v8
	v_add_nc_u32_e32 v10, 2, v8
	s_mov_b32 s2, exec_lo
	s_wait_dscnt 0x1
	v_cndmask_b32_e64 v6, 0, 2, vcc_lo
	s_wait_dscnt 0x0
	s_delay_alu instid0(VALU_DEP_1)
	v_add_lshl_u32 v7, v6, v1, 2
	ds_bpermute_b32 v6, v7, v2
	ds_bpermute_b32 v7, v7, v3
	v_cmpx_gt_u32_e64 s0, v10
	s_cbranch_execz .LBB17_54
; %bb.53:
	s_wait_dscnt 0x0
	v_add_f64_e32 v[2:3], v[2:3], v[6:7]
.LBB17_54:
	s_or_b32 exec_lo, exec_lo, s2
	s_wait_dscnt 0x0
	v_dual_add_nc_u32 v8, 4, v8 :: v_dual_bitop2_b32 v7, 16, v9 bitop3:0x54
	ds_bpermute_b32 v6, v7, v2
	ds_bpermute_b32 v7, v7, v3
	v_cmp_gt_u32_e32 vcc_lo, s0, v8
	s_and_saveexec_b32 s0, vcc_lo
	s_cbranch_execz .LBB17_56
; %bb.55:
	s_wait_dscnt 0x0
	v_add_f64_e32 v[2:3], v[2:3], v[6:7]
.LBB17_56:
	s_or_b32 exec_lo, exec_lo, s0
.LBB17_57:
	s_delay_alu instid0(SALU_CYCLE_1)
	s_or_b32 exec_lo, exec_lo, s1
	s_branch .LBB17_64
.LBB17_58:
                                        ; implicit-def: $vgpr2_vgpr3
	s_cbranch_execz .LBB17_64
; %bb.59:
	s_wait_loadcnt 0x0
	s_delay_alu instid0(VALU_DEP_2) | instskip(NEXT) | instid1(VALU_DEP_3)
	v_mov_b32_dpp v2, v4 quad_perm:[1,0,3,2] row_mask:0xf bank_mask:0xf
	v_mov_b32_dpp v3, v5 quad_perm:[1,0,3,2] row_mask:0xf bank_mask:0xf
	s_mov_b32 s0, exec_lo
	s_delay_alu instid0(VALU_DEP_1) | instskip(NEXT) | instid1(VALU_DEP_1)
	v_add_f64_e32 v[2:3], v[4:5], v[2:3]
	v_mov_b32_dpp v4, v2 quad_perm:[2,3,0,1] row_mask:0xf bank_mask:0xf
	s_delay_alu instid0(VALU_DEP_2) | instskip(NEXT) | instid1(VALU_DEP_1)
	v_mov_b32_dpp v5, v3 quad_perm:[2,3,0,1] row_mask:0xf bank_mask:0xf
	v_add_f64_e32 v[2:3], v[2:3], v[4:5]
	s_delay_alu instid0(VALU_DEP_1) | instskip(NEXT) | instid1(VALU_DEP_2)
	v_mov_b32_dpp v4, v2 row_ror:4 row_mask:0xf bank_mask:0xf
	v_mov_b32_dpp v5, v3 row_ror:4 row_mask:0xf bank_mask:0xf
	s_delay_alu instid0(VALU_DEP_1) | instskip(NEXT) | instid1(VALU_DEP_1)
	v_add_f64_e32 v[2:3], v[2:3], v[4:5]
	v_mov_b32_dpp v4, v2 row_ror:8 row_mask:0xf bank_mask:0xf
	s_delay_alu instid0(VALU_DEP_2) | instskip(NEXT) | instid1(VALU_DEP_1)
	v_mov_b32_dpp v5, v3 row_ror:8 row_mask:0xf bank_mask:0xf
	v_add_f64_e32 v[2:3], v[2:3], v[4:5]
	ds_swizzle_b32 v4, v2 offset:swizzle(BROADCAST,32,15)
	ds_swizzle_b32 v5, v3 offset:swizzle(BROADCAST,32,15)
	s_wait_dscnt 0x0
	v_dual_add_f64 v[2:3], v[2:3], v[4:5] :: v_dual_mov_b32 v4, 0
	ds_bpermute_b32 v2, v4, v2 offset:124
	ds_bpermute_b32 v3, v4, v3 offset:124
	v_cmpx_eq_u32_e32 0, v1
	s_cbranch_execz .LBB17_61
; %bb.60:
	v_lshrrev_b32_e32 v4, 2, v0
	s_delay_alu instid0(VALU_DEP_1)
	v_and_b32_e32 v4, 56, v4
	s_wait_dscnt 0x0
	ds_store_b64 v4, v[2:3]
.LBB17_61:
	s_or_b32 exec_lo, exec_lo, s0
	s_delay_alu instid0(SALU_CYCLE_1)
	s_mov_b32 s0, exec_lo
	s_wait_dscnt 0x0
	s_barrier_signal -1
	s_barrier_wait -1
	v_cmpx_gt_u32_e32 32, v0
	s_cbranch_execz .LBB17_63
; %bb.62:
	v_and_b32_e32 v6, 7, v1
	s_delay_alu instid0(VALU_DEP_1) | instskip(SKIP_1) | instid1(VALU_DEP_1)
	v_cmp_ne_u32_e32 vcc_lo, 7, v6
	v_add_co_ci_u32_e64 v4, null, 0, v1, vcc_lo
	v_dual_lshlrev_b32 v5, 2, v4 :: v_dual_lshlrev_b32 v2, 3, v6
	v_cmp_gt_u32_e32 vcc_lo, 6, v6
	ds_load_b64 v[2:3], v2
	s_wait_dscnt 0x0
	ds_bpermute_b32 v4, v5, v2
	ds_bpermute_b32 v5, v5, v3
	s_wait_dscnt 0x0
	v_add_f64_e32 v[2:3], v[2:3], v[4:5]
	v_cndmask_b32_e64 v4, 0, 2, vcc_lo
	s_delay_alu instid0(VALU_DEP_1) | instskip(SKIP_1) | instid1(VALU_DEP_1)
	v_add_lshl_u32 v5, v4, v1, 2
	v_lshlrev_b32_e32 v1, 2, v1
	v_or_b32_e32 v1, 16, v1
	ds_bpermute_b32 v4, v5, v2
	ds_bpermute_b32 v5, v5, v3
	s_wait_dscnt 0x0
	v_add_f64_e32 v[2:3], v[2:3], v[4:5]
	ds_bpermute_b32 v4, v1, v2
	ds_bpermute_b32 v5, v1, v3
	s_wait_dscnt 0x0
	v_add_f64_e32 v[2:3], v[2:3], v[4:5]
.LBB17_63:
	s_or_b32 exec_lo, exec_lo, s0
.LBB17_64:
	s_delay_alu instid0(SALU_CYCLE_1)
	s_mov_b32 s0, exec_lo
                                        ; implicit-def: $vgpr4_vgpr5
	v_cmpx_eq_u32_e32 0, v0
	s_cbranch_execz .LBB17_66
; %bb.65:
	s_wait_loadcnt 0x0
	s_delay_alu instid0(VALU_DEP_2)
	v_add_f64_e32 v[4:5], s[16:17], v[2:3]
	s_or_b32 s7, s7, exec_lo
.LBB17_66:
	s_or_b32 exec_lo, exec_lo, s0
	s_and_saveexec_b32 s0, s7
	s_cbranch_execz .LBB17_68
.LBB17_67:
	s_lshl_b64 s[0:1], s[12:13], 3
	v_mov_b32_e32 v0, 0
	s_add_nc_u64 s[0:1], s[10:11], s[0:1]
	s_lshl_b64 s[2:3], s[14:15], 3
	s_delay_alu instid0(SALU_CYCLE_1)
	s_add_nc_u64 s[0:1], s[0:1], s[2:3]
	s_wait_loadcnt 0x0
	global_store_b64 v0, v[4:5], s[0:1]
.LBB17_68:
	s_endpgm
	.section	.rodata,"a",@progbits
	.p2align	6, 0x0
	.amdhsa_kernel _ZN7rocprim17ROCPRIM_400000_NS6detail17trampoline_kernelINS0_14default_configENS1_32segmented_reduce_config_selectorIdEEZNS1_21segmented_reduce_implIS3_PKdPdPKidN6hipcub16HIPCUB_304000_NS6detail27convert_result_type_wrapperIS8_S9_N2at6native12_GLOBAL__N_19CustomSumEEEEE10hipError_tPvRmT0_T1_jT2_SQ_T4_T3_P12ihipStream_tbEUlT_E_NS1_11comp_targetILNS1_3genE0ELNS1_11target_archE4294967295ELNS1_3gpuE0ELNS1_3repE0EEENS1_30default_config_static_selectorELNS0_4arch9wavefront6targetE0EEEvSP_
		.amdhsa_group_segment_fixed_size 64
		.amdhsa_private_segment_fixed_size 0
		.amdhsa_kernarg_size 56
		.amdhsa_user_sgpr_count 2
		.amdhsa_user_sgpr_dispatch_ptr 0
		.amdhsa_user_sgpr_queue_ptr 0
		.amdhsa_user_sgpr_kernarg_segment_ptr 1
		.amdhsa_user_sgpr_dispatch_id 0
		.amdhsa_user_sgpr_kernarg_preload_length 0
		.amdhsa_user_sgpr_kernarg_preload_offset 0
		.amdhsa_user_sgpr_private_segment_size 0
		.amdhsa_wavefront_size32 1
		.amdhsa_uses_dynamic_stack 0
		.amdhsa_enable_private_segment 0
		.amdhsa_system_sgpr_workgroup_id_x 1
		.amdhsa_system_sgpr_workgroup_id_y 0
		.amdhsa_system_sgpr_workgroup_id_z 0
		.amdhsa_system_sgpr_workgroup_info 0
		.amdhsa_system_vgpr_workitem_id 0
		.amdhsa_next_free_vgpr 24
		.amdhsa_next_free_sgpr 23
		.amdhsa_named_barrier_count 0
		.amdhsa_reserve_vcc 1
		.amdhsa_float_round_mode_32 0
		.amdhsa_float_round_mode_16_64 0
		.amdhsa_float_denorm_mode_32 3
		.amdhsa_float_denorm_mode_16_64 3
		.amdhsa_fp16_overflow 0
		.amdhsa_memory_ordered 1
		.amdhsa_forward_progress 1
		.amdhsa_inst_pref_size 24
		.amdhsa_round_robin_scheduling 0
		.amdhsa_exception_fp_ieee_invalid_op 0
		.amdhsa_exception_fp_denorm_src 0
		.amdhsa_exception_fp_ieee_div_zero 0
		.amdhsa_exception_fp_ieee_overflow 0
		.amdhsa_exception_fp_ieee_underflow 0
		.amdhsa_exception_fp_ieee_inexact 0
		.amdhsa_exception_int_div_zero 0
	.end_amdhsa_kernel
	.section	.text._ZN7rocprim17ROCPRIM_400000_NS6detail17trampoline_kernelINS0_14default_configENS1_32segmented_reduce_config_selectorIdEEZNS1_21segmented_reduce_implIS3_PKdPdPKidN6hipcub16HIPCUB_304000_NS6detail27convert_result_type_wrapperIS8_S9_N2at6native12_GLOBAL__N_19CustomSumEEEEE10hipError_tPvRmT0_T1_jT2_SQ_T4_T3_P12ihipStream_tbEUlT_E_NS1_11comp_targetILNS1_3genE0ELNS1_11target_archE4294967295ELNS1_3gpuE0ELNS1_3repE0EEENS1_30default_config_static_selectorELNS0_4arch9wavefront6targetE0EEEvSP_,"axG",@progbits,_ZN7rocprim17ROCPRIM_400000_NS6detail17trampoline_kernelINS0_14default_configENS1_32segmented_reduce_config_selectorIdEEZNS1_21segmented_reduce_implIS3_PKdPdPKidN6hipcub16HIPCUB_304000_NS6detail27convert_result_type_wrapperIS8_S9_N2at6native12_GLOBAL__N_19CustomSumEEEEE10hipError_tPvRmT0_T1_jT2_SQ_T4_T3_P12ihipStream_tbEUlT_E_NS1_11comp_targetILNS1_3genE0ELNS1_11target_archE4294967295ELNS1_3gpuE0ELNS1_3repE0EEENS1_30default_config_static_selectorELNS0_4arch9wavefront6targetE0EEEvSP_,comdat
.Lfunc_end17:
	.size	_ZN7rocprim17ROCPRIM_400000_NS6detail17trampoline_kernelINS0_14default_configENS1_32segmented_reduce_config_selectorIdEEZNS1_21segmented_reduce_implIS3_PKdPdPKidN6hipcub16HIPCUB_304000_NS6detail27convert_result_type_wrapperIS8_S9_N2at6native12_GLOBAL__N_19CustomSumEEEEE10hipError_tPvRmT0_T1_jT2_SQ_T4_T3_P12ihipStream_tbEUlT_E_NS1_11comp_targetILNS1_3genE0ELNS1_11target_archE4294967295ELNS1_3gpuE0ELNS1_3repE0EEENS1_30default_config_static_selectorELNS0_4arch9wavefront6targetE0EEEvSP_, .Lfunc_end17-_ZN7rocprim17ROCPRIM_400000_NS6detail17trampoline_kernelINS0_14default_configENS1_32segmented_reduce_config_selectorIdEEZNS1_21segmented_reduce_implIS3_PKdPdPKidN6hipcub16HIPCUB_304000_NS6detail27convert_result_type_wrapperIS8_S9_N2at6native12_GLOBAL__N_19CustomSumEEEEE10hipError_tPvRmT0_T1_jT2_SQ_T4_T3_P12ihipStream_tbEUlT_E_NS1_11comp_targetILNS1_3genE0ELNS1_11target_archE4294967295ELNS1_3gpuE0ELNS1_3repE0EEENS1_30default_config_static_selectorELNS0_4arch9wavefront6targetE0EEEvSP_
                                        ; -- End function
	.set _ZN7rocprim17ROCPRIM_400000_NS6detail17trampoline_kernelINS0_14default_configENS1_32segmented_reduce_config_selectorIdEEZNS1_21segmented_reduce_implIS3_PKdPdPKidN6hipcub16HIPCUB_304000_NS6detail27convert_result_type_wrapperIS8_S9_N2at6native12_GLOBAL__N_19CustomSumEEEEE10hipError_tPvRmT0_T1_jT2_SQ_T4_T3_P12ihipStream_tbEUlT_E_NS1_11comp_targetILNS1_3genE0ELNS1_11target_archE4294967295ELNS1_3gpuE0ELNS1_3repE0EEENS1_30default_config_static_selectorELNS0_4arch9wavefront6targetE0EEEvSP_.num_vgpr, 24
	.set _ZN7rocprim17ROCPRIM_400000_NS6detail17trampoline_kernelINS0_14default_configENS1_32segmented_reduce_config_selectorIdEEZNS1_21segmented_reduce_implIS3_PKdPdPKidN6hipcub16HIPCUB_304000_NS6detail27convert_result_type_wrapperIS8_S9_N2at6native12_GLOBAL__N_19CustomSumEEEEE10hipError_tPvRmT0_T1_jT2_SQ_T4_T3_P12ihipStream_tbEUlT_E_NS1_11comp_targetILNS1_3genE0ELNS1_11target_archE4294967295ELNS1_3gpuE0ELNS1_3repE0EEENS1_30default_config_static_selectorELNS0_4arch9wavefront6targetE0EEEvSP_.num_agpr, 0
	.set _ZN7rocprim17ROCPRIM_400000_NS6detail17trampoline_kernelINS0_14default_configENS1_32segmented_reduce_config_selectorIdEEZNS1_21segmented_reduce_implIS3_PKdPdPKidN6hipcub16HIPCUB_304000_NS6detail27convert_result_type_wrapperIS8_S9_N2at6native12_GLOBAL__N_19CustomSumEEEEE10hipError_tPvRmT0_T1_jT2_SQ_T4_T3_P12ihipStream_tbEUlT_E_NS1_11comp_targetILNS1_3genE0ELNS1_11target_archE4294967295ELNS1_3gpuE0ELNS1_3repE0EEENS1_30default_config_static_selectorELNS0_4arch9wavefront6targetE0EEEvSP_.numbered_sgpr, 23
	.set _ZN7rocprim17ROCPRIM_400000_NS6detail17trampoline_kernelINS0_14default_configENS1_32segmented_reduce_config_selectorIdEEZNS1_21segmented_reduce_implIS3_PKdPdPKidN6hipcub16HIPCUB_304000_NS6detail27convert_result_type_wrapperIS8_S9_N2at6native12_GLOBAL__N_19CustomSumEEEEE10hipError_tPvRmT0_T1_jT2_SQ_T4_T3_P12ihipStream_tbEUlT_E_NS1_11comp_targetILNS1_3genE0ELNS1_11target_archE4294967295ELNS1_3gpuE0ELNS1_3repE0EEENS1_30default_config_static_selectorELNS0_4arch9wavefront6targetE0EEEvSP_.num_named_barrier, 0
	.set _ZN7rocprim17ROCPRIM_400000_NS6detail17trampoline_kernelINS0_14default_configENS1_32segmented_reduce_config_selectorIdEEZNS1_21segmented_reduce_implIS3_PKdPdPKidN6hipcub16HIPCUB_304000_NS6detail27convert_result_type_wrapperIS8_S9_N2at6native12_GLOBAL__N_19CustomSumEEEEE10hipError_tPvRmT0_T1_jT2_SQ_T4_T3_P12ihipStream_tbEUlT_E_NS1_11comp_targetILNS1_3genE0ELNS1_11target_archE4294967295ELNS1_3gpuE0ELNS1_3repE0EEENS1_30default_config_static_selectorELNS0_4arch9wavefront6targetE0EEEvSP_.private_seg_size, 0
	.set _ZN7rocprim17ROCPRIM_400000_NS6detail17trampoline_kernelINS0_14default_configENS1_32segmented_reduce_config_selectorIdEEZNS1_21segmented_reduce_implIS3_PKdPdPKidN6hipcub16HIPCUB_304000_NS6detail27convert_result_type_wrapperIS8_S9_N2at6native12_GLOBAL__N_19CustomSumEEEEE10hipError_tPvRmT0_T1_jT2_SQ_T4_T3_P12ihipStream_tbEUlT_E_NS1_11comp_targetILNS1_3genE0ELNS1_11target_archE4294967295ELNS1_3gpuE0ELNS1_3repE0EEENS1_30default_config_static_selectorELNS0_4arch9wavefront6targetE0EEEvSP_.uses_vcc, 1
	.set _ZN7rocprim17ROCPRIM_400000_NS6detail17trampoline_kernelINS0_14default_configENS1_32segmented_reduce_config_selectorIdEEZNS1_21segmented_reduce_implIS3_PKdPdPKidN6hipcub16HIPCUB_304000_NS6detail27convert_result_type_wrapperIS8_S9_N2at6native12_GLOBAL__N_19CustomSumEEEEE10hipError_tPvRmT0_T1_jT2_SQ_T4_T3_P12ihipStream_tbEUlT_E_NS1_11comp_targetILNS1_3genE0ELNS1_11target_archE4294967295ELNS1_3gpuE0ELNS1_3repE0EEENS1_30default_config_static_selectorELNS0_4arch9wavefront6targetE0EEEvSP_.uses_flat_scratch, 0
	.set _ZN7rocprim17ROCPRIM_400000_NS6detail17trampoline_kernelINS0_14default_configENS1_32segmented_reduce_config_selectorIdEEZNS1_21segmented_reduce_implIS3_PKdPdPKidN6hipcub16HIPCUB_304000_NS6detail27convert_result_type_wrapperIS8_S9_N2at6native12_GLOBAL__N_19CustomSumEEEEE10hipError_tPvRmT0_T1_jT2_SQ_T4_T3_P12ihipStream_tbEUlT_E_NS1_11comp_targetILNS1_3genE0ELNS1_11target_archE4294967295ELNS1_3gpuE0ELNS1_3repE0EEENS1_30default_config_static_selectorELNS0_4arch9wavefront6targetE0EEEvSP_.has_dyn_sized_stack, 0
	.set _ZN7rocprim17ROCPRIM_400000_NS6detail17trampoline_kernelINS0_14default_configENS1_32segmented_reduce_config_selectorIdEEZNS1_21segmented_reduce_implIS3_PKdPdPKidN6hipcub16HIPCUB_304000_NS6detail27convert_result_type_wrapperIS8_S9_N2at6native12_GLOBAL__N_19CustomSumEEEEE10hipError_tPvRmT0_T1_jT2_SQ_T4_T3_P12ihipStream_tbEUlT_E_NS1_11comp_targetILNS1_3genE0ELNS1_11target_archE4294967295ELNS1_3gpuE0ELNS1_3repE0EEENS1_30default_config_static_selectorELNS0_4arch9wavefront6targetE0EEEvSP_.has_recursion, 0
	.set _ZN7rocprim17ROCPRIM_400000_NS6detail17trampoline_kernelINS0_14default_configENS1_32segmented_reduce_config_selectorIdEEZNS1_21segmented_reduce_implIS3_PKdPdPKidN6hipcub16HIPCUB_304000_NS6detail27convert_result_type_wrapperIS8_S9_N2at6native12_GLOBAL__N_19CustomSumEEEEE10hipError_tPvRmT0_T1_jT2_SQ_T4_T3_P12ihipStream_tbEUlT_E_NS1_11comp_targetILNS1_3genE0ELNS1_11target_archE4294967295ELNS1_3gpuE0ELNS1_3repE0EEENS1_30default_config_static_selectorELNS0_4arch9wavefront6targetE0EEEvSP_.has_indirect_call, 0
	.section	.AMDGPU.csdata,"",@progbits
; Kernel info:
; codeLenInByte = 2960
; TotalNumSgprs: 25
; NumVgprs: 24
; ScratchSize: 0
; MemoryBound: 1
; FloatMode: 240
; IeeeMode: 1
; LDSByteSize: 64 bytes/workgroup (compile time only)
; SGPRBlocks: 0
; VGPRBlocks: 1
; NumSGPRsForWavesPerEU: 25
; NumVGPRsForWavesPerEU: 24
; NamedBarCnt: 0
; Occupancy: 16
; WaveLimiterHint : 1
; COMPUTE_PGM_RSRC2:SCRATCH_EN: 0
; COMPUTE_PGM_RSRC2:USER_SGPR: 2
; COMPUTE_PGM_RSRC2:TRAP_HANDLER: 0
; COMPUTE_PGM_RSRC2:TGID_X_EN: 1
; COMPUTE_PGM_RSRC2:TGID_Y_EN: 0
; COMPUTE_PGM_RSRC2:TGID_Z_EN: 0
; COMPUTE_PGM_RSRC2:TIDIG_COMP_CNT: 0
	.section	.text._ZN7rocprim17ROCPRIM_400000_NS6detail17trampoline_kernelINS0_14default_configENS1_32segmented_reduce_config_selectorIdEEZNS1_21segmented_reduce_implIS3_PKdPdPKidN6hipcub16HIPCUB_304000_NS6detail27convert_result_type_wrapperIS8_S9_N2at6native12_GLOBAL__N_19CustomSumEEEEE10hipError_tPvRmT0_T1_jT2_SQ_T4_T3_P12ihipStream_tbEUlT_E_NS1_11comp_targetILNS1_3genE5ELNS1_11target_archE942ELNS1_3gpuE9ELNS1_3repE0EEENS1_30default_config_static_selectorELNS0_4arch9wavefront6targetE0EEEvSP_,"axG",@progbits,_ZN7rocprim17ROCPRIM_400000_NS6detail17trampoline_kernelINS0_14default_configENS1_32segmented_reduce_config_selectorIdEEZNS1_21segmented_reduce_implIS3_PKdPdPKidN6hipcub16HIPCUB_304000_NS6detail27convert_result_type_wrapperIS8_S9_N2at6native12_GLOBAL__N_19CustomSumEEEEE10hipError_tPvRmT0_T1_jT2_SQ_T4_T3_P12ihipStream_tbEUlT_E_NS1_11comp_targetILNS1_3genE5ELNS1_11target_archE942ELNS1_3gpuE9ELNS1_3repE0EEENS1_30default_config_static_selectorELNS0_4arch9wavefront6targetE0EEEvSP_,comdat
	.globl	_ZN7rocprim17ROCPRIM_400000_NS6detail17trampoline_kernelINS0_14default_configENS1_32segmented_reduce_config_selectorIdEEZNS1_21segmented_reduce_implIS3_PKdPdPKidN6hipcub16HIPCUB_304000_NS6detail27convert_result_type_wrapperIS8_S9_N2at6native12_GLOBAL__N_19CustomSumEEEEE10hipError_tPvRmT0_T1_jT2_SQ_T4_T3_P12ihipStream_tbEUlT_E_NS1_11comp_targetILNS1_3genE5ELNS1_11target_archE942ELNS1_3gpuE9ELNS1_3repE0EEENS1_30default_config_static_selectorELNS0_4arch9wavefront6targetE0EEEvSP_ ; -- Begin function _ZN7rocprim17ROCPRIM_400000_NS6detail17trampoline_kernelINS0_14default_configENS1_32segmented_reduce_config_selectorIdEEZNS1_21segmented_reduce_implIS3_PKdPdPKidN6hipcub16HIPCUB_304000_NS6detail27convert_result_type_wrapperIS8_S9_N2at6native12_GLOBAL__N_19CustomSumEEEEE10hipError_tPvRmT0_T1_jT2_SQ_T4_T3_P12ihipStream_tbEUlT_E_NS1_11comp_targetILNS1_3genE5ELNS1_11target_archE942ELNS1_3gpuE9ELNS1_3repE0EEENS1_30default_config_static_selectorELNS0_4arch9wavefront6targetE0EEEvSP_
	.p2align	8
	.type	_ZN7rocprim17ROCPRIM_400000_NS6detail17trampoline_kernelINS0_14default_configENS1_32segmented_reduce_config_selectorIdEEZNS1_21segmented_reduce_implIS3_PKdPdPKidN6hipcub16HIPCUB_304000_NS6detail27convert_result_type_wrapperIS8_S9_N2at6native12_GLOBAL__N_19CustomSumEEEEE10hipError_tPvRmT0_T1_jT2_SQ_T4_T3_P12ihipStream_tbEUlT_E_NS1_11comp_targetILNS1_3genE5ELNS1_11target_archE942ELNS1_3gpuE9ELNS1_3repE0EEENS1_30default_config_static_selectorELNS0_4arch9wavefront6targetE0EEEvSP_,@function
_ZN7rocprim17ROCPRIM_400000_NS6detail17trampoline_kernelINS0_14default_configENS1_32segmented_reduce_config_selectorIdEEZNS1_21segmented_reduce_implIS3_PKdPdPKidN6hipcub16HIPCUB_304000_NS6detail27convert_result_type_wrapperIS8_S9_N2at6native12_GLOBAL__N_19CustomSumEEEEE10hipError_tPvRmT0_T1_jT2_SQ_T4_T3_P12ihipStream_tbEUlT_E_NS1_11comp_targetILNS1_3genE5ELNS1_11target_archE942ELNS1_3gpuE9ELNS1_3repE0EEENS1_30default_config_static_selectorELNS0_4arch9wavefront6targetE0EEEvSP_: ; @_ZN7rocprim17ROCPRIM_400000_NS6detail17trampoline_kernelINS0_14default_configENS1_32segmented_reduce_config_selectorIdEEZNS1_21segmented_reduce_implIS3_PKdPdPKidN6hipcub16HIPCUB_304000_NS6detail27convert_result_type_wrapperIS8_S9_N2at6native12_GLOBAL__N_19CustomSumEEEEE10hipError_tPvRmT0_T1_jT2_SQ_T4_T3_P12ihipStream_tbEUlT_E_NS1_11comp_targetILNS1_3genE5ELNS1_11target_archE942ELNS1_3gpuE9ELNS1_3repE0EEENS1_30default_config_static_selectorELNS0_4arch9wavefront6targetE0EEEvSP_
; %bb.0:
	.section	.rodata,"a",@progbits
	.p2align	6, 0x0
	.amdhsa_kernel _ZN7rocprim17ROCPRIM_400000_NS6detail17trampoline_kernelINS0_14default_configENS1_32segmented_reduce_config_selectorIdEEZNS1_21segmented_reduce_implIS3_PKdPdPKidN6hipcub16HIPCUB_304000_NS6detail27convert_result_type_wrapperIS8_S9_N2at6native12_GLOBAL__N_19CustomSumEEEEE10hipError_tPvRmT0_T1_jT2_SQ_T4_T3_P12ihipStream_tbEUlT_E_NS1_11comp_targetILNS1_3genE5ELNS1_11target_archE942ELNS1_3gpuE9ELNS1_3repE0EEENS1_30default_config_static_selectorELNS0_4arch9wavefront6targetE0EEEvSP_
		.amdhsa_group_segment_fixed_size 0
		.amdhsa_private_segment_fixed_size 0
		.amdhsa_kernarg_size 56
		.amdhsa_user_sgpr_count 2
		.amdhsa_user_sgpr_dispatch_ptr 0
		.amdhsa_user_sgpr_queue_ptr 0
		.amdhsa_user_sgpr_kernarg_segment_ptr 1
		.amdhsa_user_sgpr_dispatch_id 0
		.amdhsa_user_sgpr_kernarg_preload_length 0
		.amdhsa_user_sgpr_kernarg_preload_offset 0
		.amdhsa_user_sgpr_private_segment_size 0
		.amdhsa_wavefront_size32 1
		.amdhsa_uses_dynamic_stack 0
		.amdhsa_enable_private_segment 0
		.amdhsa_system_sgpr_workgroup_id_x 1
		.amdhsa_system_sgpr_workgroup_id_y 0
		.amdhsa_system_sgpr_workgroup_id_z 0
		.amdhsa_system_sgpr_workgroup_info 0
		.amdhsa_system_vgpr_workitem_id 0
		.amdhsa_next_free_vgpr 1
		.amdhsa_next_free_sgpr 1
		.amdhsa_named_barrier_count 0
		.amdhsa_reserve_vcc 0
		.amdhsa_float_round_mode_32 0
		.amdhsa_float_round_mode_16_64 0
		.amdhsa_float_denorm_mode_32 3
		.amdhsa_float_denorm_mode_16_64 3
		.amdhsa_fp16_overflow 0
		.amdhsa_memory_ordered 1
		.amdhsa_forward_progress 1
		.amdhsa_inst_pref_size 0
		.amdhsa_round_robin_scheduling 0
		.amdhsa_exception_fp_ieee_invalid_op 0
		.amdhsa_exception_fp_denorm_src 0
		.amdhsa_exception_fp_ieee_div_zero 0
		.amdhsa_exception_fp_ieee_overflow 0
		.amdhsa_exception_fp_ieee_underflow 0
		.amdhsa_exception_fp_ieee_inexact 0
		.amdhsa_exception_int_div_zero 0
	.end_amdhsa_kernel
	.section	.text._ZN7rocprim17ROCPRIM_400000_NS6detail17trampoline_kernelINS0_14default_configENS1_32segmented_reduce_config_selectorIdEEZNS1_21segmented_reduce_implIS3_PKdPdPKidN6hipcub16HIPCUB_304000_NS6detail27convert_result_type_wrapperIS8_S9_N2at6native12_GLOBAL__N_19CustomSumEEEEE10hipError_tPvRmT0_T1_jT2_SQ_T4_T3_P12ihipStream_tbEUlT_E_NS1_11comp_targetILNS1_3genE5ELNS1_11target_archE942ELNS1_3gpuE9ELNS1_3repE0EEENS1_30default_config_static_selectorELNS0_4arch9wavefront6targetE0EEEvSP_,"axG",@progbits,_ZN7rocprim17ROCPRIM_400000_NS6detail17trampoline_kernelINS0_14default_configENS1_32segmented_reduce_config_selectorIdEEZNS1_21segmented_reduce_implIS3_PKdPdPKidN6hipcub16HIPCUB_304000_NS6detail27convert_result_type_wrapperIS8_S9_N2at6native12_GLOBAL__N_19CustomSumEEEEE10hipError_tPvRmT0_T1_jT2_SQ_T4_T3_P12ihipStream_tbEUlT_E_NS1_11comp_targetILNS1_3genE5ELNS1_11target_archE942ELNS1_3gpuE9ELNS1_3repE0EEENS1_30default_config_static_selectorELNS0_4arch9wavefront6targetE0EEEvSP_,comdat
.Lfunc_end18:
	.size	_ZN7rocprim17ROCPRIM_400000_NS6detail17trampoline_kernelINS0_14default_configENS1_32segmented_reduce_config_selectorIdEEZNS1_21segmented_reduce_implIS3_PKdPdPKidN6hipcub16HIPCUB_304000_NS6detail27convert_result_type_wrapperIS8_S9_N2at6native12_GLOBAL__N_19CustomSumEEEEE10hipError_tPvRmT0_T1_jT2_SQ_T4_T3_P12ihipStream_tbEUlT_E_NS1_11comp_targetILNS1_3genE5ELNS1_11target_archE942ELNS1_3gpuE9ELNS1_3repE0EEENS1_30default_config_static_selectorELNS0_4arch9wavefront6targetE0EEEvSP_, .Lfunc_end18-_ZN7rocprim17ROCPRIM_400000_NS6detail17trampoline_kernelINS0_14default_configENS1_32segmented_reduce_config_selectorIdEEZNS1_21segmented_reduce_implIS3_PKdPdPKidN6hipcub16HIPCUB_304000_NS6detail27convert_result_type_wrapperIS8_S9_N2at6native12_GLOBAL__N_19CustomSumEEEEE10hipError_tPvRmT0_T1_jT2_SQ_T4_T3_P12ihipStream_tbEUlT_E_NS1_11comp_targetILNS1_3genE5ELNS1_11target_archE942ELNS1_3gpuE9ELNS1_3repE0EEENS1_30default_config_static_selectorELNS0_4arch9wavefront6targetE0EEEvSP_
                                        ; -- End function
	.set _ZN7rocprim17ROCPRIM_400000_NS6detail17trampoline_kernelINS0_14default_configENS1_32segmented_reduce_config_selectorIdEEZNS1_21segmented_reduce_implIS3_PKdPdPKidN6hipcub16HIPCUB_304000_NS6detail27convert_result_type_wrapperIS8_S9_N2at6native12_GLOBAL__N_19CustomSumEEEEE10hipError_tPvRmT0_T1_jT2_SQ_T4_T3_P12ihipStream_tbEUlT_E_NS1_11comp_targetILNS1_3genE5ELNS1_11target_archE942ELNS1_3gpuE9ELNS1_3repE0EEENS1_30default_config_static_selectorELNS0_4arch9wavefront6targetE0EEEvSP_.num_vgpr, 0
	.set _ZN7rocprim17ROCPRIM_400000_NS6detail17trampoline_kernelINS0_14default_configENS1_32segmented_reduce_config_selectorIdEEZNS1_21segmented_reduce_implIS3_PKdPdPKidN6hipcub16HIPCUB_304000_NS6detail27convert_result_type_wrapperIS8_S9_N2at6native12_GLOBAL__N_19CustomSumEEEEE10hipError_tPvRmT0_T1_jT2_SQ_T4_T3_P12ihipStream_tbEUlT_E_NS1_11comp_targetILNS1_3genE5ELNS1_11target_archE942ELNS1_3gpuE9ELNS1_3repE0EEENS1_30default_config_static_selectorELNS0_4arch9wavefront6targetE0EEEvSP_.num_agpr, 0
	.set _ZN7rocprim17ROCPRIM_400000_NS6detail17trampoline_kernelINS0_14default_configENS1_32segmented_reduce_config_selectorIdEEZNS1_21segmented_reduce_implIS3_PKdPdPKidN6hipcub16HIPCUB_304000_NS6detail27convert_result_type_wrapperIS8_S9_N2at6native12_GLOBAL__N_19CustomSumEEEEE10hipError_tPvRmT0_T1_jT2_SQ_T4_T3_P12ihipStream_tbEUlT_E_NS1_11comp_targetILNS1_3genE5ELNS1_11target_archE942ELNS1_3gpuE9ELNS1_3repE0EEENS1_30default_config_static_selectorELNS0_4arch9wavefront6targetE0EEEvSP_.numbered_sgpr, 0
	.set _ZN7rocprim17ROCPRIM_400000_NS6detail17trampoline_kernelINS0_14default_configENS1_32segmented_reduce_config_selectorIdEEZNS1_21segmented_reduce_implIS3_PKdPdPKidN6hipcub16HIPCUB_304000_NS6detail27convert_result_type_wrapperIS8_S9_N2at6native12_GLOBAL__N_19CustomSumEEEEE10hipError_tPvRmT0_T1_jT2_SQ_T4_T3_P12ihipStream_tbEUlT_E_NS1_11comp_targetILNS1_3genE5ELNS1_11target_archE942ELNS1_3gpuE9ELNS1_3repE0EEENS1_30default_config_static_selectorELNS0_4arch9wavefront6targetE0EEEvSP_.num_named_barrier, 0
	.set _ZN7rocprim17ROCPRIM_400000_NS6detail17trampoline_kernelINS0_14default_configENS1_32segmented_reduce_config_selectorIdEEZNS1_21segmented_reduce_implIS3_PKdPdPKidN6hipcub16HIPCUB_304000_NS6detail27convert_result_type_wrapperIS8_S9_N2at6native12_GLOBAL__N_19CustomSumEEEEE10hipError_tPvRmT0_T1_jT2_SQ_T4_T3_P12ihipStream_tbEUlT_E_NS1_11comp_targetILNS1_3genE5ELNS1_11target_archE942ELNS1_3gpuE9ELNS1_3repE0EEENS1_30default_config_static_selectorELNS0_4arch9wavefront6targetE0EEEvSP_.private_seg_size, 0
	.set _ZN7rocprim17ROCPRIM_400000_NS6detail17trampoline_kernelINS0_14default_configENS1_32segmented_reduce_config_selectorIdEEZNS1_21segmented_reduce_implIS3_PKdPdPKidN6hipcub16HIPCUB_304000_NS6detail27convert_result_type_wrapperIS8_S9_N2at6native12_GLOBAL__N_19CustomSumEEEEE10hipError_tPvRmT0_T1_jT2_SQ_T4_T3_P12ihipStream_tbEUlT_E_NS1_11comp_targetILNS1_3genE5ELNS1_11target_archE942ELNS1_3gpuE9ELNS1_3repE0EEENS1_30default_config_static_selectorELNS0_4arch9wavefront6targetE0EEEvSP_.uses_vcc, 0
	.set _ZN7rocprim17ROCPRIM_400000_NS6detail17trampoline_kernelINS0_14default_configENS1_32segmented_reduce_config_selectorIdEEZNS1_21segmented_reduce_implIS3_PKdPdPKidN6hipcub16HIPCUB_304000_NS6detail27convert_result_type_wrapperIS8_S9_N2at6native12_GLOBAL__N_19CustomSumEEEEE10hipError_tPvRmT0_T1_jT2_SQ_T4_T3_P12ihipStream_tbEUlT_E_NS1_11comp_targetILNS1_3genE5ELNS1_11target_archE942ELNS1_3gpuE9ELNS1_3repE0EEENS1_30default_config_static_selectorELNS0_4arch9wavefront6targetE0EEEvSP_.uses_flat_scratch, 0
	.set _ZN7rocprim17ROCPRIM_400000_NS6detail17trampoline_kernelINS0_14default_configENS1_32segmented_reduce_config_selectorIdEEZNS1_21segmented_reduce_implIS3_PKdPdPKidN6hipcub16HIPCUB_304000_NS6detail27convert_result_type_wrapperIS8_S9_N2at6native12_GLOBAL__N_19CustomSumEEEEE10hipError_tPvRmT0_T1_jT2_SQ_T4_T3_P12ihipStream_tbEUlT_E_NS1_11comp_targetILNS1_3genE5ELNS1_11target_archE942ELNS1_3gpuE9ELNS1_3repE0EEENS1_30default_config_static_selectorELNS0_4arch9wavefront6targetE0EEEvSP_.has_dyn_sized_stack, 0
	.set _ZN7rocprim17ROCPRIM_400000_NS6detail17trampoline_kernelINS0_14default_configENS1_32segmented_reduce_config_selectorIdEEZNS1_21segmented_reduce_implIS3_PKdPdPKidN6hipcub16HIPCUB_304000_NS6detail27convert_result_type_wrapperIS8_S9_N2at6native12_GLOBAL__N_19CustomSumEEEEE10hipError_tPvRmT0_T1_jT2_SQ_T4_T3_P12ihipStream_tbEUlT_E_NS1_11comp_targetILNS1_3genE5ELNS1_11target_archE942ELNS1_3gpuE9ELNS1_3repE0EEENS1_30default_config_static_selectorELNS0_4arch9wavefront6targetE0EEEvSP_.has_recursion, 0
	.set _ZN7rocprim17ROCPRIM_400000_NS6detail17trampoline_kernelINS0_14default_configENS1_32segmented_reduce_config_selectorIdEEZNS1_21segmented_reduce_implIS3_PKdPdPKidN6hipcub16HIPCUB_304000_NS6detail27convert_result_type_wrapperIS8_S9_N2at6native12_GLOBAL__N_19CustomSumEEEEE10hipError_tPvRmT0_T1_jT2_SQ_T4_T3_P12ihipStream_tbEUlT_E_NS1_11comp_targetILNS1_3genE5ELNS1_11target_archE942ELNS1_3gpuE9ELNS1_3repE0EEENS1_30default_config_static_selectorELNS0_4arch9wavefront6targetE0EEEvSP_.has_indirect_call, 0
	.section	.AMDGPU.csdata,"",@progbits
; Kernel info:
; codeLenInByte = 0
; TotalNumSgprs: 0
; NumVgprs: 0
; ScratchSize: 0
; MemoryBound: 0
; FloatMode: 240
; IeeeMode: 1
; LDSByteSize: 0 bytes/workgroup (compile time only)
; SGPRBlocks: 0
; VGPRBlocks: 0
; NumSGPRsForWavesPerEU: 1
; NumVGPRsForWavesPerEU: 1
; NamedBarCnt: 0
; Occupancy: 16
; WaveLimiterHint : 0
; COMPUTE_PGM_RSRC2:SCRATCH_EN: 0
; COMPUTE_PGM_RSRC2:USER_SGPR: 2
; COMPUTE_PGM_RSRC2:TRAP_HANDLER: 0
; COMPUTE_PGM_RSRC2:TGID_X_EN: 1
; COMPUTE_PGM_RSRC2:TGID_Y_EN: 0
; COMPUTE_PGM_RSRC2:TGID_Z_EN: 0
; COMPUTE_PGM_RSRC2:TIDIG_COMP_CNT: 0
	.section	.text._ZN7rocprim17ROCPRIM_400000_NS6detail17trampoline_kernelINS0_14default_configENS1_32segmented_reduce_config_selectorIdEEZNS1_21segmented_reduce_implIS3_PKdPdPKidN6hipcub16HIPCUB_304000_NS6detail27convert_result_type_wrapperIS8_S9_N2at6native12_GLOBAL__N_19CustomSumEEEEE10hipError_tPvRmT0_T1_jT2_SQ_T4_T3_P12ihipStream_tbEUlT_E_NS1_11comp_targetILNS1_3genE10ELNS1_11target_archE1201ELNS1_3gpuE5ELNS1_3repE0EEENS1_30default_config_static_selectorELNS0_4arch9wavefront6targetE0EEEvSP_,"axG",@progbits,_ZN7rocprim17ROCPRIM_400000_NS6detail17trampoline_kernelINS0_14default_configENS1_32segmented_reduce_config_selectorIdEEZNS1_21segmented_reduce_implIS3_PKdPdPKidN6hipcub16HIPCUB_304000_NS6detail27convert_result_type_wrapperIS8_S9_N2at6native12_GLOBAL__N_19CustomSumEEEEE10hipError_tPvRmT0_T1_jT2_SQ_T4_T3_P12ihipStream_tbEUlT_E_NS1_11comp_targetILNS1_3genE10ELNS1_11target_archE1201ELNS1_3gpuE5ELNS1_3repE0EEENS1_30default_config_static_selectorELNS0_4arch9wavefront6targetE0EEEvSP_,comdat
	.globl	_ZN7rocprim17ROCPRIM_400000_NS6detail17trampoline_kernelINS0_14default_configENS1_32segmented_reduce_config_selectorIdEEZNS1_21segmented_reduce_implIS3_PKdPdPKidN6hipcub16HIPCUB_304000_NS6detail27convert_result_type_wrapperIS8_S9_N2at6native12_GLOBAL__N_19CustomSumEEEEE10hipError_tPvRmT0_T1_jT2_SQ_T4_T3_P12ihipStream_tbEUlT_E_NS1_11comp_targetILNS1_3genE10ELNS1_11target_archE1201ELNS1_3gpuE5ELNS1_3repE0EEENS1_30default_config_static_selectorELNS0_4arch9wavefront6targetE0EEEvSP_ ; -- Begin function _ZN7rocprim17ROCPRIM_400000_NS6detail17trampoline_kernelINS0_14default_configENS1_32segmented_reduce_config_selectorIdEEZNS1_21segmented_reduce_implIS3_PKdPdPKidN6hipcub16HIPCUB_304000_NS6detail27convert_result_type_wrapperIS8_S9_N2at6native12_GLOBAL__N_19CustomSumEEEEE10hipError_tPvRmT0_T1_jT2_SQ_T4_T3_P12ihipStream_tbEUlT_E_NS1_11comp_targetILNS1_3genE10ELNS1_11target_archE1201ELNS1_3gpuE5ELNS1_3repE0EEENS1_30default_config_static_selectorELNS0_4arch9wavefront6targetE0EEEvSP_
	.p2align	8
	.type	_ZN7rocprim17ROCPRIM_400000_NS6detail17trampoline_kernelINS0_14default_configENS1_32segmented_reduce_config_selectorIdEEZNS1_21segmented_reduce_implIS3_PKdPdPKidN6hipcub16HIPCUB_304000_NS6detail27convert_result_type_wrapperIS8_S9_N2at6native12_GLOBAL__N_19CustomSumEEEEE10hipError_tPvRmT0_T1_jT2_SQ_T4_T3_P12ihipStream_tbEUlT_E_NS1_11comp_targetILNS1_3genE10ELNS1_11target_archE1201ELNS1_3gpuE5ELNS1_3repE0EEENS1_30default_config_static_selectorELNS0_4arch9wavefront6targetE0EEEvSP_,@function
_ZN7rocprim17ROCPRIM_400000_NS6detail17trampoline_kernelINS0_14default_configENS1_32segmented_reduce_config_selectorIdEEZNS1_21segmented_reduce_implIS3_PKdPdPKidN6hipcub16HIPCUB_304000_NS6detail27convert_result_type_wrapperIS8_S9_N2at6native12_GLOBAL__N_19CustomSumEEEEE10hipError_tPvRmT0_T1_jT2_SQ_T4_T3_P12ihipStream_tbEUlT_E_NS1_11comp_targetILNS1_3genE10ELNS1_11target_archE1201ELNS1_3gpuE5ELNS1_3repE0EEENS1_30default_config_static_selectorELNS0_4arch9wavefront6targetE0EEEvSP_: ; @_ZN7rocprim17ROCPRIM_400000_NS6detail17trampoline_kernelINS0_14default_configENS1_32segmented_reduce_config_selectorIdEEZNS1_21segmented_reduce_implIS3_PKdPdPKidN6hipcub16HIPCUB_304000_NS6detail27convert_result_type_wrapperIS8_S9_N2at6native12_GLOBAL__N_19CustomSumEEEEE10hipError_tPvRmT0_T1_jT2_SQ_T4_T3_P12ihipStream_tbEUlT_E_NS1_11comp_targetILNS1_3genE10ELNS1_11target_archE1201ELNS1_3gpuE5ELNS1_3repE0EEENS1_30default_config_static_selectorELNS0_4arch9wavefront6targetE0EEEvSP_
; %bb.0:
	.section	.rodata,"a",@progbits
	.p2align	6, 0x0
	.amdhsa_kernel _ZN7rocprim17ROCPRIM_400000_NS6detail17trampoline_kernelINS0_14default_configENS1_32segmented_reduce_config_selectorIdEEZNS1_21segmented_reduce_implIS3_PKdPdPKidN6hipcub16HIPCUB_304000_NS6detail27convert_result_type_wrapperIS8_S9_N2at6native12_GLOBAL__N_19CustomSumEEEEE10hipError_tPvRmT0_T1_jT2_SQ_T4_T3_P12ihipStream_tbEUlT_E_NS1_11comp_targetILNS1_3genE10ELNS1_11target_archE1201ELNS1_3gpuE5ELNS1_3repE0EEENS1_30default_config_static_selectorELNS0_4arch9wavefront6targetE0EEEvSP_
		.amdhsa_group_segment_fixed_size 0
		.amdhsa_private_segment_fixed_size 0
		.amdhsa_kernarg_size 56
		.amdhsa_user_sgpr_count 2
		.amdhsa_user_sgpr_dispatch_ptr 0
		.amdhsa_user_sgpr_queue_ptr 0
		.amdhsa_user_sgpr_kernarg_segment_ptr 1
		.amdhsa_user_sgpr_dispatch_id 0
		.amdhsa_user_sgpr_kernarg_preload_length 0
		.amdhsa_user_sgpr_kernarg_preload_offset 0
		.amdhsa_user_sgpr_private_segment_size 0
		.amdhsa_wavefront_size32 1
		.amdhsa_uses_dynamic_stack 0
		.amdhsa_enable_private_segment 0
		.amdhsa_system_sgpr_workgroup_id_x 1
		.amdhsa_system_sgpr_workgroup_id_y 0
		.amdhsa_system_sgpr_workgroup_id_z 0
		.amdhsa_system_sgpr_workgroup_info 0
		.amdhsa_system_vgpr_workitem_id 0
		.amdhsa_next_free_vgpr 1
		.amdhsa_next_free_sgpr 1
		.amdhsa_named_barrier_count 0
		.amdhsa_reserve_vcc 0
		.amdhsa_float_round_mode_32 0
		.amdhsa_float_round_mode_16_64 0
		.amdhsa_float_denorm_mode_32 3
		.amdhsa_float_denorm_mode_16_64 3
		.amdhsa_fp16_overflow 0
		.amdhsa_memory_ordered 1
		.amdhsa_forward_progress 1
		.amdhsa_inst_pref_size 0
		.amdhsa_round_robin_scheduling 0
		.amdhsa_exception_fp_ieee_invalid_op 0
		.amdhsa_exception_fp_denorm_src 0
		.amdhsa_exception_fp_ieee_div_zero 0
		.amdhsa_exception_fp_ieee_overflow 0
		.amdhsa_exception_fp_ieee_underflow 0
		.amdhsa_exception_fp_ieee_inexact 0
		.amdhsa_exception_int_div_zero 0
	.end_amdhsa_kernel
	.section	.text._ZN7rocprim17ROCPRIM_400000_NS6detail17trampoline_kernelINS0_14default_configENS1_32segmented_reduce_config_selectorIdEEZNS1_21segmented_reduce_implIS3_PKdPdPKidN6hipcub16HIPCUB_304000_NS6detail27convert_result_type_wrapperIS8_S9_N2at6native12_GLOBAL__N_19CustomSumEEEEE10hipError_tPvRmT0_T1_jT2_SQ_T4_T3_P12ihipStream_tbEUlT_E_NS1_11comp_targetILNS1_3genE10ELNS1_11target_archE1201ELNS1_3gpuE5ELNS1_3repE0EEENS1_30default_config_static_selectorELNS0_4arch9wavefront6targetE0EEEvSP_,"axG",@progbits,_ZN7rocprim17ROCPRIM_400000_NS6detail17trampoline_kernelINS0_14default_configENS1_32segmented_reduce_config_selectorIdEEZNS1_21segmented_reduce_implIS3_PKdPdPKidN6hipcub16HIPCUB_304000_NS6detail27convert_result_type_wrapperIS8_S9_N2at6native12_GLOBAL__N_19CustomSumEEEEE10hipError_tPvRmT0_T1_jT2_SQ_T4_T3_P12ihipStream_tbEUlT_E_NS1_11comp_targetILNS1_3genE10ELNS1_11target_archE1201ELNS1_3gpuE5ELNS1_3repE0EEENS1_30default_config_static_selectorELNS0_4arch9wavefront6targetE0EEEvSP_,comdat
.Lfunc_end19:
	.size	_ZN7rocprim17ROCPRIM_400000_NS6detail17trampoline_kernelINS0_14default_configENS1_32segmented_reduce_config_selectorIdEEZNS1_21segmented_reduce_implIS3_PKdPdPKidN6hipcub16HIPCUB_304000_NS6detail27convert_result_type_wrapperIS8_S9_N2at6native12_GLOBAL__N_19CustomSumEEEEE10hipError_tPvRmT0_T1_jT2_SQ_T4_T3_P12ihipStream_tbEUlT_E_NS1_11comp_targetILNS1_3genE10ELNS1_11target_archE1201ELNS1_3gpuE5ELNS1_3repE0EEENS1_30default_config_static_selectorELNS0_4arch9wavefront6targetE0EEEvSP_, .Lfunc_end19-_ZN7rocprim17ROCPRIM_400000_NS6detail17trampoline_kernelINS0_14default_configENS1_32segmented_reduce_config_selectorIdEEZNS1_21segmented_reduce_implIS3_PKdPdPKidN6hipcub16HIPCUB_304000_NS6detail27convert_result_type_wrapperIS8_S9_N2at6native12_GLOBAL__N_19CustomSumEEEEE10hipError_tPvRmT0_T1_jT2_SQ_T4_T3_P12ihipStream_tbEUlT_E_NS1_11comp_targetILNS1_3genE10ELNS1_11target_archE1201ELNS1_3gpuE5ELNS1_3repE0EEENS1_30default_config_static_selectorELNS0_4arch9wavefront6targetE0EEEvSP_
                                        ; -- End function
	.set _ZN7rocprim17ROCPRIM_400000_NS6detail17trampoline_kernelINS0_14default_configENS1_32segmented_reduce_config_selectorIdEEZNS1_21segmented_reduce_implIS3_PKdPdPKidN6hipcub16HIPCUB_304000_NS6detail27convert_result_type_wrapperIS8_S9_N2at6native12_GLOBAL__N_19CustomSumEEEEE10hipError_tPvRmT0_T1_jT2_SQ_T4_T3_P12ihipStream_tbEUlT_E_NS1_11comp_targetILNS1_3genE10ELNS1_11target_archE1201ELNS1_3gpuE5ELNS1_3repE0EEENS1_30default_config_static_selectorELNS0_4arch9wavefront6targetE0EEEvSP_.num_vgpr, 0
	.set _ZN7rocprim17ROCPRIM_400000_NS6detail17trampoline_kernelINS0_14default_configENS1_32segmented_reduce_config_selectorIdEEZNS1_21segmented_reduce_implIS3_PKdPdPKidN6hipcub16HIPCUB_304000_NS6detail27convert_result_type_wrapperIS8_S9_N2at6native12_GLOBAL__N_19CustomSumEEEEE10hipError_tPvRmT0_T1_jT2_SQ_T4_T3_P12ihipStream_tbEUlT_E_NS1_11comp_targetILNS1_3genE10ELNS1_11target_archE1201ELNS1_3gpuE5ELNS1_3repE0EEENS1_30default_config_static_selectorELNS0_4arch9wavefront6targetE0EEEvSP_.num_agpr, 0
	.set _ZN7rocprim17ROCPRIM_400000_NS6detail17trampoline_kernelINS0_14default_configENS1_32segmented_reduce_config_selectorIdEEZNS1_21segmented_reduce_implIS3_PKdPdPKidN6hipcub16HIPCUB_304000_NS6detail27convert_result_type_wrapperIS8_S9_N2at6native12_GLOBAL__N_19CustomSumEEEEE10hipError_tPvRmT0_T1_jT2_SQ_T4_T3_P12ihipStream_tbEUlT_E_NS1_11comp_targetILNS1_3genE10ELNS1_11target_archE1201ELNS1_3gpuE5ELNS1_3repE0EEENS1_30default_config_static_selectorELNS0_4arch9wavefront6targetE0EEEvSP_.numbered_sgpr, 0
	.set _ZN7rocprim17ROCPRIM_400000_NS6detail17trampoline_kernelINS0_14default_configENS1_32segmented_reduce_config_selectorIdEEZNS1_21segmented_reduce_implIS3_PKdPdPKidN6hipcub16HIPCUB_304000_NS6detail27convert_result_type_wrapperIS8_S9_N2at6native12_GLOBAL__N_19CustomSumEEEEE10hipError_tPvRmT0_T1_jT2_SQ_T4_T3_P12ihipStream_tbEUlT_E_NS1_11comp_targetILNS1_3genE10ELNS1_11target_archE1201ELNS1_3gpuE5ELNS1_3repE0EEENS1_30default_config_static_selectorELNS0_4arch9wavefront6targetE0EEEvSP_.num_named_barrier, 0
	.set _ZN7rocprim17ROCPRIM_400000_NS6detail17trampoline_kernelINS0_14default_configENS1_32segmented_reduce_config_selectorIdEEZNS1_21segmented_reduce_implIS3_PKdPdPKidN6hipcub16HIPCUB_304000_NS6detail27convert_result_type_wrapperIS8_S9_N2at6native12_GLOBAL__N_19CustomSumEEEEE10hipError_tPvRmT0_T1_jT2_SQ_T4_T3_P12ihipStream_tbEUlT_E_NS1_11comp_targetILNS1_3genE10ELNS1_11target_archE1201ELNS1_3gpuE5ELNS1_3repE0EEENS1_30default_config_static_selectorELNS0_4arch9wavefront6targetE0EEEvSP_.private_seg_size, 0
	.set _ZN7rocprim17ROCPRIM_400000_NS6detail17trampoline_kernelINS0_14default_configENS1_32segmented_reduce_config_selectorIdEEZNS1_21segmented_reduce_implIS3_PKdPdPKidN6hipcub16HIPCUB_304000_NS6detail27convert_result_type_wrapperIS8_S9_N2at6native12_GLOBAL__N_19CustomSumEEEEE10hipError_tPvRmT0_T1_jT2_SQ_T4_T3_P12ihipStream_tbEUlT_E_NS1_11comp_targetILNS1_3genE10ELNS1_11target_archE1201ELNS1_3gpuE5ELNS1_3repE0EEENS1_30default_config_static_selectorELNS0_4arch9wavefront6targetE0EEEvSP_.uses_vcc, 0
	.set _ZN7rocprim17ROCPRIM_400000_NS6detail17trampoline_kernelINS0_14default_configENS1_32segmented_reduce_config_selectorIdEEZNS1_21segmented_reduce_implIS3_PKdPdPKidN6hipcub16HIPCUB_304000_NS6detail27convert_result_type_wrapperIS8_S9_N2at6native12_GLOBAL__N_19CustomSumEEEEE10hipError_tPvRmT0_T1_jT2_SQ_T4_T3_P12ihipStream_tbEUlT_E_NS1_11comp_targetILNS1_3genE10ELNS1_11target_archE1201ELNS1_3gpuE5ELNS1_3repE0EEENS1_30default_config_static_selectorELNS0_4arch9wavefront6targetE0EEEvSP_.uses_flat_scratch, 0
	.set _ZN7rocprim17ROCPRIM_400000_NS6detail17trampoline_kernelINS0_14default_configENS1_32segmented_reduce_config_selectorIdEEZNS1_21segmented_reduce_implIS3_PKdPdPKidN6hipcub16HIPCUB_304000_NS6detail27convert_result_type_wrapperIS8_S9_N2at6native12_GLOBAL__N_19CustomSumEEEEE10hipError_tPvRmT0_T1_jT2_SQ_T4_T3_P12ihipStream_tbEUlT_E_NS1_11comp_targetILNS1_3genE10ELNS1_11target_archE1201ELNS1_3gpuE5ELNS1_3repE0EEENS1_30default_config_static_selectorELNS0_4arch9wavefront6targetE0EEEvSP_.has_dyn_sized_stack, 0
	.set _ZN7rocprim17ROCPRIM_400000_NS6detail17trampoline_kernelINS0_14default_configENS1_32segmented_reduce_config_selectorIdEEZNS1_21segmented_reduce_implIS3_PKdPdPKidN6hipcub16HIPCUB_304000_NS6detail27convert_result_type_wrapperIS8_S9_N2at6native12_GLOBAL__N_19CustomSumEEEEE10hipError_tPvRmT0_T1_jT2_SQ_T4_T3_P12ihipStream_tbEUlT_E_NS1_11comp_targetILNS1_3genE10ELNS1_11target_archE1201ELNS1_3gpuE5ELNS1_3repE0EEENS1_30default_config_static_selectorELNS0_4arch9wavefront6targetE0EEEvSP_.has_recursion, 0
	.set _ZN7rocprim17ROCPRIM_400000_NS6detail17trampoline_kernelINS0_14default_configENS1_32segmented_reduce_config_selectorIdEEZNS1_21segmented_reduce_implIS3_PKdPdPKidN6hipcub16HIPCUB_304000_NS6detail27convert_result_type_wrapperIS8_S9_N2at6native12_GLOBAL__N_19CustomSumEEEEE10hipError_tPvRmT0_T1_jT2_SQ_T4_T3_P12ihipStream_tbEUlT_E_NS1_11comp_targetILNS1_3genE10ELNS1_11target_archE1201ELNS1_3gpuE5ELNS1_3repE0EEENS1_30default_config_static_selectorELNS0_4arch9wavefront6targetE0EEEvSP_.has_indirect_call, 0
	.section	.AMDGPU.csdata,"",@progbits
; Kernel info:
; codeLenInByte = 0
; TotalNumSgprs: 0
; NumVgprs: 0
; ScratchSize: 0
; MemoryBound: 0
; FloatMode: 240
; IeeeMode: 1
; LDSByteSize: 0 bytes/workgroup (compile time only)
; SGPRBlocks: 0
; VGPRBlocks: 0
; NumSGPRsForWavesPerEU: 1
; NumVGPRsForWavesPerEU: 1
; NamedBarCnt: 0
; Occupancy: 16
; WaveLimiterHint : 0
; COMPUTE_PGM_RSRC2:SCRATCH_EN: 0
; COMPUTE_PGM_RSRC2:USER_SGPR: 2
; COMPUTE_PGM_RSRC2:TRAP_HANDLER: 0
; COMPUTE_PGM_RSRC2:TGID_X_EN: 1
; COMPUTE_PGM_RSRC2:TGID_Y_EN: 0
; COMPUTE_PGM_RSRC2:TGID_Z_EN: 0
; COMPUTE_PGM_RSRC2:TIDIG_COMP_CNT: 0
	.section	.text._ZN7rocprim17ROCPRIM_400000_NS6detail17trampoline_kernelINS0_14default_configENS1_32segmented_reduce_config_selectorIdEEZNS1_21segmented_reduce_implIS3_PKdPdPKidN6hipcub16HIPCUB_304000_NS6detail27convert_result_type_wrapperIS8_S9_N2at6native12_GLOBAL__N_19CustomSumEEEEE10hipError_tPvRmT0_T1_jT2_SQ_T4_T3_P12ihipStream_tbEUlT_E_NS1_11comp_targetILNS1_3genE4ELNS1_11target_archE910ELNS1_3gpuE8ELNS1_3repE0EEENS1_30default_config_static_selectorELNS0_4arch9wavefront6targetE0EEEvSP_,"axG",@progbits,_ZN7rocprim17ROCPRIM_400000_NS6detail17trampoline_kernelINS0_14default_configENS1_32segmented_reduce_config_selectorIdEEZNS1_21segmented_reduce_implIS3_PKdPdPKidN6hipcub16HIPCUB_304000_NS6detail27convert_result_type_wrapperIS8_S9_N2at6native12_GLOBAL__N_19CustomSumEEEEE10hipError_tPvRmT0_T1_jT2_SQ_T4_T3_P12ihipStream_tbEUlT_E_NS1_11comp_targetILNS1_3genE4ELNS1_11target_archE910ELNS1_3gpuE8ELNS1_3repE0EEENS1_30default_config_static_selectorELNS0_4arch9wavefront6targetE0EEEvSP_,comdat
	.globl	_ZN7rocprim17ROCPRIM_400000_NS6detail17trampoline_kernelINS0_14default_configENS1_32segmented_reduce_config_selectorIdEEZNS1_21segmented_reduce_implIS3_PKdPdPKidN6hipcub16HIPCUB_304000_NS6detail27convert_result_type_wrapperIS8_S9_N2at6native12_GLOBAL__N_19CustomSumEEEEE10hipError_tPvRmT0_T1_jT2_SQ_T4_T3_P12ihipStream_tbEUlT_E_NS1_11comp_targetILNS1_3genE4ELNS1_11target_archE910ELNS1_3gpuE8ELNS1_3repE0EEENS1_30default_config_static_selectorELNS0_4arch9wavefront6targetE0EEEvSP_ ; -- Begin function _ZN7rocprim17ROCPRIM_400000_NS6detail17trampoline_kernelINS0_14default_configENS1_32segmented_reduce_config_selectorIdEEZNS1_21segmented_reduce_implIS3_PKdPdPKidN6hipcub16HIPCUB_304000_NS6detail27convert_result_type_wrapperIS8_S9_N2at6native12_GLOBAL__N_19CustomSumEEEEE10hipError_tPvRmT0_T1_jT2_SQ_T4_T3_P12ihipStream_tbEUlT_E_NS1_11comp_targetILNS1_3genE4ELNS1_11target_archE910ELNS1_3gpuE8ELNS1_3repE0EEENS1_30default_config_static_selectorELNS0_4arch9wavefront6targetE0EEEvSP_
	.p2align	8
	.type	_ZN7rocprim17ROCPRIM_400000_NS6detail17trampoline_kernelINS0_14default_configENS1_32segmented_reduce_config_selectorIdEEZNS1_21segmented_reduce_implIS3_PKdPdPKidN6hipcub16HIPCUB_304000_NS6detail27convert_result_type_wrapperIS8_S9_N2at6native12_GLOBAL__N_19CustomSumEEEEE10hipError_tPvRmT0_T1_jT2_SQ_T4_T3_P12ihipStream_tbEUlT_E_NS1_11comp_targetILNS1_3genE4ELNS1_11target_archE910ELNS1_3gpuE8ELNS1_3repE0EEENS1_30default_config_static_selectorELNS0_4arch9wavefront6targetE0EEEvSP_,@function
_ZN7rocprim17ROCPRIM_400000_NS6detail17trampoline_kernelINS0_14default_configENS1_32segmented_reduce_config_selectorIdEEZNS1_21segmented_reduce_implIS3_PKdPdPKidN6hipcub16HIPCUB_304000_NS6detail27convert_result_type_wrapperIS8_S9_N2at6native12_GLOBAL__N_19CustomSumEEEEE10hipError_tPvRmT0_T1_jT2_SQ_T4_T3_P12ihipStream_tbEUlT_E_NS1_11comp_targetILNS1_3genE4ELNS1_11target_archE910ELNS1_3gpuE8ELNS1_3repE0EEENS1_30default_config_static_selectorELNS0_4arch9wavefront6targetE0EEEvSP_: ; @_ZN7rocprim17ROCPRIM_400000_NS6detail17trampoline_kernelINS0_14default_configENS1_32segmented_reduce_config_selectorIdEEZNS1_21segmented_reduce_implIS3_PKdPdPKidN6hipcub16HIPCUB_304000_NS6detail27convert_result_type_wrapperIS8_S9_N2at6native12_GLOBAL__N_19CustomSumEEEEE10hipError_tPvRmT0_T1_jT2_SQ_T4_T3_P12ihipStream_tbEUlT_E_NS1_11comp_targetILNS1_3genE4ELNS1_11target_archE910ELNS1_3gpuE8ELNS1_3repE0EEENS1_30default_config_static_selectorELNS0_4arch9wavefront6targetE0EEEvSP_
; %bb.0:
	.section	.rodata,"a",@progbits
	.p2align	6, 0x0
	.amdhsa_kernel _ZN7rocprim17ROCPRIM_400000_NS6detail17trampoline_kernelINS0_14default_configENS1_32segmented_reduce_config_selectorIdEEZNS1_21segmented_reduce_implIS3_PKdPdPKidN6hipcub16HIPCUB_304000_NS6detail27convert_result_type_wrapperIS8_S9_N2at6native12_GLOBAL__N_19CustomSumEEEEE10hipError_tPvRmT0_T1_jT2_SQ_T4_T3_P12ihipStream_tbEUlT_E_NS1_11comp_targetILNS1_3genE4ELNS1_11target_archE910ELNS1_3gpuE8ELNS1_3repE0EEENS1_30default_config_static_selectorELNS0_4arch9wavefront6targetE0EEEvSP_
		.amdhsa_group_segment_fixed_size 0
		.amdhsa_private_segment_fixed_size 0
		.amdhsa_kernarg_size 56
		.amdhsa_user_sgpr_count 2
		.amdhsa_user_sgpr_dispatch_ptr 0
		.amdhsa_user_sgpr_queue_ptr 0
		.amdhsa_user_sgpr_kernarg_segment_ptr 1
		.amdhsa_user_sgpr_dispatch_id 0
		.amdhsa_user_sgpr_kernarg_preload_length 0
		.amdhsa_user_sgpr_kernarg_preload_offset 0
		.amdhsa_user_sgpr_private_segment_size 0
		.amdhsa_wavefront_size32 1
		.amdhsa_uses_dynamic_stack 0
		.amdhsa_enable_private_segment 0
		.amdhsa_system_sgpr_workgroup_id_x 1
		.amdhsa_system_sgpr_workgroup_id_y 0
		.amdhsa_system_sgpr_workgroup_id_z 0
		.amdhsa_system_sgpr_workgroup_info 0
		.amdhsa_system_vgpr_workitem_id 0
		.amdhsa_next_free_vgpr 1
		.amdhsa_next_free_sgpr 1
		.amdhsa_named_barrier_count 0
		.amdhsa_reserve_vcc 0
		.amdhsa_float_round_mode_32 0
		.amdhsa_float_round_mode_16_64 0
		.amdhsa_float_denorm_mode_32 3
		.amdhsa_float_denorm_mode_16_64 3
		.amdhsa_fp16_overflow 0
		.amdhsa_memory_ordered 1
		.amdhsa_forward_progress 1
		.amdhsa_inst_pref_size 0
		.amdhsa_round_robin_scheduling 0
		.amdhsa_exception_fp_ieee_invalid_op 0
		.amdhsa_exception_fp_denorm_src 0
		.amdhsa_exception_fp_ieee_div_zero 0
		.amdhsa_exception_fp_ieee_overflow 0
		.amdhsa_exception_fp_ieee_underflow 0
		.amdhsa_exception_fp_ieee_inexact 0
		.amdhsa_exception_int_div_zero 0
	.end_amdhsa_kernel
	.section	.text._ZN7rocprim17ROCPRIM_400000_NS6detail17trampoline_kernelINS0_14default_configENS1_32segmented_reduce_config_selectorIdEEZNS1_21segmented_reduce_implIS3_PKdPdPKidN6hipcub16HIPCUB_304000_NS6detail27convert_result_type_wrapperIS8_S9_N2at6native12_GLOBAL__N_19CustomSumEEEEE10hipError_tPvRmT0_T1_jT2_SQ_T4_T3_P12ihipStream_tbEUlT_E_NS1_11comp_targetILNS1_3genE4ELNS1_11target_archE910ELNS1_3gpuE8ELNS1_3repE0EEENS1_30default_config_static_selectorELNS0_4arch9wavefront6targetE0EEEvSP_,"axG",@progbits,_ZN7rocprim17ROCPRIM_400000_NS6detail17trampoline_kernelINS0_14default_configENS1_32segmented_reduce_config_selectorIdEEZNS1_21segmented_reduce_implIS3_PKdPdPKidN6hipcub16HIPCUB_304000_NS6detail27convert_result_type_wrapperIS8_S9_N2at6native12_GLOBAL__N_19CustomSumEEEEE10hipError_tPvRmT0_T1_jT2_SQ_T4_T3_P12ihipStream_tbEUlT_E_NS1_11comp_targetILNS1_3genE4ELNS1_11target_archE910ELNS1_3gpuE8ELNS1_3repE0EEENS1_30default_config_static_selectorELNS0_4arch9wavefront6targetE0EEEvSP_,comdat
.Lfunc_end20:
	.size	_ZN7rocprim17ROCPRIM_400000_NS6detail17trampoline_kernelINS0_14default_configENS1_32segmented_reduce_config_selectorIdEEZNS1_21segmented_reduce_implIS3_PKdPdPKidN6hipcub16HIPCUB_304000_NS6detail27convert_result_type_wrapperIS8_S9_N2at6native12_GLOBAL__N_19CustomSumEEEEE10hipError_tPvRmT0_T1_jT2_SQ_T4_T3_P12ihipStream_tbEUlT_E_NS1_11comp_targetILNS1_3genE4ELNS1_11target_archE910ELNS1_3gpuE8ELNS1_3repE0EEENS1_30default_config_static_selectorELNS0_4arch9wavefront6targetE0EEEvSP_, .Lfunc_end20-_ZN7rocprim17ROCPRIM_400000_NS6detail17trampoline_kernelINS0_14default_configENS1_32segmented_reduce_config_selectorIdEEZNS1_21segmented_reduce_implIS3_PKdPdPKidN6hipcub16HIPCUB_304000_NS6detail27convert_result_type_wrapperIS8_S9_N2at6native12_GLOBAL__N_19CustomSumEEEEE10hipError_tPvRmT0_T1_jT2_SQ_T4_T3_P12ihipStream_tbEUlT_E_NS1_11comp_targetILNS1_3genE4ELNS1_11target_archE910ELNS1_3gpuE8ELNS1_3repE0EEENS1_30default_config_static_selectorELNS0_4arch9wavefront6targetE0EEEvSP_
                                        ; -- End function
	.set _ZN7rocprim17ROCPRIM_400000_NS6detail17trampoline_kernelINS0_14default_configENS1_32segmented_reduce_config_selectorIdEEZNS1_21segmented_reduce_implIS3_PKdPdPKidN6hipcub16HIPCUB_304000_NS6detail27convert_result_type_wrapperIS8_S9_N2at6native12_GLOBAL__N_19CustomSumEEEEE10hipError_tPvRmT0_T1_jT2_SQ_T4_T3_P12ihipStream_tbEUlT_E_NS1_11comp_targetILNS1_3genE4ELNS1_11target_archE910ELNS1_3gpuE8ELNS1_3repE0EEENS1_30default_config_static_selectorELNS0_4arch9wavefront6targetE0EEEvSP_.num_vgpr, 0
	.set _ZN7rocprim17ROCPRIM_400000_NS6detail17trampoline_kernelINS0_14default_configENS1_32segmented_reduce_config_selectorIdEEZNS1_21segmented_reduce_implIS3_PKdPdPKidN6hipcub16HIPCUB_304000_NS6detail27convert_result_type_wrapperIS8_S9_N2at6native12_GLOBAL__N_19CustomSumEEEEE10hipError_tPvRmT0_T1_jT2_SQ_T4_T3_P12ihipStream_tbEUlT_E_NS1_11comp_targetILNS1_3genE4ELNS1_11target_archE910ELNS1_3gpuE8ELNS1_3repE0EEENS1_30default_config_static_selectorELNS0_4arch9wavefront6targetE0EEEvSP_.num_agpr, 0
	.set _ZN7rocprim17ROCPRIM_400000_NS6detail17trampoline_kernelINS0_14default_configENS1_32segmented_reduce_config_selectorIdEEZNS1_21segmented_reduce_implIS3_PKdPdPKidN6hipcub16HIPCUB_304000_NS6detail27convert_result_type_wrapperIS8_S9_N2at6native12_GLOBAL__N_19CustomSumEEEEE10hipError_tPvRmT0_T1_jT2_SQ_T4_T3_P12ihipStream_tbEUlT_E_NS1_11comp_targetILNS1_3genE4ELNS1_11target_archE910ELNS1_3gpuE8ELNS1_3repE0EEENS1_30default_config_static_selectorELNS0_4arch9wavefront6targetE0EEEvSP_.numbered_sgpr, 0
	.set _ZN7rocprim17ROCPRIM_400000_NS6detail17trampoline_kernelINS0_14default_configENS1_32segmented_reduce_config_selectorIdEEZNS1_21segmented_reduce_implIS3_PKdPdPKidN6hipcub16HIPCUB_304000_NS6detail27convert_result_type_wrapperIS8_S9_N2at6native12_GLOBAL__N_19CustomSumEEEEE10hipError_tPvRmT0_T1_jT2_SQ_T4_T3_P12ihipStream_tbEUlT_E_NS1_11comp_targetILNS1_3genE4ELNS1_11target_archE910ELNS1_3gpuE8ELNS1_3repE0EEENS1_30default_config_static_selectorELNS0_4arch9wavefront6targetE0EEEvSP_.num_named_barrier, 0
	.set _ZN7rocprim17ROCPRIM_400000_NS6detail17trampoline_kernelINS0_14default_configENS1_32segmented_reduce_config_selectorIdEEZNS1_21segmented_reduce_implIS3_PKdPdPKidN6hipcub16HIPCUB_304000_NS6detail27convert_result_type_wrapperIS8_S9_N2at6native12_GLOBAL__N_19CustomSumEEEEE10hipError_tPvRmT0_T1_jT2_SQ_T4_T3_P12ihipStream_tbEUlT_E_NS1_11comp_targetILNS1_3genE4ELNS1_11target_archE910ELNS1_3gpuE8ELNS1_3repE0EEENS1_30default_config_static_selectorELNS0_4arch9wavefront6targetE0EEEvSP_.private_seg_size, 0
	.set _ZN7rocprim17ROCPRIM_400000_NS6detail17trampoline_kernelINS0_14default_configENS1_32segmented_reduce_config_selectorIdEEZNS1_21segmented_reduce_implIS3_PKdPdPKidN6hipcub16HIPCUB_304000_NS6detail27convert_result_type_wrapperIS8_S9_N2at6native12_GLOBAL__N_19CustomSumEEEEE10hipError_tPvRmT0_T1_jT2_SQ_T4_T3_P12ihipStream_tbEUlT_E_NS1_11comp_targetILNS1_3genE4ELNS1_11target_archE910ELNS1_3gpuE8ELNS1_3repE0EEENS1_30default_config_static_selectorELNS0_4arch9wavefront6targetE0EEEvSP_.uses_vcc, 0
	.set _ZN7rocprim17ROCPRIM_400000_NS6detail17trampoline_kernelINS0_14default_configENS1_32segmented_reduce_config_selectorIdEEZNS1_21segmented_reduce_implIS3_PKdPdPKidN6hipcub16HIPCUB_304000_NS6detail27convert_result_type_wrapperIS8_S9_N2at6native12_GLOBAL__N_19CustomSumEEEEE10hipError_tPvRmT0_T1_jT2_SQ_T4_T3_P12ihipStream_tbEUlT_E_NS1_11comp_targetILNS1_3genE4ELNS1_11target_archE910ELNS1_3gpuE8ELNS1_3repE0EEENS1_30default_config_static_selectorELNS0_4arch9wavefront6targetE0EEEvSP_.uses_flat_scratch, 0
	.set _ZN7rocprim17ROCPRIM_400000_NS6detail17trampoline_kernelINS0_14default_configENS1_32segmented_reduce_config_selectorIdEEZNS1_21segmented_reduce_implIS3_PKdPdPKidN6hipcub16HIPCUB_304000_NS6detail27convert_result_type_wrapperIS8_S9_N2at6native12_GLOBAL__N_19CustomSumEEEEE10hipError_tPvRmT0_T1_jT2_SQ_T4_T3_P12ihipStream_tbEUlT_E_NS1_11comp_targetILNS1_3genE4ELNS1_11target_archE910ELNS1_3gpuE8ELNS1_3repE0EEENS1_30default_config_static_selectorELNS0_4arch9wavefront6targetE0EEEvSP_.has_dyn_sized_stack, 0
	.set _ZN7rocprim17ROCPRIM_400000_NS6detail17trampoline_kernelINS0_14default_configENS1_32segmented_reduce_config_selectorIdEEZNS1_21segmented_reduce_implIS3_PKdPdPKidN6hipcub16HIPCUB_304000_NS6detail27convert_result_type_wrapperIS8_S9_N2at6native12_GLOBAL__N_19CustomSumEEEEE10hipError_tPvRmT0_T1_jT2_SQ_T4_T3_P12ihipStream_tbEUlT_E_NS1_11comp_targetILNS1_3genE4ELNS1_11target_archE910ELNS1_3gpuE8ELNS1_3repE0EEENS1_30default_config_static_selectorELNS0_4arch9wavefront6targetE0EEEvSP_.has_recursion, 0
	.set _ZN7rocprim17ROCPRIM_400000_NS6detail17trampoline_kernelINS0_14default_configENS1_32segmented_reduce_config_selectorIdEEZNS1_21segmented_reduce_implIS3_PKdPdPKidN6hipcub16HIPCUB_304000_NS6detail27convert_result_type_wrapperIS8_S9_N2at6native12_GLOBAL__N_19CustomSumEEEEE10hipError_tPvRmT0_T1_jT2_SQ_T4_T3_P12ihipStream_tbEUlT_E_NS1_11comp_targetILNS1_3genE4ELNS1_11target_archE910ELNS1_3gpuE8ELNS1_3repE0EEENS1_30default_config_static_selectorELNS0_4arch9wavefront6targetE0EEEvSP_.has_indirect_call, 0
	.section	.AMDGPU.csdata,"",@progbits
; Kernel info:
; codeLenInByte = 0
; TotalNumSgprs: 0
; NumVgprs: 0
; ScratchSize: 0
; MemoryBound: 0
; FloatMode: 240
; IeeeMode: 1
; LDSByteSize: 0 bytes/workgroup (compile time only)
; SGPRBlocks: 0
; VGPRBlocks: 0
; NumSGPRsForWavesPerEU: 1
; NumVGPRsForWavesPerEU: 1
; NamedBarCnt: 0
; Occupancy: 16
; WaveLimiterHint : 0
; COMPUTE_PGM_RSRC2:SCRATCH_EN: 0
; COMPUTE_PGM_RSRC2:USER_SGPR: 2
; COMPUTE_PGM_RSRC2:TRAP_HANDLER: 0
; COMPUTE_PGM_RSRC2:TGID_X_EN: 1
; COMPUTE_PGM_RSRC2:TGID_Y_EN: 0
; COMPUTE_PGM_RSRC2:TGID_Z_EN: 0
; COMPUTE_PGM_RSRC2:TIDIG_COMP_CNT: 0
	.section	.text._ZN7rocprim17ROCPRIM_400000_NS6detail17trampoline_kernelINS0_14default_configENS1_32segmented_reduce_config_selectorIdEEZNS1_21segmented_reduce_implIS3_PKdPdPKidN6hipcub16HIPCUB_304000_NS6detail27convert_result_type_wrapperIS8_S9_N2at6native12_GLOBAL__N_19CustomSumEEEEE10hipError_tPvRmT0_T1_jT2_SQ_T4_T3_P12ihipStream_tbEUlT_E_NS1_11comp_targetILNS1_3genE3ELNS1_11target_archE908ELNS1_3gpuE7ELNS1_3repE0EEENS1_30default_config_static_selectorELNS0_4arch9wavefront6targetE0EEEvSP_,"axG",@progbits,_ZN7rocprim17ROCPRIM_400000_NS6detail17trampoline_kernelINS0_14default_configENS1_32segmented_reduce_config_selectorIdEEZNS1_21segmented_reduce_implIS3_PKdPdPKidN6hipcub16HIPCUB_304000_NS6detail27convert_result_type_wrapperIS8_S9_N2at6native12_GLOBAL__N_19CustomSumEEEEE10hipError_tPvRmT0_T1_jT2_SQ_T4_T3_P12ihipStream_tbEUlT_E_NS1_11comp_targetILNS1_3genE3ELNS1_11target_archE908ELNS1_3gpuE7ELNS1_3repE0EEENS1_30default_config_static_selectorELNS0_4arch9wavefront6targetE0EEEvSP_,comdat
	.globl	_ZN7rocprim17ROCPRIM_400000_NS6detail17trampoline_kernelINS0_14default_configENS1_32segmented_reduce_config_selectorIdEEZNS1_21segmented_reduce_implIS3_PKdPdPKidN6hipcub16HIPCUB_304000_NS6detail27convert_result_type_wrapperIS8_S9_N2at6native12_GLOBAL__N_19CustomSumEEEEE10hipError_tPvRmT0_T1_jT2_SQ_T4_T3_P12ihipStream_tbEUlT_E_NS1_11comp_targetILNS1_3genE3ELNS1_11target_archE908ELNS1_3gpuE7ELNS1_3repE0EEENS1_30default_config_static_selectorELNS0_4arch9wavefront6targetE0EEEvSP_ ; -- Begin function _ZN7rocprim17ROCPRIM_400000_NS6detail17trampoline_kernelINS0_14default_configENS1_32segmented_reduce_config_selectorIdEEZNS1_21segmented_reduce_implIS3_PKdPdPKidN6hipcub16HIPCUB_304000_NS6detail27convert_result_type_wrapperIS8_S9_N2at6native12_GLOBAL__N_19CustomSumEEEEE10hipError_tPvRmT0_T1_jT2_SQ_T4_T3_P12ihipStream_tbEUlT_E_NS1_11comp_targetILNS1_3genE3ELNS1_11target_archE908ELNS1_3gpuE7ELNS1_3repE0EEENS1_30default_config_static_selectorELNS0_4arch9wavefront6targetE0EEEvSP_
	.p2align	8
	.type	_ZN7rocprim17ROCPRIM_400000_NS6detail17trampoline_kernelINS0_14default_configENS1_32segmented_reduce_config_selectorIdEEZNS1_21segmented_reduce_implIS3_PKdPdPKidN6hipcub16HIPCUB_304000_NS6detail27convert_result_type_wrapperIS8_S9_N2at6native12_GLOBAL__N_19CustomSumEEEEE10hipError_tPvRmT0_T1_jT2_SQ_T4_T3_P12ihipStream_tbEUlT_E_NS1_11comp_targetILNS1_3genE3ELNS1_11target_archE908ELNS1_3gpuE7ELNS1_3repE0EEENS1_30default_config_static_selectorELNS0_4arch9wavefront6targetE0EEEvSP_,@function
_ZN7rocprim17ROCPRIM_400000_NS6detail17trampoline_kernelINS0_14default_configENS1_32segmented_reduce_config_selectorIdEEZNS1_21segmented_reduce_implIS3_PKdPdPKidN6hipcub16HIPCUB_304000_NS6detail27convert_result_type_wrapperIS8_S9_N2at6native12_GLOBAL__N_19CustomSumEEEEE10hipError_tPvRmT0_T1_jT2_SQ_T4_T3_P12ihipStream_tbEUlT_E_NS1_11comp_targetILNS1_3genE3ELNS1_11target_archE908ELNS1_3gpuE7ELNS1_3repE0EEENS1_30default_config_static_selectorELNS0_4arch9wavefront6targetE0EEEvSP_: ; @_ZN7rocprim17ROCPRIM_400000_NS6detail17trampoline_kernelINS0_14default_configENS1_32segmented_reduce_config_selectorIdEEZNS1_21segmented_reduce_implIS3_PKdPdPKidN6hipcub16HIPCUB_304000_NS6detail27convert_result_type_wrapperIS8_S9_N2at6native12_GLOBAL__N_19CustomSumEEEEE10hipError_tPvRmT0_T1_jT2_SQ_T4_T3_P12ihipStream_tbEUlT_E_NS1_11comp_targetILNS1_3genE3ELNS1_11target_archE908ELNS1_3gpuE7ELNS1_3repE0EEENS1_30default_config_static_selectorELNS0_4arch9wavefront6targetE0EEEvSP_
; %bb.0:
	.section	.rodata,"a",@progbits
	.p2align	6, 0x0
	.amdhsa_kernel _ZN7rocprim17ROCPRIM_400000_NS6detail17trampoline_kernelINS0_14default_configENS1_32segmented_reduce_config_selectorIdEEZNS1_21segmented_reduce_implIS3_PKdPdPKidN6hipcub16HIPCUB_304000_NS6detail27convert_result_type_wrapperIS8_S9_N2at6native12_GLOBAL__N_19CustomSumEEEEE10hipError_tPvRmT0_T1_jT2_SQ_T4_T3_P12ihipStream_tbEUlT_E_NS1_11comp_targetILNS1_3genE3ELNS1_11target_archE908ELNS1_3gpuE7ELNS1_3repE0EEENS1_30default_config_static_selectorELNS0_4arch9wavefront6targetE0EEEvSP_
		.amdhsa_group_segment_fixed_size 0
		.amdhsa_private_segment_fixed_size 0
		.amdhsa_kernarg_size 56
		.amdhsa_user_sgpr_count 2
		.amdhsa_user_sgpr_dispatch_ptr 0
		.amdhsa_user_sgpr_queue_ptr 0
		.amdhsa_user_sgpr_kernarg_segment_ptr 1
		.amdhsa_user_sgpr_dispatch_id 0
		.amdhsa_user_sgpr_kernarg_preload_length 0
		.amdhsa_user_sgpr_kernarg_preload_offset 0
		.amdhsa_user_sgpr_private_segment_size 0
		.amdhsa_wavefront_size32 1
		.amdhsa_uses_dynamic_stack 0
		.amdhsa_enable_private_segment 0
		.amdhsa_system_sgpr_workgroup_id_x 1
		.amdhsa_system_sgpr_workgroup_id_y 0
		.amdhsa_system_sgpr_workgroup_id_z 0
		.amdhsa_system_sgpr_workgroup_info 0
		.amdhsa_system_vgpr_workitem_id 0
		.amdhsa_next_free_vgpr 1
		.amdhsa_next_free_sgpr 1
		.amdhsa_named_barrier_count 0
		.amdhsa_reserve_vcc 0
		.amdhsa_float_round_mode_32 0
		.amdhsa_float_round_mode_16_64 0
		.amdhsa_float_denorm_mode_32 3
		.amdhsa_float_denorm_mode_16_64 3
		.amdhsa_fp16_overflow 0
		.amdhsa_memory_ordered 1
		.amdhsa_forward_progress 1
		.amdhsa_inst_pref_size 0
		.amdhsa_round_robin_scheduling 0
		.amdhsa_exception_fp_ieee_invalid_op 0
		.amdhsa_exception_fp_denorm_src 0
		.amdhsa_exception_fp_ieee_div_zero 0
		.amdhsa_exception_fp_ieee_overflow 0
		.amdhsa_exception_fp_ieee_underflow 0
		.amdhsa_exception_fp_ieee_inexact 0
		.amdhsa_exception_int_div_zero 0
	.end_amdhsa_kernel
	.section	.text._ZN7rocprim17ROCPRIM_400000_NS6detail17trampoline_kernelINS0_14default_configENS1_32segmented_reduce_config_selectorIdEEZNS1_21segmented_reduce_implIS3_PKdPdPKidN6hipcub16HIPCUB_304000_NS6detail27convert_result_type_wrapperIS8_S9_N2at6native12_GLOBAL__N_19CustomSumEEEEE10hipError_tPvRmT0_T1_jT2_SQ_T4_T3_P12ihipStream_tbEUlT_E_NS1_11comp_targetILNS1_3genE3ELNS1_11target_archE908ELNS1_3gpuE7ELNS1_3repE0EEENS1_30default_config_static_selectorELNS0_4arch9wavefront6targetE0EEEvSP_,"axG",@progbits,_ZN7rocprim17ROCPRIM_400000_NS6detail17trampoline_kernelINS0_14default_configENS1_32segmented_reduce_config_selectorIdEEZNS1_21segmented_reduce_implIS3_PKdPdPKidN6hipcub16HIPCUB_304000_NS6detail27convert_result_type_wrapperIS8_S9_N2at6native12_GLOBAL__N_19CustomSumEEEEE10hipError_tPvRmT0_T1_jT2_SQ_T4_T3_P12ihipStream_tbEUlT_E_NS1_11comp_targetILNS1_3genE3ELNS1_11target_archE908ELNS1_3gpuE7ELNS1_3repE0EEENS1_30default_config_static_selectorELNS0_4arch9wavefront6targetE0EEEvSP_,comdat
.Lfunc_end21:
	.size	_ZN7rocprim17ROCPRIM_400000_NS6detail17trampoline_kernelINS0_14default_configENS1_32segmented_reduce_config_selectorIdEEZNS1_21segmented_reduce_implIS3_PKdPdPKidN6hipcub16HIPCUB_304000_NS6detail27convert_result_type_wrapperIS8_S9_N2at6native12_GLOBAL__N_19CustomSumEEEEE10hipError_tPvRmT0_T1_jT2_SQ_T4_T3_P12ihipStream_tbEUlT_E_NS1_11comp_targetILNS1_3genE3ELNS1_11target_archE908ELNS1_3gpuE7ELNS1_3repE0EEENS1_30default_config_static_selectorELNS0_4arch9wavefront6targetE0EEEvSP_, .Lfunc_end21-_ZN7rocprim17ROCPRIM_400000_NS6detail17trampoline_kernelINS0_14default_configENS1_32segmented_reduce_config_selectorIdEEZNS1_21segmented_reduce_implIS3_PKdPdPKidN6hipcub16HIPCUB_304000_NS6detail27convert_result_type_wrapperIS8_S9_N2at6native12_GLOBAL__N_19CustomSumEEEEE10hipError_tPvRmT0_T1_jT2_SQ_T4_T3_P12ihipStream_tbEUlT_E_NS1_11comp_targetILNS1_3genE3ELNS1_11target_archE908ELNS1_3gpuE7ELNS1_3repE0EEENS1_30default_config_static_selectorELNS0_4arch9wavefront6targetE0EEEvSP_
                                        ; -- End function
	.set _ZN7rocprim17ROCPRIM_400000_NS6detail17trampoline_kernelINS0_14default_configENS1_32segmented_reduce_config_selectorIdEEZNS1_21segmented_reduce_implIS3_PKdPdPKidN6hipcub16HIPCUB_304000_NS6detail27convert_result_type_wrapperIS8_S9_N2at6native12_GLOBAL__N_19CustomSumEEEEE10hipError_tPvRmT0_T1_jT2_SQ_T4_T3_P12ihipStream_tbEUlT_E_NS1_11comp_targetILNS1_3genE3ELNS1_11target_archE908ELNS1_3gpuE7ELNS1_3repE0EEENS1_30default_config_static_selectorELNS0_4arch9wavefront6targetE0EEEvSP_.num_vgpr, 0
	.set _ZN7rocprim17ROCPRIM_400000_NS6detail17trampoline_kernelINS0_14default_configENS1_32segmented_reduce_config_selectorIdEEZNS1_21segmented_reduce_implIS3_PKdPdPKidN6hipcub16HIPCUB_304000_NS6detail27convert_result_type_wrapperIS8_S9_N2at6native12_GLOBAL__N_19CustomSumEEEEE10hipError_tPvRmT0_T1_jT2_SQ_T4_T3_P12ihipStream_tbEUlT_E_NS1_11comp_targetILNS1_3genE3ELNS1_11target_archE908ELNS1_3gpuE7ELNS1_3repE0EEENS1_30default_config_static_selectorELNS0_4arch9wavefront6targetE0EEEvSP_.num_agpr, 0
	.set _ZN7rocprim17ROCPRIM_400000_NS6detail17trampoline_kernelINS0_14default_configENS1_32segmented_reduce_config_selectorIdEEZNS1_21segmented_reduce_implIS3_PKdPdPKidN6hipcub16HIPCUB_304000_NS6detail27convert_result_type_wrapperIS8_S9_N2at6native12_GLOBAL__N_19CustomSumEEEEE10hipError_tPvRmT0_T1_jT2_SQ_T4_T3_P12ihipStream_tbEUlT_E_NS1_11comp_targetILNS1_3genE3ELNS1_11target_archE908ELNS1_3gpuE7ELNS1_3repE0EEENS1_30default_config_static_selectorELNS0_4arch9wavefront6targetE0EEEvSP_.numbered_sgpr, 0
	.set _ZN7rocprim17ROCPRIM_400000_NS6detail17trampoline_kernelINS0_14default_configENS1_32segmented_reduce_config_selectorIdEEZNS1_21segmented_reduce_implIS3_PKdPdPKidN6hipcub16HIPCUB_304000_NS6detail27convert_result_type_wrapperIS8_S9_N2at6native12_GLOBAL__N_19CustomSumEEEEE10hipError_tPvRmT0_T1_jT2_SQ_T4_T3_P12ihipStream_tbEUlT_E_NS1_11comp_targetILNS1_3genE3ELNS1_11target_archE908ELNS1_3gpuE7ELNS1_3repE0EEENS1_30default_config_static_selectorELNS0_4arch9wavefront6targetE0EEEvSP_.num_named_barrier, 0
	.set _ZN7rocprim17ROCPRIM_400000_NS6detail17trampoline_kernelINS0_14default_configENS1_32segmented_reduce_config_selectorIdEEZNS1_21segmented_reduce_implIS3_PKdPdPKidN6hipcub16HIPCUB_304000_NS6detail27convert_result_type_wrapperIS8_S9_N2at6native12_GLOBAL__N_19CustomSumEEEEE10hipError_tPvRmT0_T1_jT2_SQ_T4_T3_P12ihipStream_tbEUlT_E_NS1_11comp_targetILNS1_3genE3ELNS1_11target_archE908ELNS1_3gpuE7ELNS1_3repE0EEENS1_30default_config_static_selectorELNS0_4arch9wavefront6targetE0EEEvSP_.private_seg_size, 0
	.set _ZN7rocprim17ROCPRIM_400000_NS6detail17trampoline_kernelINS0_14default_configENS1_32segmented_reduce_config_selectorIdEEZNS1_21segmented_reduce_implIS3_PKdPdPKidN6hipcub16HIPCUB_304000_NS6detail27convert_result_type_wrapperIS8_S9_N2at6native12_GLOBAL__N_19CustomSumEEEEE10hipError_tPvRmT0_T1_jT2_SQ_T4_T3_P12ihipStream_tbEUlT_E_NS1_11comp_targetILNS1_3genE3ELNS1_11target_archE908ELNS1_3gpuE7ELNS1_3repE0EEENS1_30default_config_static_selectorELNS0_4arch9wavefront6targetE0EEEvSP_.uses_vcc, 0
	.set _ZN7rocprim17ROCPRIM_400000_NS6detail17trampoline_kernelINS0_14default_configENS1_32segmented_reduce_config_selectorIdEEZNS1_21segmented_reduce_implIS3_PKdPdPKidN6hipcub16HIPCUB_304000_NS6detail27convert_result_type_wrapperIS8_S9_N2at6native12_GLOBAL__N_19CustomSumEEEEE10hipError_tPvRmT0_T1_jT2_SQ_T4_T3_P12ihipStream_tbEUlT_E_NS1_11comp_targetILNS1_3genE3ELNS1_11target_archE908ELNS1_3gpuE7ELNS1_3repE0EEENS1_30default_config_static_selectorELNS0_4arch9wavefront6targetE0EEEvSP_.uses_flat_scratch, 0
	.set _ZN7rocprim17ROCPRIM_400000_NS6detail17trampoline_kernelINS0_14default_configENS1_32segmented_reduce_config_selectorIdEEZNS1_21segmented_reduce_implIS3_PKdPdPKidN6hipcub16HIPCUB_304000_NS6detail27convert_result_type_wrapperIS8_S9_N2at6native12_GLOBAL__N_19CustomSumEEEEE10hipError_tPvRmT0_T1_jT2_SQ_T4_T3_P12ihipStream_tbEUlT_E_NS1_11comp_targetILNS1_3genE3ELNS1_11target_archE908ELNS1_3gpuE7ELNS1_3repE0EEENS1_30default_config_static_selectorELNS0_4arch9wavefront6targetE0EEEvSP_.has_dyn_sized_stack, 0
	.set _ZN7rocprim17ROCPRIM_400000_NS6detail17trampoline_kernelINS0_14default_configENS1_32segmented_reduce_config_selectorIdEEZNS1_21segmented_reduce_implIS3_PKdPdPKidN6hipcub16HIPCUB_304000_NS6detail27convert_result_type_wrapperIS8_S9_N2at6native12_GLOBAL__N_19CustomSumEEEEE10hipError_tPvRmT0_T1_jT2_SQ_T4_T3_P12ihipStream_tbEUlT_E_NS1_11comp_targetILNS1_3genE3ELNS1_11target_archE908ELNS1_3gpuE7ELNS1_3repE0EEENS1_30default_config_static_selectorELNS0_4arch9wavefront6targetE0EEEvSP_.has_recursion, 0
	.set _ZN7rocprim17ROCPRIM_400000_NS6detail17trampoline_kernelINS0_14default_configENS1_32segmented_reduce_config_selectorIdEEZNS1_21segmented_reduce_implIS3_PKdPdPKidN6hipcub16HIPCUB_304000_NS6detail27convert_result_type_wrapperIS8_S9_N2at6native12_GLOBAL__N_19CustomSumEEEEE10hipError_tPvRmT0_T1_jT2_SQ_T4_T3_P12ihipStream_tbEUlT_E_NS1_11comp_targetILNS1_3genE3ELNS1_11target_archE908ELNS1_3gpuE7ELNS1_3repE0EEENS1_30default_config_static_selectorELNS0_4arch9wavefront6targetE0EEEvSP_.has_indirect_call, 0
	.section	.AMDGPU.csdata,"",@progbits
; Kernel info:
; codeLenInByte = 0
; TotalNumSgprs: 0
; NumVgprs: 0
; ScratchSize: 0
; MemoryBound: 0
; FloatMode: 240
; IeeeMode: 1
; LDSByteSize: 0 bytes/workgroup (compile time only)
; SGPRBlocks: 0
; VGPRBlocks: 0
; NumSGPRsForWavesPerEU: 1
; NumVGPRsForWavesPerEU: 1
; NamedBarCnt: 0
; Occupancy: 16
; WaveLimiterHint : 0
; COMPUTE_PGM_RSRC2:SCRATCH_EN: 0
; COMPUTE_PGM_RSRC2:USER_SGPR: 2
; COMPUTE_PGM_RSRC2:TRAP_HANDLER: 0
; COMPUTE_PGM_RSRC2:TGID_X_EN: 1
; COMPUTE_PGM_RSRC2:TGID_Y_EN: 0
; COMPUTE_PGM_RSRC2:TGID_Z_EN: 0
; COMPUTE_PGM_RSRC2:TIDIG_COMP_CNT: 0
	.section	.text._ZN7rocprim17ROCPRIM_400000_NS6detail17trampoline_kernelINS0_14default_configENS1_32segmented_reduce_config_selectorIdEEZNS1_21segmented_reduce_implIS3_PKdPdPKidN6hipcub16HIPCUB_304000_NS6detail27convert_result_type_wrapperIS8_S9_N2at6native12_GLOBAL__N_19CustomSumEEEEE10hipError_tPvRmT0_T1_jT2_SQ_T4_T3_P12ihipStream_tbEUlT_E_NS1_11comp_targetILNS1_3genE2ELNS1_11target_archE906ELNS1_3gpuE6ELNS1_3repE0EEENS1_30default_config_static_selectorELNS0_4arch9wavefront6targetE0EEEvSP_,"axG",@progbits,_ZN7rocprim17ROCPRIM_400000_NS6detail17trampoline_kernelINS0_14default_configENS1_32segmented_reduce_config_selectorIdEEZNS1_21segmented_reduce_implIS3_PKdPdPKidN6hipcub16HIPCUB_304000_NS6detail27convert_result_type_wrapperIS8_S9_N2at6native12_GLOBAL__N_19CustomSumEEEEE10hipError_tPvRmT0_T1_jT2_SQ_T4_T3_P12ihipStream_tbEUlT_E_NS1_11comp_targetILNS1_3genE2ELNS1_11target_archE906ELNS1_3gpuE6ELNS1_3repE0EEENS1_30default_config_static_selectorELNS0_4arch9wavefront6targetE0EEEvSP_,comdat
	.globl	_ZN7rocprim17ROCPRIM_400000_NS6detail17trampoline_kernelINS0_14default_configENS1_32segmented_reduce_config_selectorIdEEZNS1_21segmented_reduce_implIS3_PKdPdPKidN6hipcub16HIPCUB_304000_NS6detail27convert_result_type_wrapperIS8_S9_N2at6native12_GLOBAL__N_19CustomSumEEEEE10hipError_tPvRmT0_T1_jT2_SQ_T4_T3_P12ihipStream_tbEUlT_E_NS1_11comp_targetILNS1_3genE2ELNS1_11target_archE906ELNS1_3gpuE6ELNS1_3repE0EEENS1_30default_config_static_selectorELNS0_4arch9wavefront6targetE0EEEvSP_ ; -- Begin function _ZN7rocprim17ROCPRIM_400000_NS6detail17trampoline_kernelINS0_14default_configENS1_32segmented_reduce_config_selectorIdEEZNS1_21segmented_reduce_implIS3_PKdPdPKidN6hipcub16HIPCUB_304000_NS6detail27convert_result_type_wrapperIS8_S9_N2at6native12_GLOBAL__N_19CustomSumEEEEE10hipError_tPvRmT0_T1_jT2_SQ_T4_T3_P12ihipStream_tbEUlT_E_NS1_11comp_targetILNS1_3genE2ELNS1_11target_archE906ELNS1_3gpuE6ELNS1_3repE0EEENS1_30default_config_static_selectorELNS0_4arch9wavefront6targetE0EEEvSP_
	.p2align	8
	.type	_ZN7rocprim17ROCPRIM_400000_NS6detail17trampoline_kernelINS0_14default_configENS1_32segmented_reduce_config_selectorIdEEZNS1_21segmented_reduce_implIS3_PKdPdPKidN6hipcub16HIPCUB_304000_NS6detail27convert_result_type_wrapperIS8_S9_N2at6native12_GLOBAL__N_19CustomSumEEEEE10hipError_tPvRmT0_T1_jT2_SQ_T4_T3_P12ihipStream_tbEUlT_E_NS1_11comp_targetILNS1_3genE2ELNS1_11target_archE906ELNS1_3gpuE6ELNS1_3repE0EEENS1_30default_config_static_selectorELNS0_4arch9wavefront6targetE0EEEvSP_,@function
_ZN7rocprim17ROCPRIM_400000_NS6detail17trampoline_kernelINS0_14default_configENS1_32segmented_reduce_config_selectorIdEEZNS1_21segmented_reduce_implIS3_PKdPdPKidN6hipcub16HIPCUB_304000_NS6detail27convert_result_type_wrapperIS8_S9_N2at6native12_GLOBAL__N_19CustomSumEEEEE10hipError_tPvRmT0_T1_jT2_SQ_T4_T3_P12ihipStream_tbEUlT_E_NS1_11comp_targetILNS1_3genE2ELNS1_11target_archE906ELNS1_3gpuE6ELNS1_3repE0EEENS1_30default_config_static_selectorELNS0_4arch9wavefront6targetE0EEEvSP_: ; @_ZN7rocprim17ROCPRIM_400000_NS6detail17trampoline_kernelINS0_14default_configENS1_32segmented_reduce_config_selectorIdEEZNS1_21segmented_reduce_implIS3_PKdPdPKidN6hipcub16HIPCUB_304000_NS6detail27convert_result_type_wrapperIS8_S9_N2at6native12_GLOBAL__N_19CustomSumEEEEE10hipError_tPvRmT0_T1_jT2_SQ_T4_T3_P12ihipStream_tbEUlT_E_NS1_11comp_targetILNS1_3genE2ELNS1_11target_archE906ELNS1_3gpuE6ELNS1_3repE0EEENS1_30default_config_static_selectorELNS0_4arch9wavefront6targetE0EEEvSP_
; %bb.0:
	.section	.rodata,"a",@progbits
	.p2align	6, 0x0
	.amdhsa_kernel _ZN7rocprim17ROCPRIM_400000_NS6detail17trampoline_kernelINS0_14default_configENS1_32segmented_reduce_config_selectorIdEEZNS1_21segmented_reduce_implIS3_PKdPdPKidN6hipcub16HIPCUB_304000_NS6detail27convert_result_type_wrapperIS8_S9_N2at6native12_GLOBAL__N_19CustomSumEEEEE10hipError_tPvRmT0_T1_jT2_SQ_T4_T3_P12ihipStream_tbEUlT_E_NS1_11comp_targetILNS1_3genE2ELNS1_11target_archE906ELNS1_3gpuE6ELNS1_3repE0EEENS1_30default_config_static_selectorELNS0_4arch9wavefront6targetE0EEEvSP_
		.amdhsa_group_segment_fixed_size 0
		.amdhsa_private_segment_fixed_size 0
		.amdhsa_kernarg_size 56
		.amdhsa_user_sgpr_count 2
		.amdhsa_user_sgpr_dispatch_ptr 0
		.amdhsa_user_sgpr_queue_ptr 0
		.amdhsa_user_sgpr_kernarg_segment_ptr 1
		.amdhsa_user_sgpr_dispatch_id 0
		.amdhsa_user_sgpr_kernarg_preload_length 0
		.amdhsa_user_sgpr_kernarg_preload_offset 0
		.amdhsa_user_sgpr_private_segment_size 0
		.amdhsa_wavefront_size32 1
		.amdhsa_uses_dynamic_stack 0
		.amdhsa_enable_private_segment 0
		.amdhsa_system_sgpr_workgroup_id_x 1
		.amdhsa_system_sgpr_workgroup_id_y 0
		.amdhsa_system_sgpr_workgroup_id_z 0
		.amdhsa_system_sgpr_workgroup_info 0
		.amdhsa_system_vgpr_workitem_id 0
		.amdhsa_next_free_vgpr 1
		.amdhsa_next_free_sgpr 1
		.amdhsa_named_barrier_count 0
		.amdhsa_reserve_vcc 0
		.amdhsa_float_round_mode_32 0
		.amdhsa_float_round_mode_16_64 0
		.amdhsa_float_denorm_mode_32 3
		.amdhsa_float_denorm_mode_16_64 3
		.amdhsa_fp16_overflow 0
		.amdhsa_memory_ordered 1
		.amdhsa_forward_progress 1
		.amdhsa_inst_pref_size 0
		.amdhsa_round_robin_scheduling 0
		.amdhsa_exception_fp_ieee_invalid_op 0
		.amdhsa_exception_fp_denorm_src 0
		.amdhsa_exception_fp_ieee_div_zero 0
		.amdhsa_exception_fp_ieee_overflow 0
		.amdhsa_exception_fp_ieee_underflow 0
		.amdhsa_exception_fp_ieee_inexact 0
		.amdhsa_exception_int_div_zero 0
	.end_amdhsa_kernel
	.section	.text._ZN7rocprim17ROCPRIM_400000_NS6detail17trampoline_kernelINS0_14default_configENS1_32segmented_reduce_config_selectorIdEEZNS1_21segmented_reduce_implIS3_PKdPdPKidN6hipcub16HIPCUB_304000_NS6detail27convert_result_type_wrapperIS8_S9_N2at6native12_GLOBAL__N_19CustomSumEEEEE10hipError_tPvRmT0_T1_jT2_SQ_T4_T3_P12ihipStream_tbEUlT_E_NS1_11comp_targetILNS1_3genE2ELNS1_11target_archE906ELNS1_3gpuE6ELNS1_3repE0EEENS1_30default_config_static_selectorELNS0_4arch9wavefront6targetE0EEEvSP_,"axG",@progbits,_ZN7rocprim17ROCPRIM_400000_NS6detail17trampoline_kernelINS0_14default_configENS1_32segmented_reduce_config_selectorIdEEZNS1_21segmented_reduce_implIS3_PKdPdPKidN6hipcub16HIPCUB_304000_NS6detail27convert_result_type_wrapperIS8_S9_N2at6native12_GLOBAL__N_19CustomSumEEEEE10hipError_tPvRmT0_T1_jT2_SQ_T4_T3_P12ihipStream_tbEUlT_E_NS1_11comp_targetILNS1_3genE2ELNS1_11target_archE906ELNS1_3gpuE6ELNS1_3repE0EEENS1_30default_config_static_selectorELNS0_4arch9wavefront6targetE0EEEvSP_,comdat
.Lfunc_end22:
	.size	_ZN7rocprim17ROCPRIM_400000_NS6detail17trampoline_kernelINS0_14default_configENS1_32segmented_reduce_config_selectorIdEEZNS1_21segmented_reduce_implIS3_PKdPdPKidN6hipcub16HIPCUB_304000_NS6detail27convert_result_type_wrapperIS8_S9_N2at6native12_GLOBAL__N_19CustomSumEEEEE10hipError_tPvRmT0_T1_jT2_SQ_T4_T3_P12ihipStream_tbEUlT_E_NS1_11comp_targetILNS1_3genE2ELNS1_11target_archE906ELNS1_3gpuE6ELNS1_3repE0EEENS1_30default_config_static_selectorELNS0_4arch9wavefront6targetE0EEEvSP_, .Lfunc_end22-_ZN7rocprim17ROCPRIM_400000_NS6detail17trampoline_kernelINS0_14default_configENS1_32segmented_reduce_config_selectorIdEEZNS1_21segmented_reduce_implIS3_PKdPdPKidN6hipcub16HIPCUB_304000_NS6detail27convert_result_type_wrapperIS8_S9_N2at6native12_GLOBAL__N_19CustomSumEEEEE10hipError_tPvRmT0_T1_jT2_SQ_T4_T3_P12ihipStream_tbEUlT_E_NS1_11comp_targetILNS1_3genE2ELNS1_11target_archE906ELNS1_3gpuE6ELNS1_3repE0EEENS1_30default_config_static_selectorELNS0_4arch9wavefront6targetE0EEEvSP_
                                        ; -- End function
	.set _ZN7rocprim17ROCPRIM_400000_NS6detail17trampoline_kernelINS0_14default_configENS1_32segmented_reduce_config_selectorIdEEZNS1_21segmented_reduce_implIS3_PKdPdPKidN6hipcub16HIPCUB_304000_NS6detail27convert_result_type_wrapperIS8_S9_N2at6native12_GLOBAL__N_19CustomSumEEEEE10hipError_tPvRmT0_T1_jT2_SQ_T4_T3_P12ihipStream_tbEUlT_E_NS1_11comp_targetILNS1_3genE2ELNS1_11target_archE906ELNS1_3gpuE6ELNS1_3repE0EEENS1_30default_config_static_selectorELNS0_4arch9wavefront6targetE0EEEvSP_.num_vgpr, 0
	.set _ZN7rocprim17ROCPRIM_400000_NS6detail17trampoline_kernelINS0_14default_configENS1_32segmented_reduce_config_selectorIdEEZNS1_21segmented_reduce_implIS3_PKdPdPKidN6hipcub16HIPCUB_304000_NS6detail27convert_result_type_wrapperIS8_S9_N2at6native12_GLOBAL__N_19CustomSumEEEEE10hipError_tPvRmT0_T1_jT2_SQ_T4_T3_P12ihipStream_tbEUlT_E_NS1_11comp_targetILNS1_3genE2ELNS1_11target_archE906ELNS1_3gpuE6ELNS1_3repE0EEENS1_30default_config_static_selectorELNS0_4arch9wavefront6targetE0EEEvSP_.num_agpr, 0
	.set _ZN7rocprim17ROCPRIM_400000_NS6detail17trampoline_kernelINS0_14default_configENS1_32segmented_reduce_config_selectorIdEEZNS1_21segmented_reduce_implIS3_PKdPdPKidN6hipcub16HIPCUB_304000_NS6detail27convert_result_type_wrapperIS8_S9_N2at6native12_GLOBAL__N_19CustomSumEEEEE10hipError_tPvRmT0_T1_jT2_SQ_T4_T3_P12ihipStream_tbEUlT_E_NS1_11comp_targetILNS1_3genE2ELNS1_11target_archE906ELNS1_3gpuE6ELNS1_3repE0EEENS1_30default_config_static_selectorELNS0_4arch9wavefront6targetE0EEEvSP_.numbered_sgpr, 0
	.set _ZN7rocprim17ROCPRIM_400000_NS6detail17trampoline_kernelINS0_14default_configENS1_32segmented_reduce_config_selectorIdEEZNS1_21segmented_reduce_implIS3_PKdPdPKidN6hipcub16HIPCUB_304000_NS6detail27convert_result_type_wrapperIS8_S9_N2at6native12_GLOBAL__N_19CustomSumEEEEE10hipError_tPvRmT0_T1_jT2_SQ_T4_T3_P12ihipStream_tbEUlT_E_NS1_11comp_targetILNS1_3genE2ELNS1_11target_archE906ELNS1_3gpuE6ELNS1_3repE0EEENS1_30default_config_static_selectorELNS0_4arch9wavefront6targetE0EEEvSP_.num_named_barrier, 0
	.set _ZN7rocprim17ROCPRIM_400000_NS6detail17trampoline_kernelINS0_14default_configENS1_32segmented_reduce_config_selectorIdEEZNS1_21segmented_reduce_implIS3_PKdPdPKidN6hipcub16HIPCUB_304000_NS6detail27convert_result_type_wrapperIS8_S9_N2at6native12_GLOBAL__N_19CustomSumEEEEE10hipError_tPvRmT0_T1_jT2_SQ_T4_T3_P12ihipStream_tbEUlT_E_NS1_11comp_targetILNS1_3genE2ELNS1_11target_archE906ELNS1_3gpuE6ELNS1_3repE0EEENS1_30default_config_static_selectorELNS0_4arch9wavefront6targetE0EEEvSP_.private_seg_size, 0
	.set _ZN7rocprim17ROCPRIM_400000_NS6detail17trampoline_kernelINS0_14default_configENS1_32segmented_reduce_config_selectorIdEEZNS1_21segmented_reduce_implIS3_PKdPdPKidN6hipcub16HIPCUB_304000_NS6detail27convert_result_type_wrapperIS8_S9_N2at6native12_GLOBAL__N_19CustomSumEEEEE10hipError_tPvRmT0_T1_jT2_SQ_T4_T3_P12ihipStream_tbEUlT_E_NS1_11comp_targetILNS1_3genE2ELNS1_11target_archE906ELNS1_3gpuE6ELNS1_3repE0EEENS1_30default_config_static_selectorELNS0_4arch9wavefront6targetE0EEEvSP_.uses_vcc, 0
	.set _ZN7rocprim17ROCPRIM_400000_NS6detail17trampoline_kernelINS0_14default_configENS1_32segmented_reduce_config_selectorIdEEZNS1_21segmented_reduce_implIS3_PKdPdPKidN6hipcub16HIPCUB_304000_NS6detail27convert_result_type_wrapperIS8_S9_N2at6native12_GLOBAL__N_19CustomSumEEEEE10hipError_tPvRmT0_T1_jT2_SQ_T4_T3_P12ihipStream_tbEUlT_E_NS1_11comp_targetILNS1_3genE2ELNS1_11target_archE906ELNS1_3gpuE6ELNS1_3repE0EEENS1_30default_config_static_selectorELNS0_4arch9wavefront6targetE0EEEvSP_.uses_flat_scratch, 0
	.set _ZN7rocprim17ROCPRIM_400000_NS6detail17trampoline_kernelINS0_14default_configENS1_32segmented_reduce_config_selectorIdEEZNS1_21segmented_reduce_implIS3_PKdPdPKidN6hipcub16HIPCUB_304000_NS6detail27convert_result_type_wrapperIS8_S9_N2at6native12_GLOBAL__N_19CustomSumEEEEE10hipError_tPvRmT0_T1_jT2_SQ_T4_T3_P12ihipStream_tbEUlT_E_NS1_11comp_targetILNS1_3genE2ELNS1_11target_archE906ELNS1_3gpuE6ELNS1_3repE0EEENS1_30default_config_static_selectorELNS0_4arch9wavefront6targetE0EEEvSP_.has_dyn_sized_stack, 0
	.set _ZN7rocprim17ROCPRIM_400000_NS6detail17trampoline_kernelINS0_14default_configENS1_32segmented_reduce_config_selectorIdEEZNS1_21segmented_reduce_implIS3_PKdPdPKidN6hipcub16HIPCUB_304000_NS6detail27convert_result_type_wrapperIS8_S9_N2at6native12_GLOBAL__N_19CustomSumEEEEE10hipError_tPvRmT0_T1_jT2_SQ_T4_T3_P12ihipStream_tbEUlT_E_NS1_11comp_targetILNS1_3genE2ELNS1_11target_archE906ELNS1_3gpuE6ELNS1_3repE0EEENS1_30default_config_static_selectorELNS0_4arch9wavefront6targetE0EEEvSP_.has_recursion, 0
	.set _ZN7rocprim17ROCPRIM_400000_NS6detail17trampoline_kernelINS0_14default_configENS1_32segmented_reduce_config_selectorIdEEZNS1_21segmented_reduce_implIS3_PKdPdPKidN6hipcub16HIPCUB_304000_NS6detail27convert_result_type_wrapperIS8_S9_N2at6native12_GLOBAL__N_19CustomSumEEEEE10hipError_tPvRmT0_T1_jT2_SQ_T4_T3_P12ihipStream_tbEUlT_E_NS1_11comp_targetILNS1_3genE2ELNS1_11target_archE906ELNS1_3gpuE6ELNS1_3repE0EEENS1_30default_config_static_selectorELNS0_4arch9wavefront6targetE0EEEvSP_.has_indirect_call, 0
	.section	.AMDGPU.csdata,"",@progbits
; Kernel info:
; codeLenInByte = 0
; TotalNumSgprs: 0
; NumVgprs: 0
; ScratchSize: 0
; MemoryBound: 0
; FloatMode: 240
; IeeeMode: 1
; LDSByteSize: 0 bytes/workgroup (compile time only)
; SGPRBlocks: 0
; VGPRBlocks: 0
; NumSGPRsForWavesPerEU: 1
; NumVGPRsForWavesPerEU: 1
; NamedBarCnt: 0
; Occupancy: 16
; WaveLimiterHint : 0
; COMPUTE_PGM_RSRC2:SCRATCH_EN: 0
; COMPUTE_PGM_RSRC2:USER_SGPR: 2
; COMPUTE_PGM_RSRC2:TRAP_HANDLER: 0
; COMPUTE_PGM_RSRC2:TGID_X_EN: 1
; COMPUTE_PGM_RSRC2:TGID_Y_EN: 0
; COMPUTE_PGM_RSRC2:TGID_Z_EN: 0
; COMPUTE_PGM_RSRC2:TIDIG_COMP_CNT: 0
	.section	.text._ZN7rocprim17ROCPRIM_400000_NS6detail17trampoline_kernelINS0_14default_configENS1_32segmented_reduce_config_selectorIdEEZNS1_21segmented_reduce_implIS3_PKdPdPKidN6hipcub16HIPCUB_304000_NS6detail27convert_result_type_wrapperIS8_S9_N2at6native12_GLOBAL__N_19CustomSumEEEEE10hipError_tPvRmT0_T1_jT2_SQ_T4_T3_P12ihipStream_tbEUlT_E_NS1_11comp_targetILNS1_3genE9ELNS1_11target_archE1100ELNS1_3gpuE3ELNS1_3repE0EEENS1_30default_config_static_selectorELNS0_4arch9wavefront6targetE0EEEvSP_,"axG",@progbits,_ZN7rocprim17ROCPRIM_400000_NS6detail17trampoline_kernelINS0_14default_configENS1_32segmented_reduce_config_selectorIdEEZNS1_21segmented_reduce_implIS3_PKdPdPKidN6hipcub16HIPCUB_304000_NS6detail27convert_result_type_wrapperIS8_S9_N2at6native12_GLOBAL__N_19CustomSumEEEEE10hipError_tPvRmT0_T1_jT2_SQ_T4_T3_P12ihipStream_tbEUlT_E_NS1_11comp_targetILNS1_3genE9ELNS1_11target_archE1100ELNS1_3gpuE3ELNS1_3repE0EEENS1_30default_config_static_selectorELNS0_4arch9wavefront6targetE0EEEvSP_,comdat
	.globl	_ZN7rocprim17ROCPRIM_400000_NS6detail17trampoline_kernelINS0_14default_configENS1_32segmented_reduce_config_selectorIdEEZNS1_21segmented_reduce_implIS3_PKdPdPKidN6hipcub16HIPCUB_304000_NS6detail27convert_result_type_wrapperIS8_S9_N2at6native12_GLOBAL__N_19CustomSumEEEEE10hipError_tPvRmT0_T1_jT2_SQ_T4_T3_P12ihipStream_tbEUlT_E_NS1_11comp_targetILNS1_3genE9ELNS1_11target_archE1100ELNS1_3gpuE3ELNS1_3repE0EEENS1_30default_config_static_selectorELNS0_4arch9wavefront6targetE0EEEvSP_ ; -- Begin function _ZN7rocprim17ROCPRIM_400000_NS6detail17trampoline_kernelINS0_14default_configENS1_32segmented_reduce_config_selectorIdEEZNS1_21segmented_reduce_implIS3_PKdPdPKidN6hipcub16HIPCUB_304000_NS6detail27convert_result_type_wrapperIS8_S9_N2at6native12_GLOBAL__N_19CustomSumEEEEE10hipError_tPvRmT0_T1_jT2_SQ_T4_T3_P12ihipStream_tbEUlT_E_NS1_11comp_targetILNS1_3genE9ELNS1_11target_archE1100ELNS1_3gpuE3ELNS1_3repE0EEENS1_30default_config_static_selectorELNS0_4arch9wavefront6targetE0EEEvSP_
	.p2align	8
	.type	_ZN7rocprim17ROCPRIM_400000_NS6detail17trampoline_kernelINS0_14default_configENS1_32segmented_reduce_config_selectorIdEEZNS1_21segmented_reduce_implIS3_PKdPdPKidN6hipcub16HIPCUB_304000_NS6detail27convert_result_type_wrapperIS8_S9_N2at6native12_GLOBAL__N_19CustomSumEEEEE10hipError_tPvRmT0_T1_jT2_SQ_T4_T3_P12ihipStream_tbEUlT_E_NS1_11comp_targetILNS1_3genE9ELNS1_11target_archE1100ELNS1_3gpuE3ELNS1_3repE0EEENS1_30default_config_static_selectorELNS0_4arch9wavefront6targetE0EEEvSP_,@function
_ZN7rocprim17ROCPRIM_400000_NS6detail17trampoline_kernelINS0_14default_configENS1_32segmented_reduce_config_selectorIdEEZNS1_21segmented_reduce_implIS3_PKdPdPKidN6hipcub16HIPCUB_304000_NS6detail27convert_result_type_wrapperIS8_S9_N2at6native12_GLOBAL__N_19CustomSumEEEEE10hipError_tPvRmT0_T1_jT2_SQ_T4_T3_P12ihipStream_tbEUlT_E_NS1_11comp_targetILNS1_3genE9ELNS1_11target_archE1100ELNS1_3gpuE3ELNS1_3repE0EEENS1_30default_config_static_selectorELNS0_4arch9wavefront6targetE0EEEvSP_: ; @_ZN7rocprim17ROCPRIM_400000_NS6detail17trampoline_kernelINS0_14default_configENS1_32segmented_reduce_config_selectorIdEEZNS1_21segmented_reduce_implIS3_PKdPdPKidN6hipcub16HIPCUB_304000_NS6detail27convert_result_type_wrapperIS8_S9_N2at6native12_GLOBAL__N_19CustomSumEEEEE10hipError_tPvRmT0_T1_jT2_SQ_T4_T3_P12ihipStream_tbEUlT_E_NS1_11comp_targetILNS1_3genE9ELNS1_11target_archE1100ELNS1_3gpuE3ELNS1_3repE0EEENS1_30default_config_static_selectorELNS0_4arch9wavefront6targetE0EEEvSP_
; %bb.0:
	.section	.rodata,"a",@progbits
	.p2align	6, 0x0
	.amdhsa_kernel _ZN7rocprim17ROCPRIM_400000_NS6detail17trampoline_kernelINS0_14default_configENS1_32segmented_reduce_config_selectorIdEEZNS1_21segmented_reduce_implIS3_PKdPdPKidN6hipcub16HIPCUB_304000_NS6detail27convert_result_type_wrapperIS8_S9_N2at6native12_GLOBAL__N_19CustomSumEEEEE10hipError_tPvRmT0_T1_jT2_SQ_T4_T3_P12ihipStream_tbEUlT_E_NS1_11comp_targetILNS1_3genE9ELNS1_11target_archE1100ELNS1_3gpuE3ELNS1_3repE0EEENS1_30default_config_static_selectorELNS0_4arch9wavefront6targetE0EEEvSP_
		.amdhsa_group_segment_fixed_size 0
		.amdhsa_private_segment_fixed_size 0
		.amdhsa_kernarg_size 56
		.amdhsa_user_sgpr_count 2
		.amdhsa_user_sgpr_dispatch_ptr 0
		.amdhsa_user_sgpr_queue_ptr 0
		.amdhsa_user_sgpr_kernarg_segment_ptr 1
		.amdhsa_user_sgpr_dispatch_id 0
		.amdhsa_user_sgpr_kernarg_preload_length 0
		.amdhsa_user_sgpr_kernarg_preload_offset 0
		.amdhsa_user_sgpr_private_segment_size 0
		.amdhsa_wavefront_size32 1
		.amdhsa_uses_dynamic_stack 0
		.amdhsa_enable_private_segment 0
		.amdhsa_system_sgpr_workgroup_id_x 1
		.amdhsa_system_sgpr_workgroup_id_y 0
		.amdhsa_system_sgpr_workgroup_id_z 0
		.amdhsa_system_sgpr_workgroup_info 0
		.amdhsa_system_vgpr_workitem_id 0
		.amdhsa_next_free_vgpr 1
		.amdhsa_next_free_sgpr 1
		.amdhsa_named_barrier_count 0
		.amdhsa_reserve_vcc 0
		.amdhsa_float_round_mode_32 0
		.amdhsa_float_round_mode_16_64 0
		.amdhsa_float_denorm_mode_32 3
		.amdhsa_float_denorm_mode_16_64 3
		.amdhsa_fp16_overflow 0
		.amdhsa_memory_ordered 1
		.amdhsa_forward_progress 1
		.amdhsa_inst_pref_size 0
		.amdhsa_round_robin_scheduling 0
		.amdhsa_exception_fp_ieee_invalid_op 0
		.amdhsa_exception_fp_denorm_src 0
		.amdhsa_exception_fp_ieee_div_zero 0
		.amdhsa_exception_fp_ieee_overflow 0
		.amdhsa_exception_fp_ieee_underflow 0
		.amdhsa_exception_fp_ieee_inexact 0
		.amdhsa_exception_int_div_zero 0
	.end_amdhsa_kernel
	.section	.text._ZN7rocprim17ROCPRIM_400000_NS6detail17trampoline_kernelINS0_14default_configENS1_32segmented_reduce_config_selectorIdEEZNS1_21segmented_reduce_implIS3_PKdPdPKidN6hipcub16HIPCUB_304000_NS6detail27convert_result_type_wrapperIS8_S9_N2at6native12_GLOBAL__N_19CustomSumEEEEE10hipError_tPvRmT0_T1_jT2_SQ_T4_T3_P12ihipStream_tbEUlT_E_NS1_11comp_targetILNS1_3genE9ELNS1_11target_archE1100ELNS1_3gpuE3ELNS1_3repE0EEENS1_30default_config_static_selectorELNS0_4arch9wavefront6targetE0EEEvSP_,"axG",@progbits,_ZN7rocprim17ROCPRIM_400000_NS6detail17trampoline_kernelINS0_14default_configENS1_32segmented_reduce_config_selectorIdEEZNS1_21segmented_reduce_implIS3_PKdPdPKidN6hipcub16HIPCUB_304000_NS6detail27convert_result_type_wrapperIS8_S9_N2at6native12_GLOBAL__N_19CustomSumEEEEE10hipError_tPvRmT0_T1_jT2_SQ_T4_T3_P12ihipStream_tbEUlT_E_NS1_11comp_targetILNS1_3genE9ELNS1_11target_archE1100ELNS1_3gpuE3ELNS1_3repE0EEENS1_30default_config_static_selectorELNS0_4arch9wavefront6targetE0EEEvSP_,comdat
.Lfunc_end23:
	.size	_ZN7rocprim17ROCPRIM_400000_NS6detail17trampoline_kernelINS0_14default_configENS1_32segmented_reduce_config_selectorIdEEZNS1_21segmented_reduce_implIS3_PKdPdPKidN6hipcub16HIPCUB_304000_NS6detail27convert_result_type_wrapperIS8_S9_N2at6native12_GLOBAL__N_19CustomSumEEEEE10hipError_tPvRmT0_T1_jT2_SQ_T4_T3_P12ihipStream_tbEUlT_E_NS1_11comp_targetILNS1_3genE9ELNS1_11target_archE1100ELNS1_3gpuE3ELNS1_3repE0EEENS1_30default_config_static_selectorELNS0_4arch9wavefront6targetE0EEEvSP_, .Lfunc_end23-_ZN7rocprim17ROCPRIM_400000_NS6detail17trampoline_kernelINS0_14default_configENS1_32segmented_reduce_config_selectorIdEEZNS1_21segmented_reduce_implIS3_PKdPdPKidN6hipcub16HIPCUB_304000_NS6detail27convert_result_type_wrapperIS8_S9_N2at6native12_GLOBAL__N_19CustomSumEEEEE10hipError_tPvRmT0_T1_jT2_SQ_T4_T3_P12ihipStream_tbEUlT_E_NS1_11comp_targetILNS1_3genE9ELNS1_11target_archE1100ELNS1_3gpuE3ELNS1_3repE0EEENS1_30default_config_static_selectorELNS0_4arch9wavefront6targetE0EEEvSP_
                                        ; -- End function
	.set _ZN7rocprim17ROCPRIM_400000_NS6detail17trampoline_kernelINS0_14default_configENS1_32segmented_reduce_config_selectorIdEEZNS1_21segmented_reduce_implIS3_PKdPdPKidN6hipcub16HIPCUB_304000_NS6detail27convert_result_type_wrapperIS8_S9_N2at6native12_GLOBAL__N_19CustomSumEEEEE10hipError_tPvRmT0_T1_jT2_SQ_T4_T3_P12ihipStream_tbEUlT_E_NS1_11comp_targetILNS1_3genE9ELNS1_11target_archE1100ELNS1_3gpuE3ELNS1_3repE0EEENS1_30default_config_static_selectorELNS0_4arch9wavefront6targetE0EEEvSP_.num_vgpr, 0
	.set _ZN7rocprim17ROCPRIM_400000_NS6detail17trampoline_kernelINS0_14default_configENS1_32segmented_reduce_config_selectorIdEEZNS1_21segmented_reduce_implIS3_PKdPdPKidN6hipcub16HIPCUB_304000_NS6detail27convert_result_type_wrapperIS8_S9_N2at6native12_GLOBAL__N_19CustomSumEEEEE10hipError_tPvRmT0_T1_jT2_SQ_T4_T3_P12ihipStream_tbEUlT_E_NS1_11comp_targetILNS1_3genE9ELNS1_11target_archE1100ELNS1_3gpuE3ELNS1_3repE0EEENS1_30default_config_static_selectorELNS0_4arch9wavefront6targetE0EEEvSP_.num_agpr, 0
	.set _ZN7rocprim17ROCPRIM_400000_NS6detail17trampoline_kernelINS0_14default_configENS1_32segmented_reduce_config_selectorIdEEZNS1_21segmented_reduce_implIS3_PKdPdPKidN6hipcub16HIPCUB_304000_NS6detail27convert_result_type_wrapperIS8_S9_N2at6native12_GLOBAL__N_19CustomSumEEEEE10hipError_tPvRmT0_T1_jT2_SQ_T4_T3_P12ihipStream_tbEUlT_E_NS1_11comp_targetILNS1_3genE9ELNS1_11target_archE1100ELNS1_3gpuE3ELNS1_3repE0EEENS1_30default_config_static_selectorELNS0_4arch9wavefront6targetE0EEEvSP_.numbered_sgpr, 0
	.set _ZN7rocprim17ROCPRIM_400000_NS6detail17trampoline_kernelINS0_14default_configENS1_32segmented_reduce_config_selectorIdEEZNS1_21segmented_reduce_implIS3_PKdPdPKidN6hipcub16HIPCUB_304000_NS6detail27convert_result_type_wrapperIS8_S9_N2at6native12_GLOBAL__N_19CustomSumEEEEE10hipError_tPvRmT0_T1_jT2_SQ_T4_T3_P12ihipStream_tbEUlT_E_NS1_11comp_targetILNS1_3genE9ELNS1_11target_archE1100ELNS1_3gpuE3ELNS1_3repE0EEENS1_30default_config_static_selectorELNS0_4arch9wavefront6targetE0EEEvSP_.num_named_barrier, 0
	.set _ZN7rocprim17ROCPRIM_400000_NS6detail17trampoline_kernelINS0_14default_configENS1_32segmented_reduce_config_selectorIdEEZNS1_21segmented_reduce_implIS3_PKdPdPKidN6hipcub16HIPCUB_304000_NS6detail27convert_result_type_wrapperIS8_S9_N2at6native12_GLOBAL__N_19CustomSumEEEEE10hipError_tPvRmT0_T1_jT2_SQ_T4_T3_P12ihipStream_tbEUlT_E_NS1_11comp_targetILNS1_3genE9ELNS1_11target_archE1100ELNS1_3gpuE3ELNS1_3repE0EEENS1_30default_config_static_selectorELNS0_4arch9wavefront6targetE0EEEvSP_.private_seg_size, 0
	.set _ZN7rocprim17ROCPRIM_400000_NS6detail17trampoline_kernelINS0_14default_configENS1_32segmented_reduce_config_selectorIdEEZNS1_21segmented_reduce_implIS3_PKdPdPKidN6hipcub16HIPCUB_304000_NS6detail27convert_result_type_wrapperIS8_S9_N2at6native12_GLOBAL__N_19CustomSumEEEEE10hipError_tPvRmT0_T1_jT2_SQ_T4_T3_P12ihipStream_tbEUlT_E_NS1_11comp_targetILNS1_3genE9ELNS1_11target_archE1100ELNS1_3gpuE3ELNS1_3repE0EEENS1_30default_config_static_selectorELNS0_4arch9wavefront6targetE0EEEvSP_.uses_vcc, 0
	.set _ZN7rocprim17ROCPRIM_400000_NS6detail17trampoline_kernelINS0_14default_configENS1_32segmented_reduce_config_selectorIdEEZNS1_21segmented_reduce_implIS3_PKdPdPKidN6hipcub16HIPCUB_304000_NS6detail27convert_result_type_wrapperIS8_S9_N2at6native12_GLOBAL__N_19CustomSumEEEEE10hipError_tPvRmT0_T1_jT2_SQ_T4_T3_P12ihipStream_tbEUlT_E_NS1_11comp_targetILNS1_3genE9ELNS1_11target_archE1100ELNS1_3gpuE3ELNS1_3repE0EEENS1_30default_config_static_selectorELNS0_4arch9wavefront6targetE0EEEvSP_.uses_flat_scratch, 0
	.set _ZN7rocprim17ROCPRIM_400000_NS6detail17trampoline_kernelINS0_14default_configENS1_32segmented_reduce_config_selectorIdEEZNS1_21segmented_reduce_implIS3_PKdPdPKidN6hipcub16HIPCUB_304000_NS6detail27convert_result_type_wrapperIS8_S9_N2at6native12_GLOBAL__N_19CustomSumEEEEE10hipError_tPvRmT0_T1_jT2_SQ_T4_T3_P12ihipStream_tbEUlT_E_NS1_11comp_targetILNS1_3genE9ELNS1_11target_archE1100ELNS1_3gpuE3ELNS1_3repE0EEENS1_30default_config_static_selectorELNS0_4arch9wavefront6targetE0EEEvSP_.has_dyn_sized_stack, 0
	.set _ZN7rocprim17ROCPRIM_400000_NS6detail17trampoline_kernelINS0_14default_configENS1_32segmented_reduce_config_selectorIdEEZNS1_21segmented_reduce_implIS3_PKdPdPKidN6hipcub16HIPCUB_304000_NS6detail27convert_result_type_wrapperIS8_S9_N2at6native12_GLOBAL__N_19CustomSumEEEEE10hipError_tPvRmT0_T1_jT2_SQ_T4_T3_P12ihipStream_tbEUlT_E_NS1_11comp_targetILNS1_3genE9ELNS1_11target_archE1100ELNS1_3gpuE3ELNS1_3repE0EEENS1_30default_config_static_selectorELNS0_4arch9wavefront6targetE0EEEvSP_.has_recursion, 0
	.set _ZN7rocprim17ROCPRIM_400000_NS6detail17trampoline_kernelINS0_14default_configENS1_32segmented_reduce_config_selectorIdEEZNS1_21segmented_reduce_implIS3_PKdPdPKidN6hipcub16HIPCUB_304000_NS6detail27convert_result_type_wrapperIS8_S9_N2at6native12_GLOBAL__N_19CustomSumEEEEE10hipError_tPvRmT0_T1_jT2_SQ_T4_T3_P12ihipStream_tbEUlT_E_NS1_11comp_targetILNS1_3genE9ELNS1_11target_archE1100ELNS1_3gpuE3ELNS1_3repE0EEENS1_30default_config_static_selectorELNS0_4arch9wavefront6targetE0EEEvSP_.has_indirect_call, 0
	.section	.AMDGPU.csdata,"",@progbits
; Kernel info:
; codeLenInByte = 0
; TotalNumSgprs: 0
; NumVgprs: 0
; ScratchSize: 0
; MemoryBound: 0
; FloatMode: 240
; IeeeMode: 1
; LDSByteSize: 0 bytes/workgroup (compile time only)
; SGPRBlocks: 0
; VGPRBlocks: 0
; NumSGPRsForWavesPerEU: 1
; NumVGPRsForWavesPerEU: 1
; NamedBarCnt: 0
; Occupancy: 16
; WaveLimiterHint : 0
; COMPUTE_PGM_RSRC2:SCRATCH_EN: 0
; COMPUTE_PGM_RSRC2:USER_SGPR: 2
; COMPUTE_PGM_RSRC2:TRAP_HANDLER: 0
; COMPUTE_PGM_RSRC2:TGID_X_EN: 1
; COMPUTE_PGM_RSRC2:TGID_Y_EN: 0
; COMPUTE_PGM_RSRC2:TGID_Z_EN: 0
; COMPUTE_PGM_RSRC2:TIDIG_COMP_CNT: 0
	.section	.text._ZN7rocprim17ROCPRIM_400000_NS6detail17trampoline_kernelINS0_14default_configENS1_32segmented_reduce_config_selectorIdEEZNS1_21segmented_reduce_implIS3_PKdPdPKidN6hipcub16HIPCUB_304000_NS6detail27convert_result_type_wrapperIS8_S9_N2at6native12_GLOBAL__N_19CustomSumEEEEE10hipError_tPvRmT0_T1_jT2_SQ_T4_T3_P12ihipStream_tbEUlT_E_NS1_11comp_targetILNS1_3genE8ELNS1_11target_archE1030ELNS1_3gpuE2ELNS1_3repE0EEENS1_30default_config_static_selectorELNS0_4arch9wavefront6targetE0EEEvSP_,"axG",@progbits,_ZN7rocprim17ROCPRIM_400000_NS6detail17trampoline_kernelINS0_14default_configENS1_32segmented_reduce_config_selectorIdEEZNS1_21segmented_reduce_implIS3_PKdPdPKidN6hipcub16HIPCUB_304000_NS6detail27convert_result_type_wrapperIS8_S9_N2at6native12_GLOBAL__N_19CustomSumEEEEE10hipError_tPvRmT0_T1_jT2_SQ_T4_T3_P12ihipStream_tbEUlT_E_NS1_11comp_targetILNS1_3genE8ELNS1_11target_archE1030ELNS1_3gpuE2ELNS1_3repE0EEENS1_30default_config_static_selectorELNS0_4arch9wavefront6targetE0EEEvSP_,comdat
	.globl	_ZN7rocprim17ROCPRIM_400000_NS6detail17trampoline_kernelINS0_14default_configENS1_32segmented_reduce_config_selectorIdEEZNS1_21segmented_reduce_implIS3_PKdPdPKidN6hipcub16HIPCUB_304000_NS6detail27convert_result_type_wrapperIS8_S9_N2at6native12_GLOBAL__N_19CustomSumEEEEE10hipError_tPvRmT0_T1_jT2_SQ_T4_T3_P12ihipStream_tbEUlT_E_NS1_11comp_targetILNS1_3genE8ELNS1_11target_archE1030ELNS1_3gpuE2ELNS1_3repE0EEENS1_30default_config_static_selectorELNS0_4arch9wavefront6targetE0EEEvSP_ ; -- Begin function _ZN7rocprim17ROCPRIM_400000_NS6detail17trampoline_kernelINS0_14default_configENS1_32segmented_reduce_config_selectorIdEEZNS1_21segmented_reduce_implIS3_PKdPdPKidN6hipcub16HIPCUB_304000_NS6detail27convert_result_type_wrapperIS8_S9_N2at6native12_GLOBAL__N_19CustomSumEEEEE10hipError_tPvRmT0_T1_jT2_SQ_T4_T3_P12ihipStream_tbEUlT_E_NS1_11comp_targetILNS1_3genE8ELNS1_11target_archE1030ELNS1_3gpuE2ELNS1_3repE0EEENS1_30default_config_static_selectorELNS0_4arch9wavefront6targetE0EEEvSP_
	.p2align	8
	.type	_ZN7rocprim17ROCPRIM_400000_NS6detail17trampoline_kernelINS0_14default_configENS1_32segmented_reduce_config_selectorIdEEZNS1_21segmented_reduce_implIS3_PKdPdPKidN6hipcub16HIPCUB_304000_NS6detail27convert_result_type_wrapperIS8_S9_N2at6native12_GLOBAL__N_19CustomSumEEEEE10hipError_tPvRmT0_T1_jT2_SQ_T4_T3_P12ihipStream_tbEUlT_E_NS1_11comp_targetILNS1_3genE8ELNS1_11target_archE1030ELNS1_3gpuE2ELNS1_3repE0EEENS1_30default_config_static_selectorELNS0_4arch9wavefront6targetE0EEEvSP_,@function
_ZN7rocprim17ROCPRIM_400000_NS6detail17trampoline_kernelINS0_14default_configENS1_32segmented_reduce_config_selectorIdEEZNS1_21segmented_reduce_implIS3_PKdPdPKidN6hipcub16HIPCUB_304000_NS6detail27convert_result_type_wrapperIS8_S9_N2at6native12_GLOBAL__N_19CustomSumEEEEE10hipError_tPvRmT0_T1_jT2_SQ_T4_T3_P12ihipStream_tbEUlT_E_NS1_11comp_targetILNS1_3genE8ELNS1_11target_archE1030ELNS1_3gpuE2ELNS1_3repE0EEENS1_30default_config_static_selectorELNS0_4arch9wavefront6targetE0EEEvSP_: ; @_ZN7rocprim17ROCPRIM_400000_NS6detail17trampoline_kernelINS0_14default_configENS1_32segmented_reduce_config_selectorIdEEZNS1_21segmented_reduce_implIS3_PKdPdPKidN6hipcub16HIPCUB_304000_NS6detail27convert_result_type_wrapperIS8_S9_N2at6native12_GLOBAL__N_19CustomSumEEEEE10hipError_tPvRmT0_T1_jT2_SQ_T4_T3_P12ihipStream_tbEUlT_E_NS1_11comp_targetILNS1_3genE8ELNS1_11target_archE1030ELNS1_3gpuE2ELNS1_3repE0EEENS1_30default_config_static_selectorELNS0_4arch9wavefront6targetE0EEEvSP_
; %bb.0:
	.section	.rodata,"a",@progbits
	.p2align	6, 0x0
	.amdhsa_kernel _ZN7rocprim17ROCPRIM_400000_NS6detail17trampoline_kernelINS0_14default_configENS1_32segmented_reduce_config_selectorIdEEZNS1_21segmented_reduce_implIS3_PKdPdPKidN6hipcub16HIPCUB_304000_NS6detail27convert_result_type_wrapperIS8_S9_N2at6native12_GLOBAL__N_19CustomSumEEEEE10hipError_tPvRmT0_T1_jT2_SQ_T4_T3_P12ihipStream_tbEUlT_E_NS1_11comp_targetILNS1_3genE8ELNS1_11target_archE1030ELNS1_3gpuE2ELNS1_3repE0EEENS1_30default_config_static_selectorELNS0_4arch9wavefront6targetE0EEEvSP_
		.amdhsa_group_segment_fixed_size 0
		.amdhsa_private_segment_fixed_size 0
		.amdhsa_kernarg_size 56
		.amdhsa_user_sgpr_count 2
		.amdhsa_user_sgpr_dispatch_ptr 0
		.amdhsa_user_sgpr_queue_ptr 0
		.amdhsa_user_sgpr_kernarg_segment_ptr 1
		.amdhsa_user_sgpr_dispatch_id 0
		.amdhsa_user_sgpr_kernarg_preload_length 0
		.amdhsa_user_sgpr_kernarg_preload_offset 0
		.amdhsa_user_sgpr_private_segment_size 0
		.amdhsa_wavefront_size32 1
		.amdhsa_uses_dynamic_stack 0
		.amdhsa_enable_private_segment 0
		.amdhsa_system_sgpr_workgroup_id_x 1
		.amdhsa_system_sgpr_workgroup_id_y 0
		.amdhsa_system_sgpr_workgroup_id_z 0
		.amdhsa_system_sgpr_workgroup_info 0
		.amdhsa_system_vgpr_workitem_id 0
		.amdhsa_next_free_vgpr 1
		.amdhsa_next_free_sgpr 1
		.amdhsa_named_barrier_count 0
		.amdhsa_reserve_vcc 0
		.amdhsa_float_round_mode_32 0
		.amdhsa_float_round_mode_16_64 0
		.amdhsa_float_denorm_mode_32 3
		.amdhsa_float_denorm_mode_16_64 3
		.amdhsa_fp16_overflow 0
		.amdhsa_memory_ordered 1
		.amdhsa_forward_progress 1
		.amdhsa_inst_pref_size 0
		.amdhsa_round_robin_scheduling 0
		.amdhsa_exception_fp_ieee_invalid_op 0
		.amdhsa_exception_fp_denorm_src 0
		.amdhsa_exception_fp_ieee_div_zero 0
		.amdhsa_exception_fp_ieee_overflow 0
		.amdhsa_exception_fp_ieee_underflow 0
		.amdhsa_exception_fp_ieee_inexact 0
		.amdhsa_exception_int_div_zero 0
	.end_amdhsa_kernel
	.section	.text._ZN7rocprim17ROCPRIM_400000_NS6detail17trampoline_kernelINS0_14default_configENS1_32segmented_reduce_config_selectorIdEEZNS1_21segmented_reduce_implIS3_PKdPdPKidN6hipcub16HIPCUB_304000_NS6detail27convert_result_type_wrapperIS8_S9_N2at6native12_GLOBAL__N_19CustomSumEEEEE10hipError_tPvRmT0_T1_jT2_SQ_T4_T3_P12ihipStream_tbEUlT_E_NS1_11comp_targetILNS1_3genE8ELNS1_11target_archE1030ELNS1_3gpuE2ELNS1_3repE0EEENS1_30default_config_static_selectorELNS0_4arch9wavefront6targetE0EEEvSP_,"axG",@progbits,_ZN7rocprim17ROCPRIM_400000_NS6detail17trampoline_kernelINS0_14default_configENS1_32segmented_reduce_config_selectorIdEEZNS1_21segmented_reduce_implIS3_PKdPdPKidN6hipcub16HIPCUB_304000_NS6detail27convert_result_type_wrapperIS8_S9_N2at6native12_GLOBAL__N_19CustomSumEEEEE10hipError_tPvRmT0_T1_jT2_SQ_T4_T3_P12ihipStream_tbEUlT_E_NS1_11comp_targetILNS1_3genE8ELNS1_11target_archE1030ELNS1_3gpuE2ELNS1_3repE0EEENS1_30default_config_static_selectorELNS0_4arch9wavefront6targetE0EEEvSP_,comdat
.Lfunc_end24:
	.size	_ZN7rocprim17ROCPRIM_400000_NS6detail17trampoline_kernelINS0_14default_configENS1_32segmented_reduce_config_selectorIdEEZNS1_21segmented_reduce_implIS3_PKdPdPKidN6hipcub16HIPCUB_304000_NS6detail27convert_result_type_wrapperIS8_S9_N2at6native12_GLOBAL__N_19CustomSumEEEEE10hipError_tPvRmT0_T1_jT2_SQ_T4_T3_P12ihipStream_tbEUlT_E_NS1_11comp_targetILNS1_3genE8ELNS1_11target_archE1030ELNS1_3gpuE2ELNS1_3repE0EEENS1_30default_config_static_selectorELNS0_4arch9wavefront6targetE0EEEvSP_, .Lfunc_end24-_ZN7rocprim17ROCPRIM_400000_NS6detail17trampoline_kernelINS0_14default_configENS1_32segmented_reduce_config_selectorIdEEZNS1_21segmented_reduce_implIS3_PKdPdPKidN6hipcub16HIPCUB_304000_NS6detail27convert_result_type_wrapperIS8_S9_N2at6native12_GLOBAL__N_19CustomSumEEEEE10hipError_tPvRmT0_T1_jT2_SQ_T4_T3_P12ihipStream_tbEUlT_E_NS1_11comp_targetILNS1_3genE8ELNS1_11target_archE1030ELNS1_3gpuE2ELNS1_3repE0EEENS1_30default_config_static_selectorELNS0_4arch9wavefront6targetE0EEEvSP_
                                        ; -- End function
	.set _ZN7rocprim17ROCPRIM_400000_NS6detail17trampoline_kernelINS0_14default_configENS1_32segmented_reduce_config_selectorIdEEZNS1_21segmented_reduce_implIS3_PKdPdPKidN6hipcub16HIPCUB_304000_NS6detail27convert_result_type_wrapperIS8_S9_N2at6native12_GLOBAL__N_19CustomSumEEEEE10hipError_tPvRmT0_T1_jT2_SQ_T4_T3_P12ihipStream_tbEUlT_E_NS1_11comp_targetILNS1_3genE8ELNS1_11target_archE1030ELNS1_3gpuE2ELNS1_3repE0EEENS1_30default_config_static_selectorELNS0_4arch9wavefront6targetE0EEEvSP_.num_vgpr, 0
	.set _ZN7rocprim17ROCPRIM_400000_NS6detail17trampoline_kernelINS0_14default_configENS1_32segmented_reduce_config_selectorIdEEZNS1_21segmented_reduce_implIS3_PKdPdPKidN6hipcub16HIPCUB_304000_NS6detail27convert_result_type_wrapperIS8_S9_N2at6native12_GLOBAL__N_19CustomSumEEEEE10hipError_tPvRmT0_T1_jT2_SQ_T4_T3_P12ihipStream_tbEUlT_E_NS1_11comp_targetILNS1_3genE8ELNS1_11target_archE1030ELNS1_3gpuE2ELNS1_3repE0EEENS1_30default_config_static_selectorELNS0_4arch9wavefront6targetE0EEEvSP_.num_agpr, 0
	.set _ZN7rocprim17ROCPRIM_400000_NS6detail17trampoline_kernelINS0_14default_configENS1_32segmented_reduce_config_selectorIdEEZNS1_21segmented_reduce_implIS3_PKdPdPKidN6hipcub16HIPCUB_304000_NS6detail27convert_result_type_wrapperIS8_S9_N2at6native12_GLOBAL__N_19CustomSumEEEEE10hipError_tPvRmT0_T1_jT2_SQ_T4_T3_P12ihipStream_tbEUlT_E_NS1_11comp_targetILNS1_3genE8ELNS1_11target_archE1030ELNS1_3gpuE2ELNS1_3repE0EEENS1_30default_config_static_selectorELNS0_4arch9wavefront6targetE0EEEvSP_.numbered_sgpr, 0
	.set _ZN7rocprim17ROCPRIM_400000_NS6detail17trampoline_kernelINS0_14default_configENS1_32segmented_reduce_config_selectorIdEEZNS1_21segmented_reduce_implIS3_PKdPdPKidN6hipcub16HIPCUB_304000_NS6detail27convert_result_type_wrapperIS8_S9_N2at6native12_GLOBAL__N_19CustomSumEEEEE10hipError_tPvRmT0_T1_jT2_SQ_T4_T3_P12ihipStream_tbEUlT_E_NS1_11comp_targetILNS1_3genE8ELNS1_11target_archE1030ELNS1_3gpuE2ELNS1_3repE0EEENS1_30default_config_static_selectorELNS0_4arch9wavefront6targetE0EEEvSP_.num_named_barrier, 0
	.set _ZN7rocprim17ROCPRIM_400000_NS6detail17trampoline_kernelINS0_14default_configENS1_32segmented_reduce_config_selectorIdEEZNS1_21segmented_reduce_implIS3_PKdPdPKidN6hipcub16HIPCUB_304000_NS6detail27convert_result_type_wrapperIS8_S9_N2at6native12_GLOBAL__N_19CustomSumEEEEE10hipError_tPvRmT0_T1_jT2_SQ_T4_T3_P12ihipStream_tbEUlT_E_NS1_11comp_targetILNS1_3genE8ELNS1_11target_archE1030ELNS1_3gpuE2ELNS1_3repE0EEENS1_30default_config_static_selectorELNS0_4arch9wavefront6targetE0EEEvSP_.private_seg_size, 0
	.set _ZN7rocprim17ROCPRIM_400000_NS6detail17trampoline_kernelINS0_14default_configENS1_32segmented_reduce_config_selectorIdEEZNS1_21segmented_reduce_implIS3_PKdPdPKidN6hipcub16HIPCUB_304000_NS6detail27convert_result_type_wrapperIS8_S9_N2at6native12_GLOBAL__N_19CustomSumEEEEE10hipError_tPvRmT0_T1_jT2_SQ_T4_T3_P12ihipStream_tbEUlT_E_NS1_11comp_targetILNS1_3genE8ELNS1_11target_archE1030ELNS1_3gpuE2ELNS1_3repE0EEENS1_30default_config_static_selectorELNS0_4arch9wavefront6targetE0EEEvSP_.uses_vcc, 0
	.set _ZN7rocprim17ROCPRIM_400000_NS6detail17trampoline_kernelINS0_14default_configENS1_32segmented_reduce_config_selectorIdEEZNS1_21segmented_reduce_implIS3_PKdPdPKidN6hipcub16HIPCUB_304000_NS6detail27convert_result_type_wrapperIS8_S9_N2at6native12_GLOBAL__N_19CustomSumEEEEE10hipError_tPvRmT0_T1_jT2_SQ_T4_T3_P12ihipStream_tbEUlT_E_NS1_11comp_targetILNS1_3genE8ELNS1_11target_archE1030ELNS1_3gpuE2ELNS1_3repE0EEENS1_30default_config_static_selectorELNS0_4arch9wavefront6targetE0EEEvSP_.uses_flat_scratch, 0
	.set _ZN7rocprim17ROCPRIM_400000_NS6detail17trampoline_kernelINS0_14default_configENS1_32segmented_reduce_config_selectorIdEEZNS1_21segmented_reduce_implIS3_PKdPdPKidN6hipcub16HIPCUB_304000_NS6detail27convert_result_type_wrapperIS8_S9_N2at6native12_GLOBAL__N_19CustomSumEEEEE10hipError_tPvRmT0_T1_jT2_SQ_T4_T3_P12ihipStream_tbEUlT_E_NS1_11comp_targetILNS1_3genE8ELNS1_11target_archE1030ELNS1_3gpuE2ELNS1_3repE0EEENS1_30default_config_static_selectorELNS0_4arch9wavefront6targetE0EEEvSP_.has_dyn_sized_stack, 0
	.set _ZN7rocprim17ROCPRIM_400000_NS6detail17trampoline_kernelINS0_14default_configENS1_32segmented_reduce_config_selectorIdEEZNS1_21segmented_reduce_implIS3_PKdPdPKidN6hipcub16HIPCUB_304000_NS6detail27convert_result_type_wrapperIS8_S9_N2at6native12_GLOBAL__N_19CustomSumEEEEE10hipError_tPvRmT0_T1_jT2_SQ_T4_T3_P12ihipStream_tbEUlT_E_NS1_11comp_targetILNS1_3genE8ELNS1_11target_archE1030ELNS1_3gpuE2ELNS1_3repE0EEENS1_30default_config_static_selectorELNS0_4arch9wavefront6targetE0EEEvSP_.has_recursion, 0
	.set _ZN7rocprim17ROCPRIM_400000_NS6detail17trampoline_kernelINS0_14default_configENS1_32segmented_reduce_config_selectorIdEEZNS1_21segmented_reduce_implIS3_PKdPdPKidN6hipcub16HIPCUB_304000_NS6detail27convert_result_type_wrapperIS8_S9_N2at6native12_GLOBAL__N_19CustomSumEEEEE10hipError_tPvRmT0_T1_jT2_SQ_T4_T3_P12ihipStream_tbEUlT_E_NS1_11comp_targetILNS1_3genE8ELNS1_11target_archE1030ELNS1_3gpuE2ELNS1_3repE0EEENS1_30default_config_static_selectorELNS0_4arch9wavefront6targetE0EEEvSP_.has_indirect_call, 0
	.section	.AMDGPU.csdata,"",@progbits
; Kernel info:
; codeLenInByte = 0
; TotalNumSgprs: 0
; NumVgprs: 0
; ScratchSize: 0
; MemoryBound: 0
; FloatMode: 240
; IeeeMode: 1
; LDSByteSize: 0 bytes/workgroup (compile time only)
; SGPRBlocks: 0
; VGPRBlocks: 0
; NumSGPRsForWavesPerEU: 1
; NumVGPRsForWavesPerEU: 1
; NamedBarCnt: 0
; Occupancy: 16
; WaveLimiterHint : 0
; COMPUTE_PGM_RSRC2:SCRATCH_EN: 0
; COMPUTE_PGM_RSRC2:USER_SGPR: 2
; COMPUTE_PGM_RSRC2:TRAP_HANDLER: 0
; COMPUTE_PGM_RSRC2:TGID_X_EN: 1
; COMPUTE_PGM_RSRC2:TGID_Y_EN: 0
; COMPUTE_PGM_RSRC2:TGID_Z_EN: 0
; COMPUTE_PGM_RSRC2:TIDIG_COMP_CNT: 0
	.section	.text._ZN2at6native12_GLOBAL__N_119post_sum_div_kernelIdiEEvPT_PKT0_lbS3_,"axG",@progbits,_ZN2at6native12_GLOBAL__N_119post_sum_div_kernelIdiEEvPT_PKT0_lbS3_,comdat
	.globl	_ZN2at6native12_GLOBAL__N_119post_sum_div_kernelIdiEEvPT_PKT0_lbS3_ ; -- Begin function _ZN2at6native12_GLOBAL__N_119post_sum_div_kernelIdiEEvPT_PKT0_lbS3_
	.p2align	8
	.type	_ZN2at6native12_GLOBAL__N_119post_sum_div_kernelIdiEEvPT_PKT0_lbS3_,@function
_ZN2at6native12_GLOBAL__N_119post_sum_div_kernelIdiEEvPT_PKT0_lbS3_: ; @_ZN2at6native12_GLOBAL__N_119post_sum_div_kernelIdiEEvPT_PKT0_lbS3_
; %bb.0:
	s_clause 0x1
	s_load_b32 s4, s[0:1], 0x34
	s_load_b64 s[2:3], s[0:1], 0x10
	s_bfe_u32 s5, ttmp6, 0x4000c
	s_and_b32 s6, ttmp6, 15
	s_add_co_i32 s5, s5, 1
	s_getreg_b32 s7, hwreg(HW_REG_IB_STS2, 6, 4)
	s_mul_i32 s5, ttmp9, s5
	v_mov_b32_e32 v1, 0
	s_add_co_i32 s6, s6, s5
	s_mov_b32 s9, 0
	s_wait_kmcnt 0x0
	s_and_b32 s8, s4, 0xffff
	s_cmp_eq_u32 s7, 0
	s_cselect_b32 s4, ttmp9, s6
	s_delay_alu instid0(SALU_CYCLE_1) | instskip(SKIP_1) | instid1(VALU_DEP_1)
	v_mad_nc_u64_u32 v[2:3], s8, s4, v[0:1]
	s_mov_b32 s4, exec_lo
	v_cmpx_gt_i64_e64 s[2:3], v[2:3]
	s_cbranch_execz .LBB25_12
; %bb.1:
	s_add_nc_u64 s[10:11], s[0:1], 40
	s_load_b32 s14, s[0:1], 0x18
	s_load_b32 s15, s[10:11], 0x0
	s_clause 0x1
	s_load_b64 s[12:13], s[0:1], 0x20
	s_load_b128 s[4:7], s[0:1], 0x0
	v_dual_mov_b32 v0, v1 :: v_dual_mov_b32 v1, v2
	s_wait_xcnt 0x0
	s_mov_b32 s0, s9
	s_wait_kmcnt 0x0
	s_bitcmp1_b32 s14, 0
	s_mul_i32 s8, s15, s8
	s_cselect_b32 s11, s13, 0x7ff80000
	s_cselect_b32 s10, s12, 0
	s_mov_b32 s1, s8
	s_mov_b32 s12, s9
                                        ; implicit-def: $sgpr13
                                        ; implicit-def: $sgpr15
                                        ; implicit-def: $sgpr14
.LBB25_2:                               ; =>This Inner Loop Header: Depth=1
	v_ashrrev_i64 v[4:5], 30, v[0:1]
	s_or_b32 s14, s14, exec_lo
	s_or_b32 s15, s15, exec_lo
	s_mov_b32 s16, exec_lo
	s_delay_alu instid0(VALU_DEP_1)
	v_add_nc_u64_e32 v[4:5], s[6:7], v[4:5]
	global_load_b32 v10, v[4:5], off
	s_wait_loadcnt 0x0
	s_wait_xcnt 0x0
	v_cmpx_lt_i32_e32 -1, v10
	s_cbranch_execz .LBB25_10
; %bb.3:                                ;   in Loop: Header=BB25_2 Depth=1
	v_dual_mov_b32 v4, v1 :: v_dual_ashrrev_i32 v5, 31, v1
	v_mov_b64_e32 v[6:7], s[10:11]
	s_mov_b32 s18, -1
	s_mov_b32 s17, exec_lo
	s_delay_alu instid0(VALU_DEP_2)
	v_lshl_add_u64 v[4:5], v[4:5], 3, s[4:5]
	v_cmpx_ne_u32_e32 0, v10
	s_cbranch_execz .LBB25_7
; %bb.4:                                ;   in Loop: Header=BB25_2 Depth=1
	global_load_b64 v[8:9], v[4:5], off
	s_mov_b32 s18, 0
	s_mov_b32 s19, exec_lo
                                        ; implicit-def: $vgpr6_vgpr7
	s_wait_loadcnt 0x0
	s_wait_xcnt 0x0
	v_cmpx_o_f64_e32 v[8:9], v[8:9]
	s_cbranch_execz .LBB25_6
; %bb.5:                                ;   in Loop: Header=BB25_2 Depth=1
	v_cvt_f64_u32_e32 v[6:7], v10
	s_mov_b32 s18, exec_lo
	s_delay_alu instid0(VALU_DEP_1) | instskip(NEXT) | instid1(VALU_DEP_1)
	v_div_scale_f64 v[10:11], null, v[6:7], v[6:7], v[8:9]
	v_rcp_f64_e32 v[12:13], v[10:11]
	v_nop
	s_delay_alu instid0(TRANS32_DEP_1) | instskip(NEXT) | instid1(VALU_DEP_1)
	v_fma_f64 v[14:15], -v[10:11], v[12:13], 1.0
	v_fmac_f64_e32 v[12:13], v[12:13], v[14:15]
	s_delay_alu instid0(VALU_DEP_1) | instskip(NEXT) | instid1(VALU_DEP_1)
	v_fma_f64 v[14:15], -v[10:11], v[12:13], 1.0
	v_fmac_f64_e32 v[12:13], v[12:13], v[14:15]
	v_div_scale_f64 v[14:15], vcc_lo, v[8:9], v[6:7], v[8:9]
	s_delay_alu instid0(VALU_DEP_1) | instskip(NEXT) | instid1(VALU_DEP_1)
	v_mul_f64_e32 v[16:17], v[14:15], v[12:13]
	v_fma_f64 v[10:11], -v[10:11], v[16:17], v[14:15]
	s_delay_alu instid0(VALU_DEP_1) | instskip(NEXT) | instid1(VALU_DEP_1)
	v_div_fmas_f64 v[10:11], v[10:11], v[12:13], v[16:17]
	v_div_fixup_f64 v[6:7], v[10:11], v[6:7], v[8:9]
.LBB25_6:                               ;   in Loop: Header=BB25_2 Depth=1
	s_or_b32 exec_lo, exec_lo, s19
	s_delay_alu instid0(SALU_CYCLE_1)
	s_or_not1_b32 s18, s18, exec_lo
.LBB25_7:                               ;   in Loop: Header=BB25_2 Depth=1
	s_or_b32 exec_lo, exec_lo, s17
	s_and_saveexec_b32 s17, s18
	s_cbranch_execz .LBB25_9
; %bb.8:                                ;   in Loop: Header=BB25_2 Depth=1
	global_store_b64 v[4:5], v[6:7], off
.LBB25_9:                               ;   in Loop: Header=BB25_2 Depth=1
	s_wait_xcnt 0x0
	s_or_b32 exec_lo, exec_lo, s17
	v_add_nc_u64_e32 v[2:3], s[8:9], v[2:3]
	v_add_nc_u64_e32 v[0:1], s[0:1], v[0:1]
	s_and_not1_b32 s15, s15, exec_lo
	s_and_not1_b32 s14, s14, exec_lo
	s_delay_alu instid0(VALU_DEP_2) | instskip(SKIP_1) | instid1(SALU_CYCLE_1)
	v_cmp_le_i64_e32 vcc_lo, s[2:3], v[2:3]
	s_and_b32 s17, vcc_lo, exec_lo
	s_or_b32 s15, s15, s17
.LBB25_10:                              ;   in Loop: Header=BB25_2 Depth=1
	s_or_b32 exec_lo, exec_lo, s16
	s_delay_alu instid0(SALU_CYCLE_1) | instskip(NEXT) | instid1(SALU_CYCLE_1)
	s_and_b32 s16, exec_lo, s15
	s_or_b32 s12, s16, s12
	s_and_not1_b32 s13, s13, exec_lo
	s_and_b32 s16, s14, exec_lo
	s_delay_alu instid0(SALU_CYCLE_1)
	s_or_b32 s13, s13, s16
	s_and_not1_b32 exec_lo, exec_lo, s12
	s_cbranch_execnz .LBB25_2
; %bb.11:
	s_or_b32 exec_lo, exec_lo, s12
	s_and_saveexec_b32 s0, s13
	s_delay_alu instid0(SALU_CYCLE_1)
	s_xor_b32 s0, exec_lo, s0
	s_cbranch_execnz .LBB25_13
.LBB25_12:
	s_endpgm
.LBB25_13:
	s_trap 2
	; divergent unreachable
	s_endpgm
	.section	.rodata,"a",@progbits
	.p2align	6, 0x0
	.amdhsa_kernel _ZN2at6native12_GLOBAL__N_119post_sum_div_kernelIdiEEvPT_PKT0_lbS3_
		.amdhsa_group_segment_fixed_size 0
		.amdhsa_private_segment_fixed_size 0
		.amdhsa_kernarg_size 296
		.amdhsa_user_sgpr_count 2
		.amdhsa_user_sgpr_dispatch_ptr 0
		.amdhsa_user_sgpr_queue_ptr 0
		.amdhsa_user_sgpr_kernarg_segment_ptr 1
		.amdhsa_user_sgpr_dispatch_id 0
		.amdhsa_user_sgpr_kernarg_preload_length 0
		.amdhsa_user_sgpr_kernarg_preload_offset 0
		.amdhsa_user_sgpr_private_segment_size 0
		.amdhsa_wavefront_size32 1
		.amdhsa_uses_dynamic_stack 0
		.amdhsa_enable_private_segment 0
		.amdhsa_system_sgpr_workgroup_id_x 1
		.amdhsa_system_sgpr_workgroup_id_y 0
		.amdhsa_system_sgpr_workgroup_id_z 0
		.amdhsa_system_sgpr_workgroup_info 0
		.amdhsa_system_vgpr_workitem_id 0
		.amdhsa_next_free_vgpr 18
		.amdhsa_next_free_sgpr 20
		.amdhsa_named_barrier_count 0
		.amdhsa_reserve_vcc 1
		.amdhsa_float_round_mode_32 0
		.amdhsa_float_round_mode_16_64 0
		.amdhsa_float_denorm_mode_32 3
		.amdhsa_float_denorm_mode_16_64 3
		.amdhsa_fp16_overflow 0
		.amdhsa_memory_ordered 1
		.amdhsa_forward_progress 1
		.amdhsa_inst_pref_size 5
		.amdhsa_round_robin_scheduling 0
		.amdhsa_exception_fp_ieee_invalid_op 0
		.amdhsa_exception_fp_denorm_src 0
		.amdhsa_exception_fp_ieee_div_zero 0
		.amdhsa_exception_fp_ieee_overflow 0
		.amdhsa_exception_fp_ieee_underflow 0
		.amdhsa_exception_fp_ieee_inexact 0
		.amdhsa_exception_int_div_zero 0
	.end_amdhsa_kernel
	.section	.text._ZN2at6native12_GLOBAL__N_119post_sum_div_kernelIdiEEvPT_PKT0_lbS3_,"axG",@progbits,_ZN2at6native12_GLOBAL__N_119post_sum_div_kernelIdiEEvPT_PKT0_lbS3_,comdat
.Lfunc_end25:
	.size	_ZN2at6native12_GLOBAL__N_119post_sum_div_kernelIdiEEvPT_PKT0_lbS3_, .Lfunc_end25-_ZN2at6native12_GLOBAL__N_119post_sum_div_kernelIdiEEvPT_PKT0_lbS3_
                                        ; -- End function
	.set _ZN2at6native12_GLOBAL__N_119post_sum_div_kernelIdiEEvPT_PKT0_lbS3_.num_vgpr, 18
	.set _ZN2at6native12_GLOBAL__N_119post_sum_div_kernelIdiEEvPT_PKT0_lbS3_.num_agpr, 0
	.set _ZN2at6native12_GLOBAL__N_119post_sum_div_kernelIdiEEvPT_PKT0_lbS3_.numbered_sgpr, 20
	.set _ZN2at6native12_GLOBAL__N_119post_sum_div_kernelIdiEEvPT_PKT0_lbS3_.num_named_barrier, 0
	.set _ZN2at6native12_GLOBAL__N_119post_sum_div_kernelIdiEEvPT_PKT0_lbS3_.private_seg_size, 0
	.set _ZN2at6native12_GLOBAL__N_119post_sum_div_kernelIdiEEvPT_PKT0_lbS3_.uses_vcc, 1
	.set _ZN2at6native12_GLOBAL__N_119post_sum_div_kernelIdiEEvPT_PKT0_lbS3_.uses_flat_scratch, 0
	.set _ZN2at6native12_GLOBAL__N_119post_sum_div_kernelIdiEEvPT_PKT0_lbS3_.has_dyn_sized_stack, 0
	.set _ZN2at6native12_GLOBAL__N_119post_sum_div_kernelIdiEEvPT_PKT0_lbS3_.has_recursion, 0
	.set _ZN2at6native12_GLOBAL__N_119post_sum_div_kernelIdiEEvPT_PKT0_lbS3_.has_indirect_call, 0
	.section	.AMDGPU.csdata,"",@progbits
; Kernel info:
; codeLenInByte = 576
; TotalNumSgprs: 22
; NumVgprs: 18
; ScratchSize: 0
; MemoryBound: 0
; FloatMode: 240
; IeeeMode: 1
; LDSByteSize: 0 bytes/workgroup (compile time only)
; SGPRBlocks: 0
; VGPRBlocks: 1
; NumSGPRsForWavesPerEU: 22
; NumVGPRsForWavesPerEU: 18
; NamedBarCnt: 0
; Occupancy: 16
; WaveLimiterHint : 0
; COMPUTE_PGM_RSRC2:SCRATCH_EN: 0
; COMPUTE_PGM_RSRC2:USER_SGPR: 2
; COMPUTE_PGM_RSRC2:TRAP_HANDLER: 0
; COMPUTE_PGM_RSRC2:TGID_X_EN: 1
; COMPUTE_PGM_RSRC2:TGID_Y_EN: 0
; COMPUTE_PGM_RSRC2:TGID_Z_EN: 0
; COMPUTE_PGM_RSRC2:TIDIG_COMP_CNT: 0
	.section	.text._ZN7rocprim17ROCPRIM_400000_NS6detail17trampoline_kernelINS0_14default_configENS1_32segmented_reduce_config_selectorIdEEZNS1_21segmented_reduce_implIS3_PKdPdPKidN6hipcub16HIPCUB_304000_NS6detail27convert_result_type_wrapperIS8_S9_N2at6native12_GLOBAL__N_19CustomMinEEEEE10hipError_tPvRmT0_T1_jT2_SQ_T4_T3_P12ihipStream_tbEUlT_E_NS1_11comp_targetILNS1_3genE0ELNS1_11target_archE4294967295ELNS1_3gpuE0ELNS1_3repE0EEENS1_30default_config_static_selectorELNS0_4arch9wavefront6targetE0EEEvSP_,"axG",@progbits,_ZN7rocprim17ROCPRIM_400000_NS6detail17trampoline_kernelINS0_14default_configENS1_32segmented_reduce_config_selectorIdEEZNS1_21segmented_reduce_implIS3_PKdPdPKidN6hipcub16HIPCUB_304000_NS6detail27convert_result_type_wrapperIS8_S9_N2at6native12_GLOBAL__N_19CustomMinEEEEE10hipError_tPvRmT0_T1_jT2_SQ_T4_T3_P12ihipStream_tbEUlT_E_NS1_11comp_targetILNS1_3genE0ELNS1_11target_archE4294967295ELNS1_3gpuE0ELNS1_3repE0EEENS1_30default_config_static_selectorELNS0_4arch9wavefront6targetE0EEEvSP_,comdat
	.globl	_ZN7rocprim17ROCPRIM_400000_NS6detail17trampoline_kernelINS0_14default_configENS1_32segmented_reduce_config_selectorIdEEZNS1_21segmented_reduce_implIS3_PKdPdPKidN6hipcub16HIPCUB_304000_NS6detail27convert_result_type_wrapperIS8_S9_N2at6native12_GLOBAL__N_19CustomMinEEEEE10hipError_tPvRmT0_T1_jT2_SQ_T4_T3_P12ihipStream_tbEUlT_E_NS1_11comp_targetILNS1_3genE0ELNS1_11target_archE4294967295ELNS1_3gpuE0ELNS1_3repE0EEENS1_30default_config_static_selectorELNS0_4arch9wavefront6targetE0EEEvSP_ ; -- Begin function _ZN7rocprim17ROCPRIM_400000_NS6detail17trampoline_kernelINS0_14default_configENS1_32segmented_reduce_config_selectorIdEEZNS1_21segmented_reduce_implIS3_PKdPdPKidN6hipcub16HIPCUB_304000_NS6detail27convert_result_type_wrapperIS8_S9_N2at6native12_GLOBAL__N_19CustomMinEEEEE10hipError_tPvRmT0_T1_jT2_SQ_T4_T3_P12ihipStream_tbEUlT_E_NS1_11comp_targetILNS1_3genE0ELNS1_11target_archE4294967295ELNS1_3gpuE0ELNS1_3repE0EEENS1_30default_config_static_selectorELNS0_4arch9wavefront6targetE0EEEvSP_
	.p2align	8
	.type	_ZN7rocprim17ROCPRIM_400000_NS6detail17trampoline_kernelINS0_14default_configENS1_32segmented_reduce_config_selectorIdEEZNS1_21segmented_reduce_implIS3_PKdPdPKidN6hipcub16HIPCUB_304000_NS6detail27convert_result_type_wrapperIS8_S9_N2at6native12_GLOBAL__N_19CustomMinEEEEE10hipError_tPvRmT0_T1_jT2_SQ_T4_T3_P12ihipStream_tbEUlT_E_NS1_11comp_targetILNS1_3genE0ELNS1_11target_archE4294967295ELNS1_3gpuE0ELNS1_3repE0EEENS1_30default_config_static_selectorELNS0_4arch9wavefront6targetE0EEEvSP_,@function
_ZN7rocprim17ROCPRIM_400000_NS6detail17trampoline_kernelINS0_14default_configENS1_32segmented_reduce_config_selectorIdEEZNS1_21segmented_reduce_implIS3_PKdPdPKidN6hipcub16HIPCUB_304000_NS6detail27convert_result_type_wrapperIS8_S9_N2at6native12_GLOBAL__N_19CustomMinEEEEE10hipError_tPvRmT0_T1_jT2_SQ_T4_T3_P12ihipStream_tbEUlT_E_NS1_11comp_targetILNS1_3genE0ELNS1_11target_archE4294967295ELNS1_3gpuE0ELNS1_3repE0EEENS1_30default_config_static_selectorELNS0_4arch9wavefront6targetE0EEEvSP_: ; @_ZN7rocprim17ROCPRIM_400000_NS6detail17trampoline_kernelINS0_14default_configENS1_32segmented_reduce_config_selectorIdEEZNS1_21segmented_reduce_implIS3_PKdPdPKidN6hipcub16HIPCUB_304000_NS6detail27convert_result_type_wrapperIS8_S9_N2at6native12_GLOBAL__N_19CustomMinEEEEE10hipError_tPvRmT0_T1_jT2_SQ_T4_T3_P12ihipStream_tbEUlT_E_NS1_11comp_targetILNS1_3genE0ELNS1_11target_archE4294967295ELNS1_3gpuE0ELNS1_3repE0EEENS1_30default_config_static_selectorELNS0_4arch9wavefront6targetE0EEEvSP_
; %bb.0:
	s_clause 0x1
	s_load_b256 s[4:11], s[0:1], 0x0
	s_load_b64 s[14:15], s[0:1], 0x20
	s_bfe_u32 s2, ttmp6, 0x4000c
	s_and_b32 s3, ttmp6, 15
	s_add_co_i32 s2, s2, 1
	s_getreg_b32 s16, hwreg(HW_REG_IB_STS2, 6, 4)
	s_mul_i32 s2, ttmp9, s2
	s_load_b64 s[12:13], s[0:1], 0x30
	s_add_co_i32 s3, s3, s2
	v_cmp_eq_u32_e32 vcc_lo, 0, v0
	s_wait_kmcnt 0x0
	s_lshl_b64 s[0:1], s[8:9], 2
	s_cmp_eq_u32 s16, 0
	s_add_nc_u64 s[16:17], s[10:11], s[0:1]
	s_cselect_b32 s2, ttmp9, s3
	s_add_nc_u64 s[0:1], s[14:15], s[0:1]
	s_load_b32 s10, s[16:17], s2 offset:0x0 scale_offset
	s_load_b32 s15, s[0:1], s2 offset:0x0 scale_offset
	s_mov_b32 s3, 0
	s_wait_xcnt 0x0
	s_mov_b32 s0, -1
	s_mov_b32 s14, 0
	s_wait_kmcnt 0x0
	s_cmp_gt_i32 s15, s10
	s_cbranch_scc1 .LBB26_2
; %bb.1:
	s_mov_b32 s0, 0
	s_and_b32 s14, vcc_lo, exec_lo
.LBB26_2:
	s_and_not1_b32 vcc_lo, exec_lo, s0
	s_cbranch_vccnz .LBB26_67
; %bb.3:
	s_add_co_i32 s0, s10, 0x800
	s_delay_alu instid0(SALU_CYCLE_1)
	s_cmp_le_i32 s0, s15
	s_cbranch_scc0 .LBB26_68
; %bb.4:
	s_ashr_i32 s11, s10, 31
	s_mov_b32 s1, exec_lo
	s_lshl_b64 s[16:17], s[10:11], 3
	s_delay_alu instid0(SALU_CYCLE_1)
	s_add_nc_u64 s[16:17], s[4:5], s[16:17]
	s_clause 0x7
	global_load_b64 v[18:19], v0, s[16:17] scale_offset
	global_load_b64 v[16:17], v0, s[16:17] offset:2048 scale_offset
	global_load_b64 v[14:15], v0, s[16:17] offset:4096 scale_offset
	;; [unrolled: 1-line block ×7, first 2 shown]
	s_wait_loadcnt 0x7
	v_mov_b64_e32 v[10:11], v[18:19]
	s_wait_xcnt 0x0
	v_cmpx_o_f64_e32 v[18:19], v[18:19]
	s_cbranch_execz .LBB26_8
; %bb.5:
	s_wait_loadcnt 0x6
	v_mov_b64_e32 v[10:11], v[16:17]
	s_mov_b32 s11, exec_lo
	v_cmpx_o_f64_e32 v[16:17], v[16:17]
	s_cbranch_execz .LBB26_7
; %bb.6:
	v_cmp_lt_f64_e32 vcc_lo, v[16:17], v[18:19]
	v_dual_cndmask_b32 v11, v19, v17 :: v_dual_cndmask_b32 v10, v18, v16
.LBB26_7:
	s_or_b32 exec_lo, exec_lo, s11
.LBB26_8:
	s_delay_alu instid0(SALU_CYCLE_1) | instskip(NEXT) | instid1(SALU_CYCLE_1)
	s_or_b32 exec_lo, exec_lo, s1
	s_mov_b32 s1, exec_lo
	s_delay_alu instid0(VALU_DEP_1)
	v_cmpx_o_f64_e32 v[10:11], v[10:11]
	s_cbranch_execz .LBB26_12
; %bb.9:
	s_wait_loadcnt 0x5
	v_mov_b64_e32 v[20:21], v[14:15]
	s_mov_b32 s11, exec_lo
	v_cmpx_o_f64_e32 v[14:15], v[14:15]
	s_cbranch_execz .LBB26_11
; %bb.10:
	v_cmp_lt_f64_e32 vcc_lo, v[14:15], v[10:11]
	v_dual_cndmask_b32 v21, v11, v15 :: v_dual_cndmask_b32 v20, v10, v14
.LBB26_11:
	s_or_b32 exec_lo, exec_lo, s11
	s_delay_alu instid0(VALU_DEP_1)
	v_mov_b64_e32 v[10:11], v[20:21]
.LBB26_12:
	s_or_b32 exec_lo, exec_lo, s1
	s_delay_alu instid0(SALU_CYCLE_1) | instskip(NEXT) | instid1(VALU_DEP_1)
	s_mov_b32 s1, exec_lo
	v_cmpx_o_f64_e32 v[10:11], v[10:11]
	s_cbranch_execz .LBB26_16
; %bb.13:
	s_wait_loadcnt 0x4
	v_mov_b64_e32 v[20:21], v[12:13]
	s_mov_b32 s11, exec_lo
	v_cmpx_o_f64_e32 v[12:13], v[12:13]
	s_cbranch_execz .LBB26_15
; %bb.14:
	v_cmp_lt_f64_e32 vcc_lo, v[12:13], v[10:11]
	v_dual_cndmask_b32 v21, v11, v13 :: v_dual_cndmask_b32 v20, v10, v12
.LBB26_15:
	s_or_b32 exec_lo, exec_lo, s11
	s_delay_alu instid0(VALU_DEP_1)
	v_mov_b64_e32 v[10:11], v[20:21]
.LBB26_16:
	s_or_b32 exec_lo, exec_lo, s1
	s_delay_alu instid0(SALU_CYCLE_1) | instskip(NEXT) | instid1(VALU_DEP_1)
	s_mov_b32 s1, exec_lo
	;; [unrolled: 19-line block ×5, first 2 shown]
	v_cmpx_o_f64_e32 v[10:11], v[10:11]
	s_cbranch_execz .LBB26_32
; %bb.29:
	s_wait_loadcnt 0x0
	v_mov_b64_e32 v[20:21], v[2:3]
	s_mov_b32 s11, exec_lo
	v_cmpx_o_f64_e32 v[2:3], v[2:3]
	s_cbranch_execz .LBB26_31
; %bb.30:
	v_cmp_lt_f64_e32 vcc_lo, v[2:3], v[10:11]
	v_dual_cndmask_b32 v21, v11, v3 :: v_dual_cndmask_b32 v20, v10, v2
.LBB26_31:
	s_or_b32 exec_lo, exec_lo, s11
	s_delay_alu instid0(VALU_DEP_1)
	v_mov_b64_e32 v[10:11], v[20:21]
.LBB26_32:
	s_or_b32 exec_lo, exec_lo, s1
	s_add_co_i32 s1, s10, 0x1000
	s_delay_alu instid0(SALU_CYCLE_1)
	s_cmp_ge_i32 s1, s15
	s_cbranch_scc1 .LBB26_69
; %bb.33:
	s_wait_loadcnt 0x0
	v_dual_mov_b32 v3, 0 :: v_dual_lshlrev_b32 v2, 3, v0
	s_delay_alu instid0(VALU_DEP_1)
	v_add_nc_u64_e32 v[20:21], s[4:5], v[2:3]
	s_branch .LBB26_36
.LBB26_34:                              ;   in Loop: Header=BB26_36 Depth=1
	s_or_b32 exec_lo, exec_lo, s11
	s_delay_alu instid0(VALU_DEP_1)
	v_mov_b64_e32 v[10:11], v[22:23]
.LBB26_35:                              ;   in Loop: Header=BB26_36 Depth=1
	s_or_b32 exec_lo, exec_lo, s1
	s_add_co_i32 s1, s0, 0x1000
	s_addk_co_i32 s0, 0x800
	s_cmp_lt_i32 s1, s15
	s_cbranch_scc0 .LBB26_69
.LBB26_36:                              ; =>This Inner Loop Header: Depth=1
	s_ashr_i32 s1, s0, 31
	s_delay_alu instid0(VALU_DEP_1) | instid1(SALU_CYCLE_1)
	v_lshl_add_u64 v[22:23], s[0:1], 3, v[20:21]
	s_mov_b32 s1, exec_lo
	s_wait_loadcnt 0x7
	global_load_b64 v[18:19], v[22:23], off
	s_wait_loadcnt 0x7
	global_load_b64 v[16:17], v[22:23], off offset:2048
	s_wait_loadcnt 0x7
	global_load_b64 v[14:15], v[22:23], off offset:4096
	;; [unrolled: 2-line block ×7, first 2 shown]
	s_wait_xcnt 0x0
	v_cmpx_o_f64_e32 v[10:11], v[10:11]
	s_cbranch_execz .LBB26_40
; %bb.37:                               ;   in Loop: Header=BB26_36 Depth=1
	s_wait_loadcnt 0x7
	v_mov_b64_e32 v[22:23], v[18:19]
	s_mov_b32 s11, exec_lo
	v_cmpx_o_f64_e32 v[18:19], v[18:19]
	s_cbranch_execz .LBB26_39
; %bb.38:                               ;   in Loop: Header=BB26_36 Depth=1
	v_cmp_lt_f64_e32 vcc_lo, v[18:19], v[10:11]
	v_dual_cndmask_b32 v23, v11, v19 :: v_dual_cndmask_b32 v22, v10, v18
.LBB26_39:                              ;   in Loop: Header=BB26_36 Depth=1
	s_or_b32 exec_lo, exec_lo, s11
	s_delay_alu instid0(VALU_DEP_1)
	v_mov_b64_e32 v[10:11], v[22:23]
.LBB26_40:                              ;   in Loop: Header=BB26_36 Depth=1
	s_or_b32 exec_lo, exec_lo, s1
	s_delay_alu instid0(SALU_CYCLE_1) | instskip(NEXT) | instid1(VALU_DEP_1)
	s_mov_b32 s1, exec_lo
	v_cmpx_o_f64_e32 v[10:11], v[10:11]
	s_cbranch_execz .LBB26_44
; %bb.41:                               ;   in Loop: Header=BB26_36 Depth=1
	s_wait_loadcnt 0x6
	v_mov_b64_e32 v[22:23], v[16:17]
	s_mov_b32 s11, exec_lo
	v_cmpx_o_f64_e32 v[16:17], v[16:17]
	s_cbranch_execz .LBB26_43
; %bb.42:                               ;   in Loop: Header=BB26_36 Depth=1
	v_cmp_lt_f64_e32 vcc_lo, v[16:17], v[10:11]
	v_dual_cndmask_b32 v23, v11, v17 :: v_dual_cndmask_b32 v22, v10, v16
.LBB26_43:                              ;   in Loop: Header=BB26_36 Depth=1
	s_or_b32 exec_lo, exec_lo, s11
	s_delay_alu instid0(VALU_DEP_1)
	v_mov_b64_e32 v[10:11], v[22:23]
.LBB26_44:                              ;   in Loop: Header=BB26_36 Depth=1
	s_or_b32 exec_lo, exec_lo, s1
	s_delay_alu instid0(SALU_CYCLE_1) | instskip(NEXT) | instid1(VALU_DEP_1)
	s_mov_b32 s1, exec_lo
	;; [unrolled: 19-line block ×7, first 2 shown]
	v_cmpx_o_f64_e32 v[10:11], v[10:11]
	s_cbranch_execz .LBB26_35
; %bb.65:                               ;   in Loop: Header=BB26_36 Depth=1
	s_wait_loadcnt 0x0
	v_mov_b64_e32 v[22:23], v[2:3]
	s_mov_b32 s11, exec_lo
	v_cmpx_o_f64_e32 v[2:3], v[2:3]
	s_cbranch_execz .LBB26_34
; %bb.66:                               ;   in Loop: Header=BB26_36 Depth=1
	v_cmp_lt_f64_e32 vcc_lo, v[2:3], v[10:11]
	v_dual_cndmask_b32 v23, v11, v3 :: v_dual_cndmask_b32 v22, v10, v2
	s_branch .LBB26_34
.LBB26_67:
	v_mov_b64_e32 v[4:5], s[12:13]
	s_and_saveexec_b32 s0, s14
	s_cbranch_execnz .LBB26_259
	s_branch .LBB26_260
.LBB26_68:
                                        ; implicit-def: $vgpr2_vgpr3
	s_cbranch_execnz .LBB26_154
	s_branch .LBB26_252
.LBB26_69:
	s_ashr_i32 s1, s0, 31
	s_sub_co_i32 s11, s15, s0
	s_lshl_b64 s[0:1], s[0:1], 3
	s_mov_b32 s16, exec_lo
	s_add_nc_u64 s[0:1], s[4:5], s[0:1]
	v_cmpx_gt_u32_e64 s11, v0
	s_cbranch_execz .LBB26_71
; %bb.70:
	s_wait_loadcnt 0x7
	global_load_b64 v[18:19], v0, s[0:1] scale_offset
.LBB26_71:
	s_wait_xcnt 0x0
	s_or_b32 exec_lo, exec_lo, s16
	v_or_b32_e32 v25, 0x100, v0
	s_mov_b32 s16, exec_lo
	s_delay_alu instid0(VALU_DEP_1)
	v_cmpx_gt_u32_e64 s11, v25
	s_cbranch_execz .LBB26_73
; %bb.72:
	s_wait_loadcnt 0x6
	global_load_b64 v[16:17], v0, s[0:1] offset:2048 scale_offset
.LBB26_73:
	s_wait_xcnt 0x0
	s_or_b32 exec_lo, exec_lo, s16
	v_or_b32_e32 v24, 0x200, v0
	s_mov_b32 s16, exec_lo
	s_delay_alu instid0(VALU_DEP_1)
	v_cmpx_gt_u32_e64 s11, v24
	s_cbranch_execz .LBB26_75
; %bb.74:
	s_wait_loadcnt 0x5
	global_load_b64 v[14:15], v0, s[0:1] offset:4096 scale_offset
.LBB26_75:
	;; [unrolled: 11-line block ×7, first 2 shown]
	s_wait_xcnt 0x0
	s_or_b32 exec_lo, exec_lo, s16
	v_cmp_o_f64_e32 vcc_lo, v[10:11], v[10:11]
	v_cmp_gt_u32_e64 s0, s11, v0
	s_and_b32 s1, s0, vcc_lo
	s_delay_alu instid0(SALU_CYCLE_1)
	s_and_saveexec_b32 s0, s1
	s_cbranch_execz .LBB26_89
; %bb.86:
	s_mov_b32 s1, exec_lo
	s_wait_loadcnt 0x0
	v_cmpx_o_f64_e32 v[18:19], v[18:19]
	s_cbranch_execz .LBB26_88
; %bb.87:
	v_cmp_lt_f64_e32 vcc_lo, v[18:19], v[10:11]
	v_dual_cndmask_b32 v19, v11, v19 :: v_dual_cndmask_b32 v18, v10, v18
.LBB26_88:
	s_or_b32 exec_lo, exec_lo, s1
	s_delay_alu instid0(VALU_DEP_1)
	v_mov_b64_e32 v[10:11], v[18:19]
.LBB26_89:
	s_or_b32 exec_lo, exec_lo, s0
	s_delay_alu instid0(VALU_DEP_1) | instskip(SKIP_2) | instid1(SALU_CYCLE_1)
	v_cmp_o_f64_e32 vcc_lo, v[10:11], v[10:11]
	v_cmp_gt_u32_e64 s0, s11, v25
	s_and_b32 s1, s0, vcc_lo
	s_and_saveexec_b32 s0, s1
	s_cbranch_execz .LBB26_93
; %bb.90:
	s_mov_b32 s1, exec_lo
	s_wait_loadcnt 0x0
	v_cmpx_o_f64_e32 v[16:17], v[16:17]
	s_cbranch_execz .LBB26_92
; %bb.91:
	v_cmp_lt_f64_e32 vcc_lo, v[16:17], v[10:11]
	v_dual_cndmask_b32 v17, v11, v17 :: v_dual_cndmask_b32 v16, v10, v16
.LBB26_92:
	s_or_b32 exec_lo, exec_lo, s1
	s_delay_alu instid0(VALU_DEP_1)
	v_mov_b64_e32 v[10:11], v[16:17]
.LBB26_93:
	s_or_b32 exec_lo, exec_lo, s0
	s_delay_alu instid0(VALU_DEP_1) | instskip(SKIP_2) | instid1(SALU_CYCLE_1)
	v_cmp_o_f64_e32 vcc_lo, v[10:11], v[10:11]
	v_cmp_gt_u32_e64 s0, s11, v24
	s_and_b32 s1, s0, vcc_lo
	s_and_saveexec_b32 s0, s1
	s_cbranch_execz .LBB26_97
; %bb.94:
	s_mov_b32 s1, exec_lo
	s_wait_loadcnt 0x0
	v_cmpx_o_f64_e32 v[14:15], v[14:15]
	s_cbranch_execz .LBB26_96
; %bb.95:
	v_cmp_lt_f64_e32 vcc_lo, v[14:15], v[10:11]
	v_dual_cndmask_b32 v15, v11, v15 :: v_dual_cndmask_b32 v14, v10, v14
.LBB26_96:
	s_or_b32 exec_lo, exec_lo, s1
	s_delay_alu instid0(VALU_DEP_1)
	v_mov_b64_e32 v[10:11], v[14:15]
.LBB26_97:
	s_or_b32 exec_lo, exec_lo, s0
	s_delay_alu instid0(VALU_DEP_1) | instskip(SKIP_2) | instid1(SALU_CYCLE_1)
	v_cmp_o_f64_e32 vcc_lo, v[10:11], v[10:11]
	v_cmp_gt_u32_e64 s0, s11, v23
	s_and_b32 s1, s0, vcc_lo
	s_and_saveexec_b32 s0, s1
	s_cbranch_execz .LBB26_101
; %bb.98:
	s_mov_b32 s1, exec_lo
	s_wait_loadcnt 0x0
	v_cmpx_o_f64_e32 v[12:13], v[12:13]
	s_cbranch_execz .LBB26_100
; %bb.99:
	v_cmp_lt_f64_e32 vcc_lo, v[12:13], v[10:11]
	v_dual_cndmask_b32 v13, v11, v13 :: v_dual_cndmask_b32 v12, v10, v12
.LBB26_100:
	s_or_b32 exec_lo, exec_lo, s1
	s_delay_alu instid0(VALU_DEP_1)
	v_mov_b64_e32 v[10:11], v[12:13]
.LBB26_101:
	s_or_b32 exec_lo, exec_lo, s0
	s_delay_alu instid0(VALU_DEP_1) | instskip(SKIP_2) | instid1(SALU_CYCLE_1)
	v_cmp_o_f64_e32 vcc_lo, v[10:11], v[10:11]
	v_cmp_gt_u32_e64 s0, s11, v22
	s_and_b32 s1, s0, vcc_lo
	s_and_saveexec_b32 s0, s1
	s_cbranch_execz .LBB26_105
; %bb.102:
	s_mov_b32 s1, exec_lo
	s_wait_loadcnt 0x0
	v_cmpx_o_f64_e32 v[8:9], v[8:9]
	s_cbranch_execz .LBB26_104
; %bb.103:
	v_cmp_lt_f64_e32 vcc_lo, v[8:9], v[10:11]
	v_dual_cndmask_b32 v9, v11, v9 :: v_dual_cndmask_b32 v8, v10, v8
.LBB26_104:
	s_or_b32 exec_lo, exec_lo, s1
	s_delay_alu instid0(VALU_DEP_1)
	v_mov_b64_e32 v[10:11], v[8:9]
.LBB26_105:
	s_or_b32 exec_lo, exec_lo, s0
	s_delay_alu instid0(VALU_DEP_1) | instskip(SKIP_2) | instid1(SALU_CYCLE_1)
	v_cmp_o_f64_e32 vcc_lo, v[10:11], v[10:11]
	v_cmp_gt_u32_e64 s0, s11, v21
	s_and_b32 s1, s0, vcc_lo
	s_and_saveexec_b32 s0, s1
	s_cbranch_execz .LBB26_109
; %bb.106:
	s_mov_b32 s1, exec_lo
	s_wait_loadcnt 0x0
	v_cmpx_o_f64_e32 v[6:7], v[6:7]
	s_cbranch_execz .LBB26_108
; %bb.107:
	v_cmp_lt_f64_e32 vcc_lo, v[6:7], v[10:11]
	v_dual_cndmask_b32 v7, v11, v7 :: v_dual_cndmask_b32 v6, v10, v6
.LBB26_108:
	s_or_b32 exec_lo, exec_lo, s1
	s_delay_alu instid0(VALU_DEP_1)
	v_mov_b64_e32 v[10:11], v[6:7]
.LBB26_109:
	s_or_b32 exec_lo, exec_lo, s0
	s_delay_alu instid0(VALU_DEP_1) | instskip(SKIP_2) | instid1(SALU_CYCLE_1)
	v_cmp_o_f64_e32 vcc_lo, v[10:11], v[10:11]
	v_cmp_gt_u32_e64 s0, s11, v20
	s_and_b32 s1, s0, vcc_lo
	s_and_saveexec_b32 s0, s1
	s_cbranch_execz .LBB26_113
; %bb.110:
	s_mov_b32 s1, exec_lo
	s_wait_loadcnt 0x0
	v_cmpx_o_f64_e32 v[4:5], v[4:5]
	s_cbranch_execz .LBB26_112
; %bb.111:
	v_cmp_lt_f64_e32 vcc_lo, v[4:5], v[10:11]
	v_dual_cndmask_b32 v5, v11, v5 :: v_dual_cndmask_b32 v4, v10, v4
.LBB26_112:
	s_or_b32 exec_lo, exec_lo, s1
	s_delay_alu instid0(VALU_DEP_1)
	v_mov_b64_e32 v[10:11], v[4:5]
.LBB26_113:
	s_or_b32 exec_lo, exec_lo, s0
	s_delay_alu instid0(VALU_DEP_1) | instskip(SKIP_2) | instid1(SALU_CYCLE_1)
	v_cmp_o_f64_e32 vcc_lo, v[10:11], v[10:11]
	v_cmp_gt_u32_e64 s0, s11, v1
	s_and_b32 s1, s0, vcc_lo
	s_and_saveexec_b32 s0, s1
	s_cbranch_execz .LBB26_117
; %bb.114:
	s_mov_b32 s1, exec_lo
	s_wait_loadcnt 0x0
	v_cmpx_o_f64_e32 v[2:3], v[2:3]
	s_cbranch_execz .LBB26_116
; %bb.115:
	v_cmp_lt_f64_e32 vcc_lo, v[2:3], v[10:11]
	v_dual_cndmask_b32 v3, v11, v3 :: v_dual_cndmask_b32 v2, v10, v2
.LBB26_116:
	s_or_b32 exec_lo, exec_lo, s1
	s_delay_alu instid0(VALU_DEP_1)
	v_mov_b64_e32 v[10:11], v[2:3]
.LBB26_117:
	s_or_b32 exec_lo, exec_lo, s0
	s_wait_loadcnt 0x0
	s_delay_alu instid0(VALU_DEP_1) | instskip(NEXT) | instid1(VALU_DEP_2)
	v_mov_b32_dpp v2, v10 quad_perm:[1,0,3,2] row_mask:0xf bank_mask:0xf
	v_mov_b32_dpp v3, v11 quad_perm:[1,0,3,2] row_mask:0xf bank_mask:0xf
	s_mov_b32 s0, exec_lo
	s_delay_alu instid0(VALU_DEP_1)
	v_cmpx_o_f64_e32 v[2:3], v[2:3]
	s_xor_b32 s0, exec_lo, s0
	s_cbranch_execz .LBB26_121
; %bb.118:
	s_mov_b32 s1, exec_lo
	v_cmpx_o_f64_e32 v[10:11], v[10:11]
	s_cbranch_execz .LBB26_120
; %bb.119:
	v_cmp_lt_f64_e32 vcc_lo, v[10:11], v[2:3]
	v_dual_cndmask_b32 v11, v3, v11 :: v_dual_cndmask_b32 v10, v2, v10
.LBB26_120:
	s_or_b32 exec_lo, exec_lo, s1
	s_delay_alu instid0(VALU_DEP_1)
	v_mov_b64_e32 v[2:3], v[10:11]
.LBB26_121:
	s_or_b32 exec_lo, exec_lo, s0
	s_delay_alu instid0(VALU_DEP_1) | instskip(NEXT) | instid1(VALU_DEP_2)
	v_mov_b32_dpp v4, v2 quad_perm:[2,3,0,1] row_mask:0xf bank_mask:0xf
	v_mov_b32_dpp v5, v3 quad_perm:[2,3,0,1] row_mask:0xf bank_mask:0xf
	s_mov_b32 s0, exec_lo
	s_delay_alu instid0(VALU_DEP_1)
	v_cmpx_o_f64_e32 v[4:5], v[4:5]
	s_cbranch_execz .LBB26_125
; %bb.122:
	s_mov_b32 s1, exec_lo
	v_cmpx_o_f64_e32 v[2:3], v[2:3]
	s_cbranch_execz .LBB26_124
; %bb.123:
	v_cmp_lt_f64_e32 vcc_lo, v[2:3], v[4:5]
	v_dual_cndmask_b32 v3, v5, v3 :: v_dual_cndmask_b32 v2, v4, v2
.LBB26_124:
	s_or_b32 exec_lo, exec_lo, s1
	s_delay_alu instid0(VALU_DEP_1)
	v_mov_b64_e32 v[4:5], v[2:3]
.LBB26_125:
	s_or_b32 exec_lo, exec_lo, s0
	s_delay_alu instid0(VALU_DEP_1) | instskip(NEXT) | instid1(VALU_DEP_2)
	v_mov_b32_dpp v2, v4 row_ror:4 row_mask:0xf bank_mask:0xf
	v_mov_b32_dpp v3, v5 row_ror:4 row_mask:0xf bank_mask:0xf
	s_mov_b32 s0, exec_lo
	s_delay_alu instid0(VALU_DEP_1)
	v_cmpx_o_f64_e32 v[2:3], v[2:3]
	s_cbranch_execz .LBB26_129
; %bb.126:
	s_mov_b32 s1, exec_lo
	v_cmpx_o_f64_e32 v[4:5], v[4:5]
	s_cbranch_execz .LBB26_128
; %bb.127:
	v_cmp_lt_f64_e32 vcc_lo, v[4:5], v[2:3]
	v_dual_cndmask_b32 v5, v3, v5 :: v_dual_cndmask_b32 v4, v2, v4
.LBB26_128:
	s_or_b32 exec_lo, exec_lo, s1
	s_delay_alu instid0(VALU_DEP_1)
	v_mov_b64_e32 v[2:3], v[4:5]
.LBB26_129:
	s_or_b32 exec_lo, exec_lo, s0
	s_delay_alu instid0(VALU_DEP_1) | instskip(NEXT) | instid1(VALU_DEP_2)
	v_mov_b32_dpp v4, v2 row_ror:8 row_mask:0xf bank_mask:0xf
	v_mov_b32_dpp v5, v3 row_ror:8 row_mask:0xf bank_mask:0xf
	s_mov_b32 s0, exec_lo
	s_delay_alu instid0(VALU_DEP_1)
	v_cmpx_o_f64_e32 v[4:5], v[4:5]
	s_cbranch_execz .LBB26_133
; %bb.130:
	s_mov_b32 s1, exec_lo
	v_cmpx_o_f64_e32 v[2:3], v[2:3]
	s_cbranch_execz .LBB26_132
; %bb.131:
	v_cmp_lt_f64_e32 vcc_lo, v[2:3], v[4:5]
	v_dual_cndmask_b32 v3, v5, v3 :: v_dual_cndmask_b32 v2, v4, v2
.LBB26_132:
	s_or_b32 exec_lo, exec_lo, s1
	s_delay_alu instid0(VALU_DEP_1)
	v_mov_b64_e32 v[4:5], v[2:3]
.LBB26_133:
	s_or_b32 exec_lo, exec_lo, s0
	ds_swizzle_b32 v2, v4 offset:swizzle(BROADCAST,32,15)
	ds_swizzle_b32 v3, v5 offset:swizzle(BROADCAST,32,15)
	s_mov_b32 s0, exec_lo
	s_wait_dscnt 0x0
	v_cmpx_o_f64_e32 v[2:3], v[2:3]
	s_cbranch_execz .LBB26_137
; %bb.134:
	s_mov_b32 s1, exec_lo
	v_cmpx_o_f64_e32 v[4:5], v[4:5]
	s_cbranch_execz .LBB26_136
; %bb.135:
	v_cmp_lt_f64_e32 vcc_lo, v[4:5], v[2:3]
	v_dual_cndmask_b32 v5, v3, v5 :: v_dual_cndmask_b32 v4, v2, v4
.LBB26_136:
	s_or_b32 exec_lo, exec_lo, s1
	s_delay_alu instid0(VALU_DEP_1)
	v_mov_b64_e32 v[2:3], v[4:5]
.LBB26_137:
	s_or_b32 exec_lo, exec_lo, s0
	v_mov_b32_e32 v1, 0
	s_mov_b32 s0, exec_lo
	ds_bpermute_b32 v2, v1, v2 offset:124
	ds_bpermute_b32 v3, v1, v3 offset:124
	v_mbcnt_lo_u32_b32 v1, -1, 0
	s_delay_alu instid0(VALU_DEP_1)
	v_cmpx_eq_u32_e32 0, v1
	s_cbranch_execz .LBB26_139
; %bb.138:
	v_lshrrev_b32_e32 v4, 2, v0
	s_delay_alu instid0(VALU_DEP_1)
	v_and_b32_e32 v4, 56, v4
	s_wait_dscnt 0x0
	ds_store_b64 v4, v[2:3]
.LBB26_139:
	s_or_b32 exec_lo, exec_lo, s0
	s_delay_alu instid0(SALU_CYCLE_1)
	s_mov_b32 s1, exec_lo
	s_wait_dscnt 0x0
	s_barrier_signal -1
	s_barrier_wait -1
	v_cmpx_gt_u32_e32 32, v0
	s_cbranch_execz .LBB26_153
; %bb.140:
	v_and_b32_e32 v6, 7, v1
	s_delay_alu instid0(VALU_DEP_1) | instskip(NEXT) | instid1(VALU_DEP_1)
	v_cmp_ne_u32_e64 s0, 7, v6
	v_add_co_ci_u32_e64 v4, null, 0, v1, s0
	s_mov_b32 s0, exec_lo
	v_dual_lshlrev_b32 v5, 2, v4 :: v_dual_lshlrev_b32 v2, 3, v6
	ds_load_b64 v[2:3], v2
	s_wait_dscnt 0x0
	ds_bpermute_b32 v4, v5, v2
	ds_bpermute_b32 v5, v5, v3
	v_cmpx_o_f64_e32 v[2:3], v[2:3]
	s_cbranch_execz .LBB26_144
; %bb.141:
	s_mov_b32 s11, exec_lo
	s_wait_dscnt 0x0
	v_cmpx_o_f64_e32 v[4:5], v[4:5]
	s_cbranch_execz .LBB26_143
; %bb.142:
	v_cmp_gt_f64_e32 vcc_lo, v[2:3], v[4:5]
	v_dual_cndmask_b32 v5, v3, v5 :: v_dual_cndmask_b32 v4, v2, v4
.LBB26_143:
	s_or_b32 exec_lo, exec_lo, s11
	s_delay_alu instid0(VALU_DEP_1)
	v_mov_b64_e32 v[2:3], v[4:5]
.LBB26_144:
	s_or_b32 exec_lo, exec_lo, s0
	v_cmp_gt_u32_e64 s0, 6, v6
	s_wait_dscnt 0x1
	s_delay_alu instid0(VALU_DEP_1) | instskip(SKIP_2) | instid1(VALU_DEP_1)
	v_cndmask_b32_e64 v4, 0, 2, s0
	s_mov_b32 s0, exec_lo
	s_wait_dscnt 0x0
	v_add_lshl_u32 v5, v4, v1, 2
	v_lshlrev_b32_e32 v1, 2, v1
	ds_bpermute_b32 v4, v5, v2
	ds_bpermute_b32 v5, v5, v3
	v_cmpx_o_f64_e32 v[2:3], v[2:3]
	s_cbranch_execz .LBB26_148
; %bb.145:
	s_mov_b32 s11, exec_lo
	s_wait_dscnt 0x0
	v_cmpx_o_f64_e32 v[4:5], v[4:5]
	s_cbranch_execz .LBB26_147
; %bb.146:
	v_cmp_gt_f64_e32 vcc_lo, v[2:3], v[4:5]
	v_dual_cndmask_b32 v5, v3, v5 :: v_dual_cndmask_b32 v4, v2, v4
.LBB26_147:
	s_or_b32 exec_lo, exec_lo, s11
	s_delay_alu instid0(VALU_DEP_1)
	v_mov_b64_e32 v[2:3], v[4:5]
.LBB26_148:
	s_or_b32 exec_lo, exec_lo, s0
	v_or_b32_e32 v1, 16, v1
	s_mov_b32 s0, exec_lo
	s_wait_dscnt 0x1
	ds_bpermute_b32 v4, v1, v2
	s_wait_dscnt 0x1
	ds_bpermute_b32 v5, v1, v3
	v_cmpx_o_f64_e32 v[2:3], v[2:3]
	s_cbranch_execz .LBB26_152
; %bb.149:
	s_mov_b32 s11, exec_lo
	s_wait_dscnt 0x0
	v_cmpx_o_f64_e32 v[4:5], v[4:5]
	s_cbranch_execz .LBB26_151
; %bb.150:
	v_cmp_gt_f64_e32 vcc_lo, v[2:3], v[4:5]
	v_dual_cndmask_b32 v5, v3, v5 :: v_dual_cndmask_b32 v4, v2, v4
.LBB26_151:
	s_or_b32 exec_lo, exec_lo, s11
	s_delay_alu instid0(VALU_DEP_1)
	v_mov_b64_e32 v[2:3], v[4:5]
.LBB26_152:
	s_or_b32 exec_lo, exec_lo, s0
.LBB26_153:
	s_delay_alu instid0(SALU_CYCLE_1)
	s_or_b32 exec_lo, exec_lo, s1
	s_branch .LBB26_252
.LBB26_154:
	s_sub_co_i32 s1, s15, s10
	s_mov_b32 s0, exec_lo
                                        ; implicit-def: $vgpr4_vgpr5
	v_cmpx_gt_u32_e64 s1, v0
	s_cbranch_execz .LBB26_164
; %bb.155:
	v_add_nc_u32_e32 v1, s10, v0
	s_mov_b32 s10, exec_lo
	s_wait_dscnt 0x0
	global_load_b64 v[4:5], v1, s[4:5] scale_offset
	s_wait_xcnt 0x0
	v_add_nc_u32_e32 v1, 0x100, v1
	s_delay_alu instid0(VALU_DEP_1)
	v_cmpx_gt_i32_e64 s15, v1
	s_cbranch_execz .LBB26_163
; %bb.156:
	s_mov_b32 s11, 0
	s_branch .LBB26_159
.LBB26_157:                             ;   in Loop: Header=BB26_159 Depth=1
	s_or_b32 exec_lo, exec_lo, s17
	s_delay_alu instid0(VALU_DEP_1)
	v_mov_b64_e32 v[4:5], v[2:3]
.LBB26_158:                             ;   in Loop: Header=BB26_159 Depth=1
	s_or_b32 exec_lo, exec_lo, s16
	v_add_nc_u32_e32 v1, 0x100, v1
	s_delay_alu instid0(VALU_DEP_1) | instskip(SKIP_1) | instid1(SALU_CYCLE_1)
	v_cmp_le_i32_e32 vcc_lo, s15, v1
	s_or_b32 s11, vcc_lo, s11
	s_and_not1_b32 exec_lo, exec_lo, s11
	s_cbranch_execz .LBB26_162
.LBB26_159:                             ; =>This Inner Loop Header: Depth=1
	s_mov_b32 s16, exec_lo
	s_wait_loadcnt 0x0
	v_cmpx_o_f64_e32 v[4:5], v[4:5]
	s_cbranch_execz .LBB26_158
; %bb.160:                              ;   in Loop: Header=BB26_159 Depth=1
	global_load_b64 v[2:3], v1, s[4:5] scale_offset
	s_mov_b32 s17, exec_lo
	s_wait_loadcnt 0x0
	v_cmpx_o_f64_e32 v[2:3], v[2:3]
	s_cbranch_execz .LBB26_157
; %bb.161:                              ;   in Loop: Header=BB26_159 Depth=1
	v_cmp_lt_f64_e32 vcc_lo, v[2:3], v[4:5]
	v_dual_cndmask_b32 v3, v5, v3 :: v_dual_cndmask_b32 v2, v4, v2
	s_branch .LBB26_157
.LBB26_162:
	s_or_b32 exec_lo, exec_lo, s11
.LBB26_163:
	s_delay_alu instid0(SALU_CYCLE_1)
	s_or_b32 exec_lo, exec_lo, s10
.LBB26_164:
	s_delay_alu instid0(SALU_CYCLE_1)
	s_or_b32 exec_lo, exec_lo, s0
	v_lshrrev_b32_e32 v10, 5, v0
	v_mbcnt_lo_u32_b32 v1, -1, 0
	s_cmp_lt_u32 s1, 0x100
	s_mov_b32 s0, -1
                                        ; implicit-def: $vgpr2_vgpr3
	s_cbranch_scc0 .LBB26_214
; %bb.165:
	s_delay_alu instid0(VALU_DEP_1) | instskip(SKIP_3) | instid1(VALU_DEP_1)
	v_cmp_ne_u32_e32 vcc_lo, 31, v1
	s_wait_loadcnt_dscnt 0x0
	v_dual_mov_b32 v6, v4 :: v_dual_mov_b32 v7, v5
	v_add_co_ci_u32_e64 v2, null, 0, v1, vcc_lo
	v_lshlrev_b32_e32 v2, 2, v2
	ds_bpermute_b32 v8, v2, v4
	ds_bpermute_b32 v9, v2, v5
	v_and_b32_e32 v2, 0xe0, v0
	s_delay_alu instid0(VALU_DEP_1) | instskip(SKIP_1) | instid1(VALU_DEP_1)
	v_sub_nc_u32_e64 v11, s1, v2 clamp
	v_add_nc_u32_e32 v2, 1, v1
	v_cmp_lt_u32_e32 vcc_lo, v2, v11
	v_mov_b64_e32 v[2:3], v[4:5]
	s_and_saveexec_b32 s0, vcc_lo
	s_cbranch_execz .LBB26_171
; %bb.166:
	v_mov_b64_e32 v[6:7], v[4:5]
	s_mov_b32 s4, exec_lo
	v_cmpx_o_f64_e32 v[4:5], v[4:5]
	s_cbranch_execz .LBB26_170
; %bb.167:
	s_mov_b32 s5, exec_lo
	s_wait_dscnt 0x0
	v_cmpx_o_f64_e32 v[8:9], v[8:9]
	s_cbranch_execz .LBB26_169
; %bb.168:
	v_cmp_gt_f64_e32 vcc_lo, v[4:5], v[8:9]
	v_dual_cndmask_b32 v9, v5, v9 :: v_dual_cndmask_b32 v8, v4, v8
.LBB26_169:
	s_or_b32 exec_lo, exec_lo, s5
	s_delay_alu instid0(VALU_DEP_1)
	v_mov_b64_e32 v[6:7], v[8:9]
.LBB26_170:
	s_or_b32 exec_lo, exec_lo, s4
	s_delay_alu instid0(VALU_DEP_1)
	v_mov_b64_e32 v[2:3], v[6:7]
.LBB26_171:
	s_or_b32 exec_lo, exec_lo, s0
	v_cmp_gt_u32_e32 vcc_lo, 30, v1
	v_add_nc_u32_e32 v12, 2, v1
	s_mov_b32 s0, exec_lo
	s_wait_dscnt 0x1
	v_cndmask_b32_e64 v8, 0, 2, vcc_lo
	s_wait_dscnt 0x0
	s_delay_alu instid0(VALU_DEP_1)
	v_add_lshl_u32 v9, v8, v1, 2
	ds_bpermute_b32 v8, v9, v6
	ds_bpermute_b32 v9, v9, v7
	v_cmpx_lt_u32_e64 v12, v11
	s_cbranch_execz .LBB26_177
; %bb.172:
	s_mov_b32 s4, exec_lo
	v_cmpx_o_f64_e32 v[2:3], v[2:3]
	s_cbranch_execz .LBB26_176
; %bb.173:
	s_mov_b32 s5, exec_lo
	s_wait_dscnt 0x0
	v_cmpx_o_f64_e32 v[8:9], v[8:9]
	s_cbranch_execz .LBB26_175
; %bb.174:
	v_cmp_gt_f64_e32 vcc_lo, v[2:3], v[8:9]
	v_dual_cndmask_b32 v9, v3, v9 :: v_dual_cndmask_b32 v8, v2, v8
.LBB26_175:
	s_or_b32 exec_lo, exec_lo, s5
	s_delay_alu instid0(VALU_DEP_1)
	v_mov_b64_e32 v[2:3], v[8:9]
.LBB26_176:
	s_or_b32 exec_lo, exec_lo, s4
	s_delay_alu instid0(VALU_DEP_1)
	v_dual_mov_b32 v6, v2 :: v_dual_mov_b32 v7, v3
.LBB26_177:
	s_or_b32 exec_lo, exec_lo, s0
	v_cmp_gt_u32_e32 vcc_lo, 28, v1
	v_add_nc_u32_e32 v12, 4, v1
	s_mov_b32 s0, exec_lo
	s_wait_dscnt 0x1
	v_cndmask_b32_e64 v8, 0, 4, vcc_lo
	s_wait_dscnt 0x0
	s_delay_alu instid0(VALU_DEP_1)
	v_add_lshl_u32 v9, v8, v1, 2
	ds_bpermute_b32 v8, v9, v6
	ds_bpermute_b32 v9, v9, v7
	v_cmpx_lt_u32_e64 v12, v11
	s_cbranch_execz .LBB26_183
; %bb.178:
	s_mov_b32 s4, exec_lo
	v_cmpx_o_f64_e32 v[2:3], v[2:3]
	s_cbranch_execz .LBB26_182
; %bb.179:
	s_mov_b32 s5, exec_lo
	s_wait_dscnt 0x0
	v_cmpx_o_f64_e32 v[8:9], v[8:9]
	s_cbranch_execz .LBB26_181
; %bb.180:
	v_cmp_gt_f64_e32 vcc_lo, v[2:3], v[8:9]
	v_dual_cndmask_b32 v9, v3, v9 :: v_dual_cndmask_b32 v8, v2, v8
.LBB26_181:
	s_or_b32 exec_lo, exec_lo, s5
	s_delay_alu instid0(VALU_DEP_1)
	v_mov_b64_e32 v[2:3], v[8:9]
.LBB26_182:
	s_or_b32 exec_lo, exec_lo, s4
	s_delay_alu instid0(VALU_DEP_1)
	v_dual_mov_b32 v6, v2 :: v_dual_mov_b32 v7, v3
.LBB26_183:
	;; [unrolled: 34-line block ×3, first 2 shown]
	s_or_b32 exec_lo, exec_lo, s0
	v_cmp_o_f64_e32 vcc_lo, v[2:3], v[2:3]
	s_wait_dscnt 0x1
	v_lshlrev_b32_e32 v8, 2, v1
	s_wait_dscnt 0x0
	s_delay_alu instid0(VALU_DEP_1) | instskip(SKIP_3) | instid1(VALU_DEP_1)
	v_or_b32_e32 v9, 64, v8
	ds_bpermute_b32 v6, v9, v6
	ds_bpermute_b32 v7, v9, v7
	v_add_nc_u32_e32 v9, 16, v1
	v_cmp_lt_u32_e64 s0, v9, v11
	s_and_b32 s4, s0, vcc_lo
	s_delay_alu instid0(SALU_CYCLE_1)
	s_and_saveexec_b32 s0, s4
	s_cbranch_execz .LBB26_193
; %bb.190:
	s_mov_b32 s4, exec_lo
	s_wait_dscnt 0x0
	v_cmpx_o_f64_e32 v[6:7], v[6:7]
	s_cbranch_execz .LBB26_192
; %bb.191:
	v_cmp_gt_f64_e32 vcc_lo, v[2:3], v[6:7]
	v_dual_cndmask_b32 v7, v3, v7 :: v_dual_cndmask_b32 v6, v2, v6
.LBB26_192:
	s_or_b32 exec_lo, exec_lo, s4
	s_delay_alu instid0(VALU_DEP_1)
	v_mov_b64_e32 v[2:3], v[6:7]
.LBB26_193:
	s_or_b32 exec_lo, exec_lo, s0
	s_delay_alu instid0(SALU_CYCLE_1)
	s_mov_b32 s0, exec_lo
	v_cmpx_eq_u32_e32 0, v1
	s_cbranch_execz .LBB26_195
; %bb.194:
	s_wait_dscnt 0x1
	v_lshlrev_b32_e32 v6, 3, v10
	ds_store_b64 v6, v[2:3]
.LBB26_195:
	s_or_b32 exec_lo, exec_lo, s0
	s_delay_alu instid0(SALU_CYCLE_1)
	s_mov_b32 s4, exec_lo
	s_wait_dscnt 0x0
	s_barrier_signal -1
	s_barrier_wait -1
	v_cmpx_gt_u32_e32 8, v0
	s_cbranch_execz .LBB26_213
; %bb.196:
	v_dual_lshlrev_b32 v2, 3, v1 :: v_dual_bitop2_b32 v9, 7, v1 bitop3:0x40
	s_add_co_i32 s1, s1, 31
	s_delay_alu instid0(SALU_CYCLE_1)
	s_lshr_b32 s0, s1, 5
	ds_load_b64 v[2:3], v2
	v_cmp_ne_u32_e32 vcc_lo, 7, v9
	s_mov_b32 s1, exec_lo
	v_add_nc_u32_e32 v11, 1, v9
	v_add_co_ci_u32_e64 v6, null, 0, v1, vcc_lo
	s_delay_alu instid0(VALU_DEP_1)
	v_lshlrev_b32_e32 v7, 2, v6
	s_wait_dscnt 0x0
	ds_bpermute_b32 v6, v7, v2
	ds_bpermute_b32 v7, v7, v3
	v_cmpx_gt_u32_e64 s0, v11
	s_cbranch_execz .LBB26_202
; %bb.197:
	s_mov_b32 s5, exec_lo
	v_cmpx_o_f64_e32 v[2:3], v[2:3]
	s_cbranch_execz .LBB26_201
; %bb.198:
	s_mov_b32 s10, exec_lo
	s_wait_dscnt 0x0
	v_cmpx_o_f64_e32 v[6:7], v[6:7]
	s_cbranch_execz .LBB26_200
; %bb.199:
	v_cmp_gt_f64_e32 vcc_lo, v[2:3], v[6:7]
	v_dual_cndmask_b32 v7, v3, v7 :: v_dual_cndmask_b32 v6, v2, v6
.LBB26_200:
	s_or_b32 exec_lo, exec_lo, s10
	s_delay_alu instid0(VALU_DEP_1)
	v_mov_b64_e32 v[2:3], v[6:7]
.LBB26_201:
	s_or_b32 exec_lo, exec_lo, s5
.LBB26_202:
	s_delay_alu instid0(SALU_CYCLE_1)
	s_or_b32 exec_lo, exec_lo, s1
	v_cmp_gt_u32_e32 vcc_lo, 6, v9
	v_add_nc_u32_e32 v11, 2, v9
	s_mov_b32 s1, exec_lo
	s_wait_dscnt 0x1
	v_cndmask_b32_e64 v6, 0, 2, vcc_lo
	s_wait_dscnt 0x0
	s_delay_alu instid0(VALU_DEP_1)
	v_add_lshl_u32 v7, v6, v1, 2
	ds_bpermute_b32 v6, v7, v2
	ds_bpermute_b32 v7, v7, v3
	v_cmpx_gt_u32_e64 s0, v11
	s_cbranch_execz .LBB26_208
; %bb.203:
	s_mov_b32 s5, exec_lo
	v_cmpx_o_f64_e32 v[2:3], v[2:3]
	s_cbranch_execz .LBB26_207
; %bb.204:
	s_mov_b32 s10, exec_lo
	s_wait_dscnt 0x0
	v_cmpx_o_f64_e32 v[6:7], v[6:7]
	s_cbranch_execz .LBB26_206
; %bb.205:
	v_cmp_gt_f64_e32 vcc_lo, v[2:3], v[6:7]
	v_dual_cndmask_b32 v7, v3, v7 :: v_dual_cndmask_b32 v6, v2, v6
.LBB26_206:
	s_or_b32 exec_lo, exec_lo, s10
	s_delay_alu instid0(VALU_DEP_1)
	v_mov_b64_e32 v[2:3], v[6:7]
.LBB26_207:
	s_or_b32 exec_lo, exec_lo, s5
.LBB26_208:
	s_delay_alu instid0(SALU_CYCLE_1) | instskip(NEXT) | instid1(VALU_DEP_1)
	s_or_b32 exec_lo, exec_lo, s1
	v_cmp_o_f64_e32 vcc_lo, v[2:3], v[2:3]
	s_wait_dscnt 0x0
	v_dual_add_nc_u32 v8, 4, v9 :: v_dual_bitop2_b32 v7, 16, v8 bitop3:0x54
	ds_bpermute_b32 v6, v7, v2
	ds_bpermute_b32 v7, v7, v3
	v_cmp_gt_u32_e64 s0, s0, v8
	s_and_b32 s1, s0, vcc_lo
	s_delay_alu instid0(SALU_CYCLE_1)
	s_and_saveexec_b32 s0, s1
	s_cbranch_execz .LBB26_212
; %bb.209:
	s_mov_b32 s1, exec_lo
	s_wait_dscnt 0x0
	v_cmpx_o_f64_e32 v[6:7], v[6:7]
	s_cbranch_execz .LBB26_211
; %bb.210:
	v_cmp_gt_f64_e32 vcc_lo, v[2:3], v[6:7]
	v_dual_cndmask_b32 v7, v3, v7 :: v_dual_cndmask_b32 v6, v2, v6
.LBB26_211:
	s_or_b32 exec_lo, exec_lo, s1
	s_delay_alu instid0(VALU_DEP_1)
	v_mov_b64_e32 v[2:3], v[6:7]
.LBB26_212:
	s_or_b32 exec_lo, exec_lo, s0
.LBB26_213:
	s_delay_alu instid0(SALU_CYCLE_1)
	s_or_b32 exec_lo, exec_lo, s4
	s_mov_b32 s0, 0
.LBB26_214:
	s_delay_alu instid0(SALU_CYCLE_1)
	s_and_b32 vcc_lo, exec_lo, s0
	s_cbranch_vccz .LBB26_252
; %bb.215:
	s_wait_loadcnt_dscnt 0x1
	v_mov_b32_dpp v2, v4 quad_perm:[1,0,3,2] row_mask:0xf bank_mask:0xf
	s_wait_dscnt 0x0
	v_mov_b32_dpp v3, v5 quad_perm:[1,0,3,2] row_mask:0xf bank_mask:0xf
	s_mov_b32 s0, exec_lo
	s_delay_alu instid0(VALU_DEP_1)
	v_cmpx_o_f64_e32 v[2:3], v[2:3]
	s_cbranch_execz .LBB26_219
; %bb.216:
	s_mov_b32 s1, exec_lo
	v_cmpx_o_f64_e32 v[4:5], v[4:5]
	s_cbranch_execz .LBB26_218
; %bb.217:
	v_cmp_lt_f64_e32 vcc_lo, v[4:5], v[2:3]
	v_dual_cndmask_b32 v5, v3, v5 :: v_dual_cndmask_b32 v4, v2, v4
.LBB26_218:
	s_or_b32 exec_lo, exec_lo, s1
	s_delay_alu instid0(VALU_DEP_1)
	v_mov_b64_e32 v[2:3], v[4:5]
.LBB26_219:
	s_or_b32 exec_lo, exec_lo, s0
	s_delay_alu instid0(VALU_DEP_1) | instskip(NEXT) | instid1(VALU_DEP_2)
	v_mov_b32_dpp v4, v2 quad_perm:[2,3,0,1] row_mask:0xf bank_mask:0xf
	v_mov_b32_dpp v5, v3 quad_perm:[2,3,0,1] row_mask:0xf bank_mask:0xf
	s_mov_b32 s0, exec_lo
	s_delay_alu instid0(VALU_DEP_1)
	v_cmpx_o_f64_e32 v[4:5], v[4:5]
	s_cbranch_execz .LBB26_223
; %bb.220:
	s_mov_b32 s1, exec_lo
	v_cmpx_o_f64_e32 v[2:3], v[2:3]
	s_cbranch_execz .LBB26_222
; %bb.221:
	v_cmp_lt_f64_e32 vcc_lo, v[2:3], v[4:5]
	v_dual_cndmask_b32 v3, v5, v3 :: v_dual_cndmask_b32 v2, v4, v2
.LBB26_222:
	s_or_b32 exec_lo, exec_lo, s1
	s_delay_alu instid0(VALU_DEP_1)
	v_mov_b64_e32 v[4:5], v[2:3]
.LBB26_223:
	s_or_b32 exec_lo, exec_lo, s0
	s_delay_alu instid0(VALU_DEP_1) | instskip(NEXT) | instid1(VALU_DEP_2)
	v_mov_b32_dpp v2, v4 row_ror:4 row_mask:0xf bank_mask:0xf
	v_mov_b32_dpp v3, v5 row_ror:4 row_mask:0xf bank_mask:0xf
	s_mov_b32 s0, exec_lo
	s_delay_alu instid0(VALU_DEP_1)
	v_cmpx_o_f64_e32 v[2:3], v[2:3]
	s_cbranch_execz .LBB26_227
; %bb.224:
	s_mov_b32 s1, exec_lo
	v_cmpx_o_f64_e32 v[4:5], v[4:5]
	s_cbranch_execz .LBB26_226
; %bb.225:
	v_cmp_lt_f64_e32 vcc_lo, v[4:5], v[2:3]
	v_dual_cndmask_b32 v5, v3, v5 :: v_dual_cndmask_b32 v4, v2, v4
.LBB26_226:
	s_or_b32 exec_lo, exec_lo, s1
	s_delay_alu instid0(VALU_DEP_1)
	v_mov_b64_e32 v[2:3], v[4:5]
.LBB26_227:
	s_or_b32 exec_lo, exec_lo, s0
	s_delay_alu instid0(VALU_DEP_1) | instskip(NEXT) | instid1(VALU_DEP_2)
	v_mov_b32_dpp v4, v2 row_ror:8 row_mask:0xf bank_mask:0xf
	v_mov_b32_dpp v5, v3 row_ror:8 row_mask:0xf bank_mask:0xf
	s_mov_b32 s0, exec_lo
	s_delay_alu instid0(VALU_DEP_1)
	v_cmpx_o_f64_e32 v[4:5], v[4:5]
	s_cbranch_execz .LBB26_231
; %bb.228:
	s_mov_b32 s1, exec_lo
	v_cmpx_o_f64_e32 v[2:3], v[2:3]
	s_cbranch_execz .LBB26_230
; %bb.229:
	v_cmp_lt_f64_e32 vcc_lo, v[2:3], v[4:5]
	v_dual_cndmask_b32 v3, v5, v3 :: v_dual_cndmask_b32 v2, v4, v2
.LBB26_230:
	s_or_b32 exec_lo, exec_lo, s1
	s_delay_alu instid0(VALU_DEP_1)
	v_mov_b64_e32 v[4:5], v[2:3]
.LBB26_231:
	s_or_b32 exec_lo, exec_lo, s0
	ds_swizzle_b32 v2, v4 offset:swizzle(BROADCAST,32,15)
	ds_swizzle_b32 v3, v5 offset:swizzle(BROADCAST,32,15)
	s_mov_b32 s0, exec_lo
	s_wait_dscnt 0x0
	v_cmpx_o_f64_e32 v[2:3], v[2:3]
	s_cbranch_execz .LBB26_235
; %bb.232:
	s_mov_b32 s1, exec_lo
	v_cmpx_o_f64_e32 v[4:5], v[4:5]
	s_cbranch_execz .LBB26_234
; %bb.233:
	v_cmp_lt_f64_e32 vcc_lo, v[4:5], v[2:3]
	v_dual_cndmask_b32 v5, v3, v5 :: v_dual_cndmask_b32 v4, v2, v4
.LBB26_234:
	s_or_b32 exec_lo, exec_lo, s1
	s_delay_alu instid0(VALU_DEP_1)
	v_mov_b64_e32 v[2:3], v[4:5]
.LBB26_235:
	s_or_b32 exec_lo, exec_lo, s0
	v_mov_b32_e32 v4, 0
	s_mov_b32 s0, exec_lo
	ds_bpermute_b32 v2, v4, v2 offset:124
	ds_bpermute_b32 v3, v4, v3 offset:124
	v_cmpx_eq_u32_e32 0, v1
	s_cbranch_execz .LBB26_237
; %bb.236:
	v_lshlrev_b32_e32 v4, 3, v10
	s_wait_dscnt 0x0
	ds_store_b64 v4, v[2:3]
.LBB26_237:
	s_or_b32 exec_lo, exec_lo, s0
	s_delay_alu instid0(SALU_CYCLE_1)
	s_mov_b32 s1, exec_lo
	s_wait_dscnt 0x0
	s_barrier_signal -1
	s_barrier_wait -1
	v_cmpx_gt_u32_e32 32, v0
	s_cbranch_execz .LBB26_251
; %bb.238:
	v_and_b32_e32 v6, 7, v1
	s_delay_alu instid0(VALU_DEP_1) | instskip(NEXT) | instid1(VALU_DEP_1)
	v_cmp_ne_u32_e64 s0, 7, v6
	v_add_co_ci_u32_e64 v4, null, 0, v1, s0
	s_mov_b32 s0, exec_lo
	v_dual_lshlrev_b32 v5, 2, v4 :: v_dual_lshlrev_b32 v2, 3, v6
	ds_load_b64 v[2:3], v2
	s_wait_dscnt 0x0
	ds_bpermute_b32 v4, v5, v2
	ds_bpermute_b32 v5, v5, v3
	v_cmpx_o_f64_e32 v[2:3], v[2:3]
	s_cbranch_execz .LBB26_242
; %bb.239:
	s_mov_b32 s4, exec_lo
	s_wait_dscnt 0x0
	v_cmpx_o_f64_e32 v[4:5], v[4:5]
	s_cbranch_execz .LBB26_241
; %bb.240:
	v_cmp_gt_f64_e32 vcc_lo, v[2:3], v[4:5]
	v_dual_cndmask_b32 v5, v3, v5 :: v_dual_cndmask_b32 v4, v2, v4
.LBB26_241:
	s_or_b32 exec_lo, exec_lo, s4
	s_delay_alu instid0(VALU_DEP_1)
	v_mov_b64_e32 v[2:3], v[4:5]
.LBB26_242:
	s_or_b32 exec_lo, exec_lo, s0
	v_cmp_gt_u32_e64 s0, 6, v6
	s_wait_dscnt 0x1
	s_delay_alu instid0(VALU_DEP_1) | instskip(SKIP_2) | instid1(VALU_DEP_1)
	v_cndmask_b32_e64 v4, 0, 2, s0
	s_mov_b32 s0, exec_lo
	s_wait_dscnt 0x0
	v_add_lshl_u32 v5, v4, v1, 2
	v_lshlrev_b32_e32 v1, 2, v1
	ds_bpermute_b32 v4, v5, v2
	ds_bpermute_b32 v5, v5, v3
	v_cmpx_o_f64_e32 v[2:3], v[2:3]
	s_cbranch_execz .LBB26_246
; %bb.243:
	s_mov_b32 s4, exec_lo
	s_wait_dscnt 0x0
	v_cmpx_o_f64_e32 v[4:5], v[4:5]
	s_cbranch_execz .LBB26_245
; %bb.244:
	v_cmp_gt_f64_e32 vcc_lo, v[2:3], v[4:5]
	v_dual_cndmask_b32 v5, v3, v5 :: v_dual_cndmask_b32 v4, v2, v4
.LBB26_245:
	s_or_b32 exec_lo, exec_lo, s4
	s_delay_alu instid0(VALU_DEP_1)
	v_mov_b64_e32 v[2:3], v[4:5]
.LBB26_246:
	s_or_b32 exec_lo, exec_lo, s0
	v_or_b32_e32 v1, 16, v1
	s_mov_b32 s0, exec_lo
	s_wait_dscnt 0x1
	ds_bpermute_b32 v4, v1, v2
	s_wait_dscnt 0x1
	ds_bpermute_b32 v5, v1, v3
	v_cmpx_o_f64_e32 v[2:3], v[2:3]
	s_cbranch_execz .LBB26_250
; %bb.247:
	s_mov_b32 s4, exec_lo
	s_wait_dscnt 0x0
	v_cmpx_o_f64_e32 v[4:5], v[4:5]
	s_cbranch_execz .LBB26_249
; %bb.248:
	v_cmp_gt_f64_e32 vcc_lo, v[2:3], v[4:5]
	v_dual_cndmask_b32 v5, v3, v5 :: v_dual_cndmask_b32 v4, v2, v4
.LBB26_249:
	s_or_b32 exec_lo, exec_lo, s4
	s_delay_alu instid0(VALU_DEP_1)
	v_mov_b64_e32 v[2:3], v[4:5]
.LBB26_250:
	s_or_b32 exec_lo, exec_lo, s0
.LBB26_251:
	s_delay_alu instid0(SALU_CYCLE_1)
	s_or_b32 exec_lo, exec_lo, s1
.LBB26_252:
	s_delay_alu instid0(SALU_CYCLE_1)
	s_mov_b32 s0, exec_lo
                                        ; implicit-def: $vgpr4_vgpr5
	v_cmpx_eq_u32_e32 0, v0
	s_cbranch_execz .LBB26_258
; %bb.253:
	v_cmp_u_f64_e64 s1, s[12:13], s[12:13]
	s_wait_loadcnt_dscnt 0x0
	v_mov_b64_e32 v[4:5], s[12:13]
	s_and_b32 vcc_lo, exec_lo, s1
	s_cbranch_vccnz .LBB26_257
; %bb.254:
	s_mov_b32 s1, exec_lo
	v_cmpx_o_f64_e32 v[2:3], v[2:3]
	s_cbranch_execz .LBB26_256
; %bb.255:
	v_cmp_gt_f64_e32 vcc_lo, s[12:13], v[2:3]
	v_cndmask_b32_e32 v3, s13, v3, vcc_lo
	v_cndmask_b32_e32 v2, s12, v2, vcc_lo
.LBB26_256:
	s_or_b32 exec_lo, exec_lo, s1
	s_delay_alu instid0(VALU_DEP_1)
	v_mov_b64_e32 v[4:5], v[2:3]
.LBB26_257:
	s_or_b32 s14, s14, exec_lo
.LBB26_258:
	s_or_b32 exec_lo, exec_lo, s0
	s_and_saveexec_b32 s0, s14
	s_cbranch_execz .LBB26_260
.LBB26_259:
	s_lshl_b64 s[0:1], s[8:9], 3
	v_mov_b32_e32 v0, 0
	s_add_nc_u64 s[0:1], s[6:7], s[0:1]
	s_lshl_b64 s[2:3], s[2:3], 3
	s_delay_alu instid0(SALU_CYCLE_1)
	s_add_nc_u64 s[0:1], s[0:1], s[2:3]
	s_wait_loadcnt_dscnt 0x0
	global_store_b64 v0, v[4:5], s[0:1]
.LBB26_260:
	s_endpgm
	.section	.rodata,"a",@progbits
	.p2align	6, 0x0
	.amdhsa_kernel _ZN7rocprim17ROCPRIM_400000_NS6detail17trampoline_kernelINS0_14default_configENS1_32segmented_reduce_config_selectorIdEEZNS1_21segmented_reduce_implIS3_PKdPdPKidN6hipcub16HIPCUB_304000_NS6detail27convert_result_type_wrapperIS8_S9_N2at6native12_GLOBAL__N_19CustomMinEEEEE10hipError_tPvRmT0_T1_jT2_SQ_T4_T3_P12ihipStream_tbEUlT_E_NS1_11comp_targetILNS1_3genE0ELNS1_11target_archE4294967295ELNS1_3gpuE0ELNS1_3repE0EEENS1_30default_config_static_selectorELNS0_4arch9wavefront6targetE0EEEvSP_
		.amdhsa_group_segment_fixed_size 64
		.amdhsa_private_segment_fixed_size 0
		.amdhsa_kernarg_size 56
		.amdhsa_user_sgpr_count 2
		.amdhsa_user_sgpr_dispatch_ptr 0
		.amdhsa_user_sgpr_queue_ptr 0
		.amdhsa_user_sgpr_kernarg_segment_ptr 1
		.amdhsa_user_sgpr_dispatch_id 0
		.amdhsa_user_sgpr_kernarg_preload_length 0
		.amdhsa_user_sgpr_kernarg_preload_offset 0
		.amdhsa_user_sgpr_private_segment_size 0
		.amdhsa_wavefront_size32 1
		.amdhsa_uses_dynamic_stack 0
		.amdhsa_enable_private_segment 0
		.amdhsa_system_sgpr_workgroup_id_x 1
		.amdhsa_system_sgpr_workgroup_id_y 0
		.amdhsa_system_sgpr_workgroup_id_z 0
		.amdhsa_system_sgpr_workgroup_info 0
		.amdhsa_system_vgpr_workitem_id 0
		.amdhsa_next_free_vgpr 26
		.amdhsa_next_free_sgpr 18
		.amdhsa_named_barrier_count 0
		.amdhsa_reserve_vcc 1
		.amdhsa_float_round_mode_32 0
		.amdhsa_float_round_mode_16_64 0
		.amdhsa_float_denorm_mode_32 3
		.amdhsa_float_denorm_mode_16_64 3
		.amdhsa_fp16_overflow 0
		.amdhsa_memory_ordered 1
		.amdhsa_forward_progress 1
		.amdhsa_inst_pref_size 44
		.amdhsa_round_robin_scheduling 0
		.amdhsa_exception_fp_ieee_invalid_op 0
		.amdhsa_exception_fp_denorm_src 0
		.amdhsa_exception_fp_ieee_div_zero 0
		.amdhsa_exception_fp_ieee_overflow 0
		.amdhsa_exception_fp_ieee_underflow 0
		.amdhsa_exception_fp_ieee_inexact 0
		.amdhsa_exception_int_div_zero 0
	.end_amdhsa_kernel
	.section	.text._ZN7rocprim17ROCPRIM_400000_NS6detail17trampoline_kernelINS0_14default_configENS1_32segmented_reduce_config_selectorIdEEZNS1_21segmented_reduce_implIS3_PKdPdPKidN6hipcub16HIPCUB_304000_NS6detail27convert_result_type_wrapperIS8_S9_N2at6native12_GLOBAL__N_19CustomMinEEEEE10hipError_tPvRmT0_T1_jT2_SQ_T4_T3_P12ihipStream_tbEUlT_E_NS1_11comp_targetILNS1_3genE0ELNS1_11target_archE4294967295ELNS1_3gpuE0ELNS1_3repE0EEENS1_30default_config_static_selectorELNS0_4arch9wavefront6targetE0EEEvSP_,"axG",@progbits,_ZN7rocprim17ROCPRIM_400000_NS6detail17trampoline_kernelINS0_14default_configENS1_32segmented_reduce_config_selectorIdEEZNS1_21segmented_reduce_implIS3_PKdPdPKidN6hipcub16HIPCUB_304000_NS6detail27convert_result_type_wrapperIS8_S9_N2at6native12_GLOBAL__N_19CustomMinEEEEE10hipError_tPvRmT0_T1_jT2_SQ_T4_T3_P12ihipStream_tbEUlT_E_NS1_11comp_targetILNS1_3genE0ELNS1_11target_archE4294967295ELNS1_3gpuE0ELNS1_3repE0EEENS1_30default_config_static_selectorELNS0_4arch9wavefront6targetE0EEEvSP_,comdat
.Lfunc_end26:
	.size	_ZN7rocprim17ROCPRIM_400000_NS6detail17trampoline_kernelINS0_14default_configENS1_32segmented_reduce_config_selectorIdEEZNS1_21segmented_reduce_implIS3_PKdPdPKidN6hipcub16HIPCUB_304000_NS6detail27convert_result_type_wrapperIS8_S9_N2at6native12_GLOBAL__N_19CustomMinEEEEE10hipError_tPvRmT0_T1_jT2_SQ_T4_T3_P12ihipStream_tbEUlT_E_NS1_11comp_targetILNS1_3genE0ELNS1_11target_archE4294967295ELNS1_3gpuE0ELNS1_3repE0EEENS1_30default_config_static_selectorELNS0_4arch9wavefront6targetE0EEEvSP_, .Lfunc_end26-_ZN7rocprim17ROCPRIM_400000_NS6detail17trampoline_kernelINS0_14default_configENS1_32segmented_reduce_config_selectorIdEEZNS1_21segmented_reduce_implIS3_PKdPdPKidN6hipcub16HIPCUB_304000_NS6detail27convert_result_type_wrapperIS8_S9_N2at6native12_GLOBAL__N_19CustomMinEEEEE10hipError_tPvRmT0_T1_jT2_SQ_T4_T3_P12ihipStream_tbEUlT_E_NS1_11comp_targetILNS1_3genE0ELNS1_11target_archE4294967295ELNS1_3gpuE0ELNS1_3repE0EEENS1_30default_config_static_selectorELNS0_4arch9wavefront6targetE0EEEvSP_
                                        ; -- End function
	.set _ZN7rocprim17ROCPRIM_400000_NS6detail17trampoline_kernelINS0_14default_configENS1_32segmented_reduce_config_selectorIdEEZNS1_21segmented_reduce_implIS3_PKdPdPKidN6hipcub16HIPCUB_304000_NS6detail27convert_result_type_wrapperIS8_S9_N2at6native12_GLOBAL__N_19CustomMinEEEEE10hipError_tPvRmT0_T1_jT2_SQ_T4_T3_P12ihipStream_tbEUlT_E_NS1_11comp_targetILNS1_3genE0ELNS1_11target_archE4294967295ELNS1_3gpuE0ELNS1_3repE0EEENS1_30default_config_static_selectorELNS0_4arch9wavefront6targetE0EEEvSP_.num_vgpr, 26
	.set _ZN7rocprim17ROCPRIM_400000_NS6detail17trampoline_kernelINS0_14default_configENS1_32segmented_reduce_config_selectorIdEEZNS1_21segmented_reduce_implIS3_PKdPdPKidN6hipcub16HIPCUB_304000_NS6detail27convert_result_type_wrapperIS8_S9_N2at6native12_GLOBAL__N_19CustomMinEEEEE10hipError_tPvRmT0_T1_jT2_SQ_T4_T3_P12ihipStream_tbEUlT_E_NS1_11comp_targetILNS1_3genE0ELNS1_11target_archE4294967295ELNS1_3gpuE0ELNS1_3repE0EEENS1_30default_config_static_selectorELNS0_4arch9wavefront6targetE0EEEvSP_.num_agpr, 0
	.set _ZN7rocprim17ROCPRIM_400000_NS6detail17trampoline_kernelINS0_14default_configENS1_32segmented_reduce_config_selectorIdEEZNS1_21segmented_reduce_implIS3_PKdPdPKidN6hipcub16HIPCUB_304000_NS6detail27convert_result_type_wrapperIS8_S9_N2at6native12_GLOBAL__N_19CustomMinEEEEE10hipError_tPvRmT0_T1_jT2_SQ_T4_T3_P12ihipStream_tbEUlT_E_NS1_11comp_targetILNS1_3genE0ELNS1_11target_archE4294967295ELNS1_3gpuE0ELNS1_3repE0EEENS1_30default_config_static_selectorELNS0_4arch9wavefront6targetE0EEEvSP_.numbered_sgpr, 18
	.set _ZN7rocprim17ROCPRIM_400000_NS6detail17trampoline_kernelINS0_14default_configENS1_32segmented_reduce_config_selectorIdEEZNS1_21segmented_reduce_implIS3_PKdPdPKidN6hipcub16HIPCUB_304000_NS6detail27convert_result_type_wrapperIS8_S9_N2at6native12_GLOBAL__N_19CustomMinEEEEE10hipError_tPvRmT0_T1_jT2_SQ_T4_T3_P12ihipStream_tbEUlT_E_NS1_11comp_targetILNS1_3genE0ELNS1_11target_archE4294967295ELNS1_3gpuE0ELNS1_3repE0EEENS1_30default_config_static_selectorELNS0_4arch9wavefront6targetE0EEEvSP_.num_named_barrier, 0
	.set _ZN7rocprim17ROCPRIM_400000_NS6detail17trampoline_kernelINS0_14default_configENS1_32segmented_reduce_config_selectorIdEEZNS1_21segmented_reduce_implIS3_PKdPdPKidN6hipcub16HIPCUB_304000_NS6detail27convert_result_type_wrapperIS8_S9_N2at6native12_GLOBAL__N_19CustomMinEEEEE10hipError_tPvRmT0_T1_jT2_SQ_T4_T3_P12ihipStream_tbEUlT_E_NS1_11comp_targetILNS1_3genE0ELNS1_11target_archE4294967295ELNS1_3gpuE0ELNS1_3repE0EEENS1_30default_config_static_selectorELNS0_4arch9wavefront6targetE0EEEvSP_.private_seg_size, 0
	.set _ZN7rocprim17ROCPRIM_400000_NS6detail17trampoline_kernelINS0_14default_configENS1_32segmented_reduce_config_selectorIdEEZNS1_21segmented_reduce_implIS3_PKdPdPKidN6hipcub16HIPCUB_304000_NS6detail27convert_result_type_wrapperIS8_S9_N2at6native12_GLOBAL__N_19CustomMinEEEEE10hipError_tPvRmT0_T1_jT2_SQ_T4_T3_P12ihipStream_tbEUlT_E_NS1_11comp_targetILNS1_3genE0ELNS1_11target_archE4294967295ELNS1_3gpuE0ELNS1_3repE0EEENS1_30default_config_static_selectorELNS0_4arch9wavefront6targetE0EEEvSP_.uses_vcc, 1
	.set _ZN7rocprim17ROCPRIM_400000_NS6detail17trampoline_kernelINS0_14default_configENS1_32segmented_reduce_config_selectorIdEEZNS1_21segmented_reduce_implIS3_PKdPdPKidN6hipcub16HIPCUB_304000_NS6detail27convert_result_type_wrapperIS8_S9_N2at6native12_GLOBAL__N_19CustomMinEEEEE10hipError_tPvRmT0_T1_jT2_SQ_T4_T3_P12ihipStream_tbEUlT_E_NS1_11comp_targetILNS1_3genE0ELNS1_11target_archE4294967295ELNS1_3gpuE0ELNS1_3repE0EEENS1_30default_config_static_selectorELNS0_4arch9wavefront6targetE0EEEvSP_.uses_flat_scratch, 0
	.set _ZN7rocprim17ROCPRIM_400000_NS6detail17trampoline_kernelINS0_14default_configENS1_32segmented_reduce_config_selectorIdEEZNS1_21segmented_reduce_implIS3_PKdPdPKidN6hipcub16HIPCUB_304000_NS6detail27convert_result_type_wrapperIS8_S9_N2at6native12_GLOBAL__N_19CustomMinEEEEE10hipError_tPvRmT0_T1_jT2_SQ_T4_T3_P12ihipStream_tbEUlT_E_NS1_11comp_targetILNS1_3genE0ELNS1_11target_archE4294967295ELNS1_3gpuE0ELNS1_3repE0EEENS1_30default_config_static_selectorELNS0_4arch9wavefront6targetE0EEEvSP_.has_dyn_sized_stack, 0
	.set _ZN7rocprim17ROCPRIM_400000_NS6detail17trampoline_kernelINS0_14default_configENS1_32segmented_reduce_config_selectorIdEEZNS1_21segmented_reduce_implIS3_PKdPdPKidN6hipcub16HIPCUB_304000_NS6detail27convert_result_type_wrapperIS8_S9_N2at6native12_GLOBAL__N_19CustomMinEEEEE10hipError_tPvRmT0_T1_jT2_SQ_T4_T3_P12ihipStream_tbEUlT_E_NS1_11comp_targetILNS1_3genE0ELNS1_11target_archE4294967295ELNS1_3gpuE0ELNS1_3repE0EEENS1_30default_config_static_selectorELNS0_4arch9wavefront6targetE0EEEvSP_.has_recursion, 0
	.set _ZN7rocprim17ROCPRIM_400000_NS6detail17trampoline_kernelINS0_14default_configENS1_32segmented_reduce_config_selectorIdEEZNS1_21segmented_reduce_implIS3_PKdPdPKidN6hipcub16HIPCUB_304000_NS6detail27convert_result_type_wrapperIS8_S9_N2at6native12_GLOBAL__N_19CustomMinEEEEE10hipError_tPvRmT0_T1_jT2_SQ_T4_T3_P12ihipStream_tbEUlT_E_NS1_11comp_targetILNS1_3genE0ELNS1_11target_archE4294967295ELNS1_3gpuE0ELNS1_3repE0EEENS1_30default_config_static_selectorELNS0_4arch9wavefront6targetE0EEEvSP_.has_indirect_call, 0
	.section	.AMDGPU.csdata,"",@progbits
; Kernel info:
; codeLenInByte = 5612
; TotalNumSgprs: 20
; NumVgprs: 26
; ScratchSize: 0
; MemoryBound: 0
; FloatMode: 240
; IeeeMode: 1
; LDSByteSize: 64 bytes/workgroup (compile time only)
; SGPRBlocks: 0
; VGPRBlocks: 1
; NumSGPRsForWavesPerEU: 20
; NumVGPRsForWavesPerEU: 26
; NamedBarCnt: 0
; Occupancy: 16
; WaveLimiterHint : 1
; COMPUTE_PGM_RSRC2:SCRATCH_EN: 0
; COMPUTE_PGM_RSRC2:USER_SGPR: 2
; COMPUTE_PGM_RSRC2:TRAP_HANDLER: 0
; COMPUTE_PGM_RSRC2:TGID_X_EN: 1
; COMPUTE_PGM_RSRC2:TGID_Y_EN: 0
; COMPUTE_PGM_RSRC2:TGID_Z_EN: 0
; COMPUTE_PGM_RSRC2:TIDIG_COMP_CNT: 0
	.section	.text._ZN7rocprim17ROCPRIM_400000_NS6detail17trampoline_kernelINS0_14default_configENS1_32segmented_reduce_config_selectorIdEEZNS1_21segmented_reduce_implIS3_PKdPdPKidN6hipcub16HIPCUB_304000_NS6detail27convert_result_type_wrapperIS8_S9_N2at6native12_GLOBAL__N_19CustomMinEEEEE10hipError_tPvRmT0_T1_jT2_SQ_T4_T3_P12ihipStream_tbEUlT_E_NS1_11comp_targetILNS1_3genE5ELNS1_11target_archE942ELNS1_3gpuE9ELNS1_3repE0EEENS1_30default_config_static_selectorELNS0_4arch9wavefront6targetE0EEEvSP_,"axG",@progbits,_ZN7rocprim17ROCPRIM_400000_NS6detail17trampoline_kernelINS0_14default_configENS1_32segmented_reduce_config_selectorIdEEZNS1_21segmented_reduce_implIS3_PKdPdPKidN6hipcub16HIPCUB_304000_NS6detail27convert_result_type_wrapperIS8_S9_N2at6native12_GLOBAL__N_19CustomMinEEEEE10hipError_tPvRmT0_T1_jT2_SQ_T4_T3_P12ihipStream_tbEUlT_E_NS1_11comp_targetILNS1_3genE5ELNS1_11target_archE942ELNS1_3gpuE9ELNS1_3repE0EEENS1_30default_config_static_selectorELNS0_4arch9wavefront6targetE0EEEvSP_,comdat
	.globl	_ZN7rocprim17ROCPRIM_400000_NS6detail17trampoline_kernelINS0_14default_configENS1_32segmented_reduce_config_selectorIdEEZNS1_21segmented_reduce_implIS3_PKdPdPKidN6hipcub16HIPCUB_304000_NS6detail27convert_result_type_wrapperIS8_S9_N2at6native12_GLOBAL__N_19CustomMinEEEEE10hipError_tPvRmT0_T1_jT2_SQ_T4_T3_P12ihipStream_tbEUlT_E_NS1_11comp_targetILNS1_3genE5ELNS1_11target_archE942ELNS1_3gpuE9ELNS1_3repE0EEENS1_30default_config_static_selectorELNS0_4arch9wavefront6targetE0EEEvSP_ ; -- Begin function _ZN7rocprim17ROCPRIM_400000_NS6detail17trampoline_kernelINS0_14default_configENS1_32segmented_reduce_config_selectorIdEEZNS1_21segmented_reduce_implIS3_PKdPdPKidN6hipcub16HIPCUB_304000_NS6detail27convert_result_type_wrapperIS8_S9_N2at6native12_GLOBAL__N_19CustomMinEEEEE10hipError_tPvRmT0_T1_jT2_SQ_T4_T3_P12ihipStream_tbEUlT_E_NS1_11comp_targetILNS1_3genE5ELNS1_11target_archE942ELNS1_3gpuE9ELNS1_3repE0EEENS1_30default_config_static_selectorELNS0_4arch9wavefront6targetE0EEEvSP_
	.p2align	8
	.type	_ZN7rocprim17ROCPRIM_400000_NS6detail17trampoline_kernelINS0_14default_configENS1_32segmented_reduce_config_selectorIdEEZNS1_21segmented_reduce_implIS3_PKdPdPKidN6hipcub16HIPCUB_304000_NS6detail27convert_result_type_wrapperIS8_S9_N2at6native12_GLOBAL__N_19CustomMinEEEEE10hipError_tPvRmT0_T1_jT2_SQ_T4_T3_P12ihipStream_tbEUlT_E_NS1_11comp_targetILNS1_3genE5ELNS1_11target_archE942ELNS1_3gpuE9ELNS1_3repE0EEENS1_30default_config_static_selectorELNS0_4arch9wavefront6targetE0EEEvSP_,@function
_ZN7rocprim17ROCPRIM_400000_NS6detail17trampoline_kernelINS0_14default_configENS1_32segmented_reduce_config_selectorIdEEZNS1_21segmented_reduce_implIS3_PKdPdPKidN6hipcub16HIPCUB_304000_NS6detail27convert_result_type_wrapperIS8_S9_N2at6native12_GLOBAL__N_19CustomMinEEEEE10hipError_tPvRmT0_T1_jT2_SQ_T4_T3_P12ihipStream_tbEUlT_E_NS1_11comp_targetILNS1_3genE5ELNS1_11target_archE942ELNS1_3gpuE9ELNS1_3repE0EEENS1_30default_config_static_selectorELNS0_4arch9wavefront6targetE0EEEvSP_: ; @_ZN7rocprim17ROCPRIM_400000_NS6detail17trampoline_kernelINS0_14default_configENS1_32segmented_reduce_config_selectorIdEEZNS1_21segmented_reduce_implIS3_PKdPdPKidN6hipcub16HIPCUB_304000_NS6detail27convert_result_type_wrapperIS8_S9_N2at6native12_GLOBAL__N_19CustomMinEEEEE10hipError_tPvRmT0_T1_jT2_SQ_T4_T3_P12ihipStream_tbEUlT_E_NS1_11comp_targetILNS1_3genE5ELNS1_11target_archE942ELNS1_3gpuE9ELNS1_3repE0EEENS1_30default_config_static_selectorELNS0_4arch9wavefront6targetE0EEEvSP_
; %bb.0:
	.section	.rodata,"a",@progbits
	.p2align	6, 0x0
	.amdhsa_kernel _ZN7rocprim17ROCPRIM_400000_NS6detail17trampoline_kernelINS0_14default_configENS1_32segmented_reduce_config_selectorIdEEZNS1_21segmented_reduce_implIS3_PKdPdPKidN6hipcub16HIPCUB_304000_NS6detail27convert_result_type_wrapperIS8_S9_N2at6native12_GLOBAL__N_19CustomMinEEEEE10hipError_tPvRmT0_T1_jT2_SQ_T4_T3_P12ihipStream_tbEUlT_E_NS1_11comp_targetILNS1_3genE5ELNS1_11target_archE942ELNS1_3gpuE9ELNS1_3repE0EEENS1_30default_config_static_selectorELNS0_4arch9wavefront6targetE0EEEvSP_
		.amdhsa_group_segment_fixed_size 0
		.amdhsa_private_segment_fixed_size 0
		.amdhsa_kernarg_size 56
		.amdhsa_user_sgpr_count 2
		.amdhsa_user_sgpr_dispatch_ptr 0
		.amdhsa_user_sgpr_queue_ptr 0
		.amdhsa_user_sgpr_kernarg_segment_ptr 1
		.amdhsa_user_sgpr_dispatch_id 0
		.amdhsa_user_sgpr_kernarg_preload_length 0
		.amdhsa_user_sgpr_kernarg_preload_offset 0
		.amdhsa_user_sgpr_private_segment_size 0
		.amdhsa_wavefront_size32 1
		.amdhsa_uses_dynamic_stack 0
		.amdhsa_enable_private_segment 0
		.amdhsa_system_sgpr_workgroup_id_x 1
		.amdhsa_system_sgpr_workgroup_id_y 0
		.amdhsa_system_sgpr_workgroup_id_z 0
		.amdhsa_system_sgpr_workgroup_info 0
		.amdhsa_system_vgpr_workitem_id 0
		.amdhsa_next_free_vgpr 1
		.amdhsa_next_free_sgpr 1
		.amdhsa_named_barrier_count 0
		.amdhsa_reserve_vcc 0
		.amdhsa_float_round_mode_32 0
		.amdhsa_float_round_mode_16_64 0
		.amdhsa_float_denorm_mode_32 3
		.amdhsa_float_denorm_mode_16_64 3
		.amdhsa_fp16_overflow 0
		.amdhsa_memory_ordered 1
		.amdhsa_forward_progress 1
		.amdhsa_inst_pref_size 0
		.amdhsa_round_robin_scheduling 0
		.amdhsa_exception_fp_ieee_invalid_op 0
		.amdhsa_exception_fp_denorm_src 0
		.amdhsa_exception_fp_ieee_div_zero 0
		.amdhsa_exception_fp_ieee_overflow 0
		.amdhsa_exception_fp_ieee_underflow 0
		.amdhsa_exception_fp_ieee_inexact 0
		.amdhsa_exception_int_div_zero 0
	.end_amdhsa_kernel
	.section	.text._ZN7rocprim17ROCPRIM_400000_NS6detail17trampoline_kernelINS0_14default_configENS1_32segmented_reduce_config_selectorIdEEZNS1_21segmented_reduce_implIS3_PKdPdPKidN6hipcub16HIPCUB_304000_NS6detail27convert_result_type_wrapperIS8_S9_N2at6native12_GLOBAL__N_19CustomMinEEEEE10hipError_tPvRmT0_T1_jT2_SQ_T4_T3_P12ihipStream_tbEUlT_E_NS1_11comp_targetILNS1_3genE5ELNS1_11target_archE942ELNS1_3gpuE9ELNS1_3repE0EEENS1_30default_config_static_selectorELNS0_4arch9wavefront6targetE0EEEvSP_,"axG",@progbits,_ZN7rocprim17ROCPRIM_400000_NS6detail17trampoline_kernelINS0_14default_configENS1_32segmented_reduce_config_selectorIdEEZNS1_21segmented_reduce_implIS3_PKdPdPKidN6hipcub16HIPCUB_304000_NS6detail27convert_result_type_wrapperIS8_S9_N2at6native12_GLOBAL__N_19CustomMinEEEEE10hipError_tPvRmT0_T1_jT2_SQ_T4_T3_P12ihipStream_tbEUlT_E_NS1_11comp_targetILNS1_3genE5ELNS1_11target_archE942ELNS1_3gpuE9ELNS1_3repE0EEENS1_30default_config_static_selectorELNS0_4arch9wavefront6targetE0EEEvSP_,comdat
.Lfunc_end27:
	.size	_ZN7rocprim17ROCPRIM_400000_NS6detail17trampoline_kernelINS0_14default_configENS1_32segmented_reduce_config_selectorIdEEZNS1_21segmented_reduce_implIS3_PKdPdPKidN6hipcub16HIPCUB_304000_NS6detail27convert_result_type_wrapperIS8_S9_N2at6native12_GLOBAL__N_19CustomMinEEEEE10hipError_tPvRmT0_T1_jT2_SQ_T4_T3_P12ihipStream_tbEUlT_E_NS1_11comp_targetILNS1_3genE5ELNS1_11target_archE942ELNS1_3gpuE9ELNS1_3repE0EEENS1_30default_config_static_selectorELNS0_4arch9wavefront6targetE0EEEvSP_, .Lfunc_end27-_ZN7rocprim17ROCPRIM_400000_NS6detail17trampoline_kernelINS0_14default_configENS1_32segmented_reduce_config_selectorIdEEZNS1_21segmented_reduce_implIS3_PKdPdPKidN6hipcub16HIPCUB_304000_NS6detail27convert_result_type_wrapperIS8_S9_N2at6native12_GLOBAL__N_19CustomMinEEEEE10hipError_tPvRmT0_T1_jT2_SQ_T4_T3_P12ihipStream_tbEUlT_E_NS1_11comp_targetILNS1_3genE5ELNS1_11target_archE942ELNS1_3gpuE9ELNS1_3repE0EEENS1_30default_config_static_selectorELNS0_4arch9wavefront6targetE0EEEvSP_
                                        ; -- End function
	.set _ZN7rocprim17ROCPRIM_400000_NS6detail17trampoline_kernelINS0_14default_configENS1_32segmented_reduce_config_selectorIdEEZNS1_21segmented_reduce_implIS3_PKdPdPKidN6hipcub16HIPCUB_304000_NS6detail27convert_result_type_wrapperIS8_S9_N2at6native12_GLOBAL__N_19CustomMinEEEEE10hipError_tPvRmT0_T1_jT2_SQ_T4_T3_P12ihipStream_tbEUlT_E_NS1_11comp_targetILNS1_3genE5ELNS1_11target_archE942ELNS1_3gpuE9ELNS1_3repE0EEENS1_30default_config_static_selectorELNS0_4arch9wavefront6targetE0EEEvSP_.num_vgpr, 0
	.set _ZN7rocprim17ROCPRIM_400000_NS6detail17trampoline_kernelINS0_14default_configENS1_32segmented_reduce_config_selectorIdEEZNS1_21segmented_reduce_implIS3_PKdPdPKidN6hipcub16HIPCUB_304000_NS6detail27convert_result_type_wrapperIS8_S9_N2at6native12_GLOBAL__N_19CustomMinEEEEE10hipError_tPvRmT0_T1_jT2_SQ_T4_T3_P12ihipStream_tbEUlT_E_NS1_11comp_targetILNS1_3genE5ELNS1_11target_archE942ELNS1_3gpuE9ELNS1_3repE0EEENS1_30default_config_static_selectorELNS0_4arch9wavefront6targetE0EEEvSP_.num_agpr, 0
	.set _ZN7rocprim17ROCPRIM_400000_NS6detail17trampoline_kernelINS0_14default_configENS1_32segmented_reduce_config_selectorIdEEZNS1_21segmented_reduce_implIS3_PKdPdPKidN6hipcub16HIPCUB_304000_NS6detail27convert_result_type_wrapperIS8_S9_N2at6native12_GLOBAL__N_19CustomMinEEEEE10hipError_tPvRmT0_T1_jT2_SQ_T4_T3_P12ihipStream_tbEUlT_E_NS1_11comp_targetILNS1_3genE5ELNS1_11target_archE942ELNS1_3gpuE9ELNS1_3repE0EEENS1_30default_config_static_selectorELNS0_4arch9wavefront6targetE0EEEvSP_.numbered_sgpr, 0
	.set _ZN7rocprim17ROCPRIM_400000_NS6detail17trampoline_kernelINS0_14default_configENS1_32segmented_reduce_config_selectorIdEEZNS1_21segmented_reduce_implIS3_PKdPdPKidN6hipcub16HIPCUB_304000_NS6detail27convert_result_type_wrapperIS8_S9_N2at6native12_GLOBAL__N_19CustomMinEEEEE10hipError_tPvRmT0_T1_jT2_SQ_T4_T3_P12ihipStream_tbEUlT_E_NS1_11comp_targetILNS1_3genE5ELNS1_11target_archE942ELNS1_3gpuE9ELNS1_3repE0EEENS1_30default_config_static_selectorELNS0_4arch9wavefront6targetE0EEEvSP_.num_named_barrier, 0
	.set _ZN7rocprim17ROCPRIM_400000_NS6detail17trampoline_kernelINS0_14default_configENS1_32segmented_reduce_config_selectorIdEEZNS1_21segmented_reduce_implIS3_PKdPdPKidN6hipcub16HIPCUB_304000_NS6detail27convert_result_type_wrapperIS8_S9_N2at6native12_GLOBAL__N_19CustomMinEEEEE10hipError_tPvRmT0_T1_jT2_SQ_T4_T3_P12ihipStream_tbEUlT_E_NS1_11comp_targetILNS1_3genE5ELNS1_11target_archE942ELNS1_3gpuE9ELNS1_3repE0EEENS1_30default_config_static_selectorELNS0_4arch9wavefront6targetE0EEEvSP_.private_seg_size, 0
	.set _ZN7rocprim17ROCPRIM_400000_NS6detail17trampoline_kernelINS0_14default_configENS1_32segmented_reduce_config_selectorIdEEZNS1_21segmented_reduce_implIS3_PKdPdPKidN6hipcub16HIPCUB_304000_NS6detail27convert_result_type_wrapperIS8_S9_N2at6native12_GLOBAL__N_19CustomMinEEEEE10hipError_tPvRmT0_T1_jT2_SQ_T4_T3_P12ihipStream_tbEUlT_E_NS1_11comp_targetILNS1_3genE5ELNS1_11target_archE942ELNS1_3gpuE9ELNS1_3repE0EEENS1_30default_config_static_selectorELNS0_4arch9wavefront6targetE0EEEvSP_.uses_vcc, 0
	.set _ZN7rocprim17ROCPRIM_400000_NS6detail17trampoline_kernelINS0_14default_configENS1_32segmented_reduce_config_selectorIdEEZNS1_21segmented_reduce_implIS3_PKdPdPKidN6hipcub16HIPCUB_304000_NS6detail27convert_result_type_wrapperIS8_S9_N2at6native12_GLOBAL__N_19CustomMinEEEEE10hipError_tPvRmT0_T1_jT2_SQ_T4_T3_P12ihipStream_tbEUlT_E_NS1_11comp_targetILNS1_3genE5ELNS1_11target_archE942ELNS1_3gpuE9ELNS1_3repE0EEENS1_30default_config_static_selectorELNS0_4arch9wavefront6targetE0EEEvSP_.uses_flat_scratch, 0
	.set _ZN7rocprim17ROCPRIM_400000_NS6detail17trampoline_kernelINS0_14default_configENS1_32segmented_reduce_config_selectorIdEEZNS1_21segmented_reduce_implIS3_PKdPdPKidN6hipcub16HIPCUB_304000_NS6detail27convert_result_type_wrapperIS8_S9_N2at6native12_GLOBAL__N_19CustomMinEEEEE10hipError_tPvRmT0_T1_jT2_SQ_T4_T3_P12ihipStream_tbEUlT_E_NS1_11comp_targetILNS1_3genE5ELNS1_11target_archE942ELNS1_3gpuE9ELNS1_3repE0EEENS1_30default_config_static_selectorELNS0_4arch9wavefront6targetE0EEEvSP_.has_dyn_sized_stack, 0
	.set _ZN7rocprim17ROCPRIM_400000_NS6detail17trampoline_kernelINS0_14default_configENS1_32segmented_reduce_config_selectorIdEEZNS1_21segmented_reduce_implIS3_PKdPdPKidN6hipcub16HIPCUB_304000_NS6detail27convert_result_type_wrapperIS8_S9_N2at6native12_GLOBAL__N_19CustomMinEEEEE10hipError_tPvRmT0_T1_jT2_SQ_T4_T3_P12ihipStream_tbEUlT_E_NS1_11comp_targetILNS1_3genE5ELNS1_11target_archE942ELNS1_3gpuE9ELNS1_3repE0EEENS1_30default_config_static_selectorELNS0_4arch9wavefront6targetE0EEEvSP_.has_recursion, 0
	.set _ZN7rocprim17ROCPRIM_400000_NS6detail17trampoline_kernelINS0_14default_configENS1_32segmented_reduce_config_selectorIdEEZNS1_21segmented_reduce_implIS3_PKdPdPKidN6hipcub16HIPCUB_304000_NS6detail27convert_result_type_wrapperIS8_S9_N2at6native12_GLOBAL__N_19CustomMinEEEEE10hipError_tPvRmT0_T1_jT2_SQ_T4_T3_P12ihipStream_tbEUlT_E_NS1_11comp_targetILNS1_3genE5ELNS1_11target_archE942ELNS1_3gpuE9ELNS1_3repE0EEENS1_30default_config_static_selectorELNS0_4arch9wavefront6targetE0EEEvSP_.has_indirect_call, 0
	.section	.AMDGPU.csdata,"",@progbits
; Kernel info:
; codeLenInByte = 0
; TotalNumSgprs: 0
; NumVgprs: 0
; ScratchSize: 0
; MemoryBound: 0
; FloatMode: 240
; IeeeMode: 1
; LDSByteSize: 0 bytes/workgroup (compile time only)
; SGPRBlocks: 0
; VGPRBlocks: 0
; NumSGPRsForWavesPerEU: 1
; NumVGPRsForWavesPerEU: 1
; NamedBarCnt: 0
; Occupancy: 16
; WaveLimiterHint : 0
; COMPUTE_PGM_RSRC2:SCRATCH_EN: 0
; COMPUTE_PGM_RSRC2:USER_SGPR: 2
; COMPUTE_PGM_RSRC2:TRAP_HANDLER: 0
; COMPUTE_PGM_RSRC2:TGID_X_EN: 1
; COMPUTE_PGM_RSRC2:TGID_Y_EN: 0
; COMPUTE_PGM_RSRC2:TGID_Z_EN: 0
; COMPUTE_PGM_RSRC2:TIDIG_COMP_CNT: 0
	.section	.text._ZN7rocprim17ROCPRIM_400000_NS6detail17trampoline_kernelINS0_14default_configENS1_32segmented_reduce_config_selectorIdEEZNS1_21segmented_reduce_implIS3_PKdPdPKidN6hipcub16HIPCUB_304000_NS6detail27convert_result_type_wrapperIS8_S9_N2at6native12_GLOBAL__N_19CustomMinEEEEE10hipError_tPvRmT0_T1_jT2_SQ_T4_T3_P12ihipStream_tbEUlT_E_NS1_11comp_targetILNS1_3genE10ELNS1_11target_archE1201ELNS1_3gpuE5ELNS1_3repE0EEENS1_30default_config_static_selectorELNS0_4arch9wavefront6targetE0EEEvSP_,"axG",@progbits,_ZN7rocprim17ROCPRIM_400000_NS6detail17trampoline_kernelINS0_14default_configENS1_32segmented_reduce_config_selectorIdEEZNS1_21segmented_reduce_implIS3_PKdPdPKidN6hipcub16HIPCUB_304000_NS6detail27convert_result_type_wrapperIS8_S9_N2at6native12_GLOBAL__N_19CustomMinEEEEE10hipError_tPvRmT0_T1_jT2_SQ_T4_T3_P12ihipStream_tbEUlT_E_NS1_11comp_targetILNS1_3genE10ELNS1_11target_archE1201ELNS1_3gpuE5ELNS1_3repE0EEENS1_30default_config_static_selectorELNS0_4arch9wavefront6targetE0EEEvSP_,comdat
	.globl	_ZN7rocprim17ROCPRIM_400000_NS6detail17trampoline_kernelINS0_14default_configENS1_32segmented_reduce_config_selectorIdEEZNS1_21segmented_reduce_implIS3_PKdPdPKidN6hipcub16HIPCUB_304000_NS6detail27convert_result_type_wrapperIS8_S9_N2at6native12_GLOBAL__N_19CustomMinEEEEE10hipError_tPvRmT0_T1_jT2_SQ_T4_T3_P12ihipStream_tbEUlT_E_NS1_11comp_targetILNS1_3genE10ELNS1_11target_archE1201ELNS1_3gpuE5ELNS1_3repE0EEENS1_30default_config_static_selectorELNS0_4arch9wavefront6targetE0EEEvSP_ ; -- Begin function _ZN7rocprim17ROCPRIM_400000_NS6detail17trampoline_kernelINS0_14default_configENS1_32segmented_reduce_config_selectorIdEEZNS1_21segmented_reduce_implIS3_PKdPdPKidN6hipcub16HIPCUB_304000_NS6detail27convert_result_type_wrapperIS8_S9_N2at6native12_GLOBAL__N_19CustomMinEEEEE10hipError_tPvRmT0_T1_jT2_SQ_T4_T3_P12ihipStream_tbEUlT_E_NS1_11comp_targetILNS1_3genE10ELNS1_11target_archE1201ELNS1_3gpuE5ELNS1_3repE0EEENS1_30default_config_static_selectorELNS0_4arch9wavefront6targetE0EEEvSP_
	.p2align	8
	.type	_ZN7rocprim17ROCPRIM_400000_NS6detail17trampoline_kernelINS0_14default_configENS1_32segmented_reduce_config_selectorIdEEZNS1_21segmented_reduce_implIS3_PKdPdPKidN6hipcub16HIPCUB_304000_NS6detail27convert_result_type_wrapperIS8_S9_N2at6native12_GLOBAL__N_19CustomMinEEEEE10hipError_tPvRmT0_T1_jT2_SQ_T4_T3_P12ihipStream_tbEUlT_E_NS1_11comp_targetILNS1_3genE10ELNS1_11target_archE1201ELNS1_3gpuE5ELNS1_3repE0EEENS1_30default_config_static_selectorELNS0_4arch9wavefront6targetE0EEEvSP_,@function
_ZN7rocprim17ROCPRIM_400000_NS6detail17trampoline_kernelINS0_14default_configENS1_32segmented_reduce_config_selectorIdEEZNS1_21segmented_reduce_implIS3_PKdPdPKidN6hipcub16HIPCUB_304000_NS6detail27convert_result_type_wrapperIS8_S9_N2at6native12_GLOBAL__N_19CustomMinEEEEE10hipError_tPvRmT0_T1_jT2_SQ_T4_T3_P12ihipStream_tbEUlT_E_NS1_11comp_targetILNS1_3genE10ELNS1_11target_archE1201ELNS1_3gpuE5ELNS1_3repE0EEENS1_30default_config_static_selectorELNS0_4arch9wavefront6targetE0EEEvSP_: ; @_ZN7rocprim17ROCPRIM_400000_NS6detail17trampoline_kernelINS0_14default_configENS1_32segmented_reduce_config_selectorIdEEZNS1_21segmented_reduce_implIS3_PKdPdPKidN6hipcub16HIPCUB_304000_NS6detail27convert_result_type_wrapperIS8_S9_N2at6native12_GLOBAL__N_19CustomMinEEEEE10hipError_tPvRmT0_T1_jT2_SQ_T4_T3_P12ihipStream_tbEUlT_E_NS1_11comp_targetILNS1_3genE10ELNS1_11target_archE1201ELNS1_3gpuE5ELNS1_3repE0EEENS1_30default_config_static_selectorELNS0_4arch9wavefront6targetE0EEEvSP_
; %bb.0:
	.section	.rodata,"a",@progbits
	.p2align	6, 0x0
	.amdhsa_kernel _ZN7rocprim17ROCPRIM_400000_NS6detail17trampoline_kernelINS0_14default_configENS1_32segmented_reduce_config_selectorIdEEZNS1_21segmented_reduce_implIS3_PKdPdPKidN6hipcub16HIPCUB_304000_NS6detail27convert_result_type_wrapperIS8_S9_N2at6native12_GLOBAL__N_19CustomMinEEEEE10hipError_tPvRmT0_T1_jT2_SQ_T4_T3_P12ihipStream_tbEUlT_E_NS1_11comp_targetILNS1_3genE10ELNS1_11target_archE1201ELNS1_3gpuE5ELNS1_3repE0EEENS1_30default_config_static_selectorELNS0_4arch9wavefront6targetE0EEEvSP_
		.amdhsa_group_segment_fixed_size 0
		.amdhsa_private_segment_fixed_size 0
		.amdhsa_kernarg_size 56
		.amdhsa_user_sgpr_count 2
		.amdhsa_user_sgpr_dispatch_ptr 0
		.amdhsa_user_sgpr_queue_ptr 0
		.amdhsa_user_sgpr_kernarg_segment_ptr 1
		.amdhsa_user_sgpr_dispatch_id 0
		.amdhsa_user_sgpr_kernarg_preload_length 0
		.amdhsa_user_sgpr_kernarg_preload_offset 0
		.amdhsa_user_sgpr_private_segment_size 0
		.amdhsa_wavefront_size32 1
		.amdhsa_uses_dynamic_stack 0
		.amdhsa_enable_private_segment 0
		.amdhsa_system_sgpr_workgroup_id_x 1
		.amdhsa_system_sgpr_workgroup_id_y 0
		.amdhsa_system_sgpr_workgroup_id_z 0
		.amdhsa_system_sgpr_workgroup_info 0
		.amdhsa_system_vgpr_workitem_id 0
		.amdhsa_next_free_vgpr 1
		.amdhsa_next_free_sgpr 1
		.amdhsa_named_barrier_count 0
		.amdhsa_reserve_vcc 0
		.amdhsa_float_round_mode_32 0
		.amdhsa_float_round_mode_16_64 0
		.amdhsa_float_denorm_mode_32 3
		.amdhsa_float_denorm_mode_16_64 3
		.amdhsa_fp16_overflow 0
		.amdhsa_memory_ordered 1
		.amdhsa_forward_progress 1
		.amdhsa_inst_pref_size 0
		.amdhsa_round_robin_scheduling 0
		.amdhsa_exception_fp_ieee_invalid_op 0
		.amdhsa_exception_fp_denorm_src 0
		.amdhsa_exception_fp_ieee_div_zero 0
		.amdhsa_exception_fp_ieee_overflow 0
		.amdhsa_exception_fp_ieee_underflow 0
		.amdhsa_exception_fp_ieee_inexact 0
		.amdhsa_exception_int_div_zero 0
	.end_amdhsa_kernel
	.section	.text._ZN7rocprim17ROCPRIM_400000_NS6detail17trampoline_kernelINS0_14default_configENS1_32segmented_reduce_config_selectorIdEEZNS1_21segmented_reduce_implIS3_PKdPdPKidN6hipcub16HIPCUB_304000_NS6detail27convert_result_type_wrapperIS8_S9_N2at6native12_GLOBAL__N_19CustomMinEEEEE10hipError_tPvRmT0_T1_jT2_SQ_T4_T3_P12ihipStream_tbEUlT_E_NS1_11comp_targetILNS1_3genE10ELNS1_11target_archE1201ELNS1_3gpuE5ELNS1_3repE0EEENS1_30default_config_static_selectorELNS0_4arch9wavefront6targetE0EEEvSP_,"axG",@progbits,_ZN7rocprim17ROCPRIM_400000_NS6detail17trampoline_kernelINS0_14default_configENS1_32segmented_reduce_config_selectorIdEEZNS1_21segmented_reduce_implIS3_PKdPdPKidN6hipcub16HIPCUB_304000_NS6detail27convert_result_type_wrapperIS8_S9_N2at6native12_GLOBAL__N_19CustomMinEEEEE10hipError_tPvRmT0_T1_jT2_SQ_T4_T3_P12ihipStream_tbEUlT_E_NS1_11comp_targetILNS1_3genE10ELNS1_11target_archE1201ELNS1_3gpuE5ELNS1_3repE0EEENS1_30default_config_static_selectorELNS0_4arch9wavefront6targetE0EEEvSP_,comdat
.Lfunc_end28:
	.size	_ZN7rocprim17ROCPRIM_400000_NS6detail17trampoline_kernelINS0_14default_configENS1_32segmented_reduce_config_selectorIdEEZNS1_21segmented_reduce_implIS3_PKdPdPKidN6hipcub16HIPCUB_304000_NS6detail27convert_result_type_wrapperIS8_S9_N2at6native12_GLOBAL__N_19CustomMinEEEEE10hipError_tPvRmT0_T1_jT2_SQ_T4_T3_P12ihipStream_tbEUlT_E_NS1_11comp_targetILNS1_3genE10ELNS1_11target_archE1201ELNS1_3gpuE5ELNS1_3repE0EEENS1_30default_config_static_selectorELNS0_4arch9wavefront6targetE0EEEvSP_, .Lfunc_end28-_ZN7rocprim17ROCPRIM_400000_NS6detail17trampoline_kernelINS0_14default_configENS1_32segmented_reduce_config_selectorIdEEZNS1_21segmented_reduce_implIS3_PKdPdPKidN6hipcub16HIPCUB_304000_NS6detail27convert_result_type_wrapperIS8_S9_N2at6native12_GLOBAL__N_19CustomMinEEEEE10hipError_tPvRmT0_T1_jT2_SQ_T4_T3_P12ihipStream_tbEUlT_E_NS1_11comp_targetILNS1_3genE10ELNS1_11target_archE1201ELNS1_3gpuE5ELNS1_3repE0EEENS1_30default_config_static_selectorELNS0_4arch9wavefront6targetE0EEEvSP_
                                        ; -- End function
	.set _ZN7rocprim17ROCPRIM_400000_NS6detail17trampoline_kernelINS0_14default_configENS1_32segmented_reduce_config_selectorIdEEZNS1_21segmented_reduce_implIS3_PKdPdPKidN6hipcub16HIPCUB_304000_NS6detail27convert_result_type_wrapperIS8_S9_N2at6native12_GLOBAL__N_19CustomMinEEEEE10hipError_tPvRmT0_T1_jT2_SQ_T4_T3_P12ihipStream_tbEUlT_E_NS1_11comp_targetILNS1_3genE10ELNS1_11target_archE1201ELNS1_3gpuE5ELNS1_3repE0EEENS1_30default_config_static_selectorELNS0_4arch9wavefront6targetE0EEEvSP_.num_vgpr, 0
	.set _ZN7rocprim17ROCPRIM_400000_NS6detail17trampoline_kernelINS0_14default_configENS1_32segmented_reduce_config_selectorIdEEZNS1_21segmented_reduce_implIS3_PKdPdPKidN6hipcub16HIPCUB_304000_NS6detail27convert_result_type_wrapperIS8_S9_N2at6native12_GLOBAL__N_19CustomMinEEEEE10hipError_tPvRmT0_T1_jT2_SQ_T4_T3_P12ihipStream_tbEUlT_E_NS1_11comp_targetILNS1_3genE10ELNS1_11target_archE1201ELNS1_3gpuE5ELNS1_3repE0EEENS1_30default_config_static_selectorELNS0_4arch9wavefront6targetE0EEEvSP_.num_agpr, 0
	.set _ZN7rocprim17ROCPRIM_400000_NS6detail17trampoline_kernelINS0_14default_configENS1_32segmented_reduce_config_selectorIdEEZNS1_21segmented_reduce_implIS3_PKdPdPKidN6hipcub16HIPCUB_304000_NS6detail27convert_result_type_wrapperIS8_S9_N2at6native12_GLOBAL__N_19CustomMinEEEEE10hipError_tPvRmT0_T1_jT2_SQ_T4_T3_P12ihipStream_tbEUlT_E_NS1_11comp_targetILNS1_3genE10ELNS1_11target_archE1201ELNS1_3gpuE5ELNS1_3repE0EEENS1_30default_config_static_selectorELNS0_4arch9wavefront6targetE0EEEvSP_.numbered_sgpr, 0
	.set _ZN7rocprim17ROCPRIM_400000_NS6detail17trampoline_kernelINS0_14default_configENS1_32segmented_reduce_config_selectorIdEEZNS1_21segmented_reduce_implIS3_PKdPdPKidN6hipcub16HIPCUB_304000_NS6detail27convert_result_type_wrapperIS8_S9_N2at6native12_GLOBAL__N_19CustomMinEEEEE10hipError_tPvRmT0_T1_jT2_SQ_T4_T3_P12ihipStream_tbEUlT_E_NS1_11comp_targetILNS1_3genE10ELNS1_11target_archE1201ELNS1_3gpuE5ELNS1_3repE0EEENS1_30default_config_static_selectorELNS0_4arch9wavefront6targetE0EEEvSP_.num_named_barrier, 0
	.set _ZN7rocprim17ROCPRIM_400000_NS6detail17trampoline_kernelINS0_14default_configENS1_32segmented_reduce_config_selectorIdEEZNS1_21segmented_reduce_implIS3_PKdPdPKidN6hipcub16HIPCUB_304000_NS6detail27convert_result_type_wrapperIS8_S9_N2at6native12_GLOBAL__N_19CustomMinEEEEE10hipError_tPvRmT0_T1_jT2_SQ_T4_T3_P12ihipStream_tbEUlT_E_NS1_11comp_targetILNS1_3genE10ELNS1_11target_archE1201ELNS1_3gpuE5ELNS1_3repE0EEENS1_30default_config_static_selectorELNS0_4arch9wavefront6targetE0EEEvSP_.private_seg_size, 0
	.set _ZN7rocprim17ROCPRIM_400000_NS6detail17trampoline_kernelINS0_14default_configENS1_32segmented_reduce_config_selectorIdEEZNS1_21segmented_reduce_implIS3_PKdPdPKidN6hipcub16HIPCUB_304000_NS6detail27convert_result_type_wrapperIS8_S9_N2at6native12_GLOBAL__N_19CustomMinEEEEE10hipError_tPvRmT0_T1_jT2_SQ_T4_T3_P12ihipStream_tbEUlT_E_NS1_11comp_targetILNS1_3genE10ELNS1_11target_archE1201ELNS1_3gpuE5ELNS1_3repE0EEENS1_30default_config_static_selectorELNS0_4arch9wavefront6targetE0EEEvSP_.uses_vcc, 0
	.set _ZN7rocprim17ROCPRIM_400000_NS6detail17trampoline_kernelINS0_14default_configENS1_32segmented_reduce_config_selectorIdEEZNS1_21segmented_reduce_implIS3_PKdPdPKidN6hipcub16HIPCUB_304000_NS6detail27convert_result_type_wrapperIS8_S9_N2at6native12_GLOBAL__N_19CustomMinEEEEE10hipError_tPvRmT0_T1_jT2_SQ_T4_T3_P12ihipStream_tbEUlT_E_NS1_11comp_targetILNS1_3genE10ELNS1_11target_archE1201ELNS1_3gpuE5ELNS1_3repE0EEENS1_30default_config_static_selectorELNS0_4arch9wavefront6targetE0EEEvSP_.uses_flat_scratch, 0
	.set _ZN7rocprim17ROCPRIM_400000_NS6detail17trampoline_kernelINS0_14default_configENS1_32segmented_reduce_config_selectorIdEEZNS1_21segmented_reduce_implIS3_PKdPdPKidN6hipcub16HIPCUB_304000_NS6detail27convert_result_type_wrapperIS8_S9_N2at6native12_GLOBAL__N_19CustomMinEEEEE10hipError_tPvRmT0_T1_jT2_SQ_T4_T3_P12ihipStream_tbEUlT_E_NS1_11comp_targetILNS1_3genE10ELNS1_11target_archE1201ELNS1_3gpuE5ELNS1_3repE0EEENS1_30default_config_static_selectorELNS0_4arch9wavefront6targetE0EEEvSP_.has_dyn_sized_stack, 0
	.set _ZN7rocprim17ROCPRIM_400000_NS6detail17trampoline_kernelINS0_14default_configENS1_32segmented_reduce_config_selectorIdEEZNS1_21segmented_reduce_implIS3_PKdPdPKidN6hipcub16HIPCUB_304000_NS6detail27convert_result_type_wrapperIS8_S9_N2at6native12_GLOBAL__N_19CustomMinEEEEE10hipError_tPvRmT0_T1_jT2_SQ_T4_T3_P12ihipStream_tbEUlT_E_NS1_11comp_targetILNS1_3genE10ELNS1_11target_archE1201ELNS1_3gpuE5ELNS1_3repE0EEENS1_30default_config_static_selectorELNS0_4arch9wavefront6targetE0EEEvSP_.has_recursion, 0
	.set _ZN7rocprim17ROCPRIM_400000_NS6detail17trampoline_kernelINS0_14default_configENS1_32segmented_reduce_config_selectorIdEEZNS1_21segmented_reduce_implIS3_PKdPdPKidN6hipcub16HIPCUB_304000_NS6detail27convert_result_type_wrapperIS8_S9_N2at6native12_GLOBAL__N_19CustomMinEEEEE10hipError_tPvRmT0_T1_jT2_SQ_T4_T3_P12ihipStream_tbEUlT_E_NS1_11comp_targetILNS1_3genE10ELNS1_11target_archE1201ELNS1_3gpuE5ELNS1_3repE0EEENS1_30default_config_static_selectorELNS0_4arch9wavefront6targetE0EEEvSP_.has_indirect_call, 0
	.section	.AMDGPU.csdata,"",@progbits
; Kernel info:
; codeLenInByte = 0
; TotalNumSgprs: 0
; NumVgprs: 0
; ScratchSize: 0
; MemoryBound: 0
; FloatMode: 240
; IeeeMode: 1
; LDSByteSize: 0 bytes/workgroup (compile time only)
; SGPRBlocks: 0
; VGPRBlocks: 0
; NumSGPRsForWavesPerEU: 1
; NumVGPRsForWavesPerEU: 1
; NamedBarCnt: 0
; Occupancy: 16
; WaveLimiterHint : 0
; COMPUTE_PGM_RSRC2:SCRATCH_EN: 0
; COMPUTE_PGM_RSRC2:USER_SGPR: 2
; COMPUTE_PGM_RSRC2:TRAP_HANDLER: 0
; COMPUTE_PGM_RSRC2:TGID_X_EN: 1
; COMPUTE_PGM_RSRC2:TGID_Y_EN: 0
; COMPUTE_PGM_RSRC2:TGID_Z_EN: 0
; COMPUTE_PGM_RSRC2:TIDIG_COMP_CNT: 0
	.section	.text._ZN7rocprim17ROCPRIM_400000_NS6detail17trampoline_kernelINS0_14default_configENS1_32segmented_reduce_config_selectorIdEEZNS1_21segmented_reduce_implIS3_PKdPdPKidN6hipcub16HIPCUB_304000_NS6detail27convert_result_type_wrapperIS8_S9_N2at6native12_GLOBAL__N_19CustomMinEEEEE10hipError_tPvRmT0_T1_jT2_SQ_T4_T3_P12ihipStream_tbEUlT_E_NS1_11comp_targetILNS1_3genE4ELNS1_11target_archE910ELNS1_3gpuE8ELNS1_3repE0EEENS1_30default_config_static_selectorELNS0_4arch9wavefront6targetE0EEEvSP_,"axG",@progbits,_ZN7rocprim17ROCPRIM_400000_NS6detail17trampoline_kernelINS0_14default_configENS1_32segmented_reduce_config_selectorIdEEZNS1_21segmented_reduce_implIS3_PKdPdPKidN6hipcub16HIPCUB_304000_NS6detail27convert_result_type_wrapperIS8_S9_N2at6native12_GLOBAL__N_19CustomMinEEEEE10hipError_tPvRmT0_T1_jT2_SQ_T4_T3_P12ihipStream_tbEUlT_E_NS1_11comp_targetILNS1_3genE4ELNS1_11target_archE910ELNS1_3gpuE8ELNS1_3repE0EEENS1_30default_config_static_selectorELNS0_4arch9wavefront6targetE0EEEvSP_,comdat
	.globl	_ZN7rocprim17ROCPRIM_400000_NS6detail17trampoline_kernelINS0_14default_configENS1_32segmented_reduce_config_selectorIdEEZNS1_21segmented_reduce_implIS3_PKdPdPKidN6hipcub16HIPCUB_304000_NS6detail27convert_result_type_wrapperIS8_S9_N2at6native12_GLOBAL__N_19CustomMinEEEEE10hipError_tPvRmT0_T1_jT2_SQ_T4_T3_P12ihipStream_tbEUlT_E_NS1_11comp_targetILNS1_3genE4ELNS1_11target_archE910ELNS1_3gpuE8ELNS1_3repE0EEENS1_30default_config_static_selectorELNS0_4arch9wavefront6targetE0EEEvSP_ ; -- Begin function _ZN7rocprim17ROCPRIM_400000_NS6detail17trampoline_kernelINS0_14default_configENS1_32segmented_reduce_config_selectorIdEEZNS1_21segmented_reduce_implIS3_PKdPdPKidN6hipcub16HIPCUB_304000_NS6detail27convert_result_type_wrapperIS8_S9_N2at6native12_GLOBAL__N_19CustomMinEEEEE10hipError_tPvRmT0_T1_jT2_SQ_T4_T3_P12ihipStream_tbEUlT_E_NS1_11comp_targetILNS1_3genE4ELNS1_11target_archE910ELNS1_3gpuE8ELNS1_3repE0EEENS1_30default_config_static_selectorELNS0_4arch9wavefront6targetE0EEEvSP_
	.p2align	8
	.type	_ZN7rocprim17ROCPRIM_400000_NS6detail17trampoline_kernelINS0_14default_configENS1_32segmented_reduce_config_selectorIdEEZNS1_21segmented_reduce_implIS3_PKdPdPKidN6hipcub16HIPCUB_304000_NS6detail27convert_result_type_wrapperIS8_S9_N2at6native12_GLOBAL__N_19CustomMinEEEEE10hipError_tPvRmT0_T1_jT2_SQ_T4_T3_P12ihipStream_tbEUlT_E_NS1_11comp_targetILNS1_3genE4ELNS1_11target_archE910ELNS1_3gpuE8ELNS1_3repE0EEENS1_30default_config_static_selectorELNS0_4arch9wavefront6targetE0EEEvSP_,@function
_ZN7rocprim17ROCPRIM_400000_NS6detail17trampoline_kernelINS0_14default_configENS1_32segmented_reduce_config_selectorIdEEZNS1_21segmented_reduce_implIS3_PKdPdPKidN6hipcub16HIPCUB_304000_NS6detail27convert_result_type_wrapperIS8_S9_N2at6native12_GLOBAL__N_19CustomMinEEEEE10hipError_tPvRmT0_T1_jT2_SQ_T4_T3_P12ihipStream_tbEUlT_E_NS1_11comp_targetILNS1_3genE4ELNS1_11target_archE910ELNS1_3gpuE8ELNS1_3repE0EEENS1_30default_config_static_selectorELNS0_4arch9wavefront6targetE0EEEvSP_: ; @_ZN7rocprim17ROCPRIM_400000_NS6detail17trampoline_kernelINS0_14default_configENS1_32segmented_reduce_config_selectorIdEEZNS1_21segmented_reduce_implIS3_PKdPdPKidN6hipcub16HIPCUB_304000_NS6detail27convert_result_type_wrapperIS8_S9_N2at6native12_GLOBAL__N_19CustomMinEEEEE10hipError_tPvRmT0_T1_jT2_SQ_T4_T3_P12ihipStream_tbEUlT_E_NS1_11comp_targetILNS1_3genE4ELNS1_11target_archE910ELNS1_3gpuE8ELNS1_3repE0EEENS1_30default_config_static_selectorELNS0_4arch9wavefront6targetE0EEEvSP_
; %bb.0:
	.section	.rodata,"a",@progbits
	.p2align	6, 0x0
	.amdhsa_kernel _ZN7rocprim17ROCPRIM_400000_NS6detail17trampoline_kernelINS0_14default_configENS1_32segmented_reduce_config_selectorIdEEZNS1_21segmented_reduce_implIS3_PKdPdPKidN6hipcub16HIPCUB_304000_NS6detail27convert_result_type_wrapperIS8_S9_N2at6native12_GLOBAL__N_19CustomMinEEEEE10hipError_tPvRmT0_T1_jT2_SQ_T4_T3_P12ihipStream_tbEUlT_E_NS1_11comp_targetILNS1_3genE4ELNS1_11target_archE910ELNS1_3gpuE8ELNS1_3repE0EEENS1_30default_config_static_selectorELNS0_4arch9wavefront6targetE0EEEvSP_
		.amdhsa_group_segment_fixed_size 0
		.amdhsa_private_segment_fixed_size 0
		.amdhsa_kernarg_size 56
		.amdhsa_user_sgpr_count 2
		.amdhsa_user_sgpr_dispatch_ptr 0
		.amdhsa_user_sgpr_queue_ptr 0
		.amdhsa_user_sgpr_kernarg_segment_ptr 1
		.amdhsa_user_sgpr_dispatch_id 0
		.amdhsa_user_sgpr_kernarg_preload_length 0
		.amdhsa_user_sgpr_kernarg_preload_offset 0
		.amdhsa_user_sgpr_private_segment_size 0
		.amdhsa_wavefront_size32 1
		.amdhsa_uses_dynamic_stack 0
		.amdhsa_enable_private_segment 0
		.amdhsa_system_sgpr_workgroup_id_x 1
		.amdhsa_system_sgpr_workgroup_id_y 0
		.amdhsa_system_sgpr_workgroup_id_z 0
		.amdhsa_system_sgpr_workgroup_info 0
		.amdhsa_system_vgpr_workitem_id 0
		.amdhsa_next_free_vgpr 1
		.amdhsa_next_free_sgpr 1
		.amdhsa_named_barrier_count 0
		.amdhsa_reserve_vcc 0
		.amdhsa_float_round_mode_32 0
		.amdhsa_float_round_mode_16_64 0
		.amdhsa_float_denorm_mode_32 3
		.amdhsa_float_denorm_mode_16_64 3
		.amdhsa_fp16_overflow 0
		.amdhsa_memory_ordered 1
		.amdhsa_forward_progress 1
		.amdhsa_inst_pref_size 0
		.amdhsa_round_robin_scheduling 0
		.amdhsa_exception_fp_ieee_invalid_op 0
		.amdhsa_exception_fp_denorm_src 0
		.amdhsa_exception_fp_ieee_div_zero 0
		.amdhsa_exception_fp_ieee_overflow 0
		.amdhsa_exception_fp_ieee_underflow 0
		.amdhsa_exception_fp_ieee_inexact 0
		.amdhsa_exception_int_div_zero 0
	.end_amdhsa_kernel
	.section	.text._ZN7rocprim17ROCPRIM_400000_NS6detail17trampoline_kernelINS0_14default_configENS1_32segmented_reduce_config_selectorIdEEZNS1_21segmented_reduce_implIS3_PKdPdPKidN6hipcub16HIPCUB_304000_NS6detail27convert_result_type_wrapperIS8_S9_N2at6native12_GLOBAL__N_19CustomMinEEEEE10hipError_tPvRmT0_T1_jT2_SQ_T4_T3_P12ihipStream_tbEUlT_E_NS1_11comp_targetILNS1_3genE4ELNS1_11target_archE910ELNS1_3gpuE8ELNS1_3repE0EEENS1_30default_config_static_selectorELNS0_4arch9wavefront6targetE0EEEvSP_,"axG",@progbits,_ZN7rocprim17ROCPRIM_400000_NS6detail17trampoline_kernelINS0_14default_configENS1_32segmented_reduce_config_selectorIdEEZNS1_21segmented_reduce_implIS3_PKdPdPKidN6hipcub16HIPCUB_304000_NS6detail27convert_result_type_wrapperIS8_S9_N2at6native12_GLOBAL__N_19CustomMinEEEEE10hipError_tPvRmT0_T1_jT2_SQ_T4_T3_P12ihipStream_tbEUlT_E_NS1_11comp_targetILNS1_3genE4ELNS1_11target_archE910ELNS1_3gpuE8ELNS1_3repE0EEENS1_30default_config_static_selectorELNS0_4arch9wavefront6targetE0EEEvSP_,comdat
.Lfunc_end29:
	.size	_ZN7rocprim17ROCPRIM_400000_NS6detail17trampoline_kernelINS0_14default_configENS1_32segmented_reduce_config_selectorIdEEZNS1_21segmented_reduce_implIS3_PKdPdPKidN6hipcub16HIPCUB_304000_NS6detail27convert_result_type_wrapperIS8_S9_N2at6native12_GLOBAL__N_19CustomMinEEEEE10hipError_tPvRmT0_T1_jT2_SQ_T4_T3_P12ihipStream_tbEUlT_E_NS1_11comp_targetILNS1_3genE4ELNS1_11target_archE910ELNS1_3gpuE8ELNS1_3repE0EEENS1_30default_config_static_selectorELNS0_4arch9wavefront6targetE0EEEvSP_, .Lfunc_end29-_ZN7rocprim17ROCPRIM_400000_NS6detail17trampoline_kernelINS0_14default_configENS1_32segmented_reduce_config_selectorIdEEZNS1_21segmented_reduce_implIS3_PKdPdPKidN6hipcub16HIPCUB_304000_NS6detail27convert_result_type_wrapperIS8_S9_N2at6native12_GLOBAL__N_19CustomMinEEEEE10hipError_tPvRmT0_T1_jT2_SQ_T4_T3_P12ihipStream_tbEUlT_E_NS1_11comp_targetILNS1_3genE4ELNS1_11target_archE910ELNS1_3gpuE8ELNS1_3repE0EEENS1_30default_config_static_selectorELNS0_4arch9wavefront6targetE0EEEvSP_
                                        ; -- End function
	.set _ZN7rocprim17ROCPRIM_400000_NS6detail17trampoline_kernelINS0_14default_configENS1_32segmented_reduce_config_selectorIdEEZNS1_21segmented_reduce_implIS3_PKdPdPKidN6hipcub16HIPCUB_304000_NS6detail27convert_result_type_wrapperIS8_S9_N2at6native12_GLOBAL__N_19CustomMinEEEEE10hipError_tPvRmT0_T1_jT2_SQ_T4_T3_P12ihipStream_tbEUlT_E_NS1_11comp_targetILNS1_3genE4ELNS1_11target_archE910ELNS1_3gpuE8ELNS1_3repE0EEENS1_30default_config_static_selectorELNS0_4arch9wavefront6targetE0EEEvSP_.num_vgpr, 0
	.set _ZN7rocprim17ROCPRIM_400000_NS6detail17trampoline_kernelINS0_14default_configENS1_32segmented_reduce_config_selectorIdEEZNS1_21segmented_reduce_implIS3_PKdPdPKidN6hipcub16HIPCUB_304000_NS6detail27convert_result_type_wrapperIS8_S9_N2at6native12_GLOBAL__N_19CustomMinEEEEE10hipError_tPvRmT0_T1_jT2_SQ_T4_T3_P12ihipStream_tbEUlT_E_NS1_11comp_targetILNS1_3genE4ELNS1_11target_archE910ELNS1_3gpuE8ELNS1_3repE0EEENS1_30default_config_static_selectorELNS0_4arch9wavefront6targetE0EEEvSP_.num_agpr, 0
	.set _ZN7rocprim17ROCPRIM_400000_NS6detail17trampoline_kernelINS0_14default_configENS1_32segmented_reduce_config_selectorIdEEZNS1_21segmented_reduce_implIS3_PKdPdPKidN6hipcub16HIPCUB_304000_NS6detail27convert_result_type_wrapperIS8_S9_N2at6native12_GLOBAL__N_19CustomMinEEEEE10hipError_tPvRmT0_T1_jT2_SQ_T4_T3_P12ihipStream_tbEUlT_E_NS1_11comp_targetILNS1_3genE4ELNS1_11target_archE910ELNS1_3gpuE8ELNS1_3repE0EEENS1_30default_config_static_selectorELNS0_4arch9wavefront6targetE0EEEvSP_.numbered_sgpr, 0
	.set _ZN7rocprim17ROCPRIM_400000_NS6detail17trampoline_kernelINS0_14default_configENS1_32segmented_reduce_config_selectorIdEEZNS1_21segmented_reduce_implIS3_PKdPdPKidN6hipcub16HIPCUB_304000_NS6detail27convert_result_type_wrapperIS8_S9_N2at6native12_GLOBAL__N_19CustomMinEEEEE10hipError_tPvRmT0_T1_jT2_SQ_T4_T3_P12ihipStream_tbEUlT_E_NS1_11comp_targetILNS1_3genE4ELNS1_11target_archE910ELNS1_3gpuE8ELNS1_3repE0EEENS1_30default_config_static_selectorELNS0_4arch9wavefront6targetE0EEEvSP_.num_named_barrier, 0
	.set _ZN7rocprim17ROCPRIM_400000_NS6detail17trampoline_kernelINS0_14default_configENS1_32segmented_reduce_config_selectorIdEEZNS1_21segmented_reduce_implIS3_PKdPdPKidN6hipcub16HIPCUB_304000_NS6detail27convert_result_type_wrapperIS8_S9_N2at6native12_GLOBAL__N_19CustomMinEEEEE10hipError_tPvRmT0_T1_jT2_SQ_T4_T3_P12ihipStream_tbEUlT_E_NS1_11comp_targetILNS1_3genE4ELNS1_11target_archE910ELNS1_3gpuE8ELNS1_3repE0EEENS1_30default_config_static_selectorELNS0_4arch9wavefront6targetE0EEEvSP_.private_seg_size, 0
	.set _ZN7rocprim17ROCPRIM_400000_NS6detail17trampoline_kernelINS0_14default_configENS1_32segmented_reduce_config_selectorIdEEZNS1_21segmented_reduce_implIS3_PKdPdPKidN6hipcub16HIPCUB_304000_NS6detail27convert_result_type_wrapperIS8_S9_N2at6native12_GLOBAL__N_19CustomMinEEEEE10hipError_tPvRmT0_T1_jT2_SQ_T4_T3_P12ihipStream_tbEUlT_E_NS1_11comp_targetILNS1_3genE4ELNS1_11target_archE910ELNS1_3gpuE8ELNS1_3repE0EEENS1_30default_config_static_selectorELNS0_4arch9wavefront6targetE0EEEvSP_.uses_vcc, 0
	.set _ZN7rocprim17ROCPRIM_400000_NS6detail17trampoline_kernelINS0_14default_configENS1_32segmented_reduce_config_selectorIdEEZNS1_21segmented_reduce_implIS3_PKdPdPKidN6hipcub16HIPCUB_304000_NS6detail27convert_result_type_wrapperIS8_S9_N2at6native12_GLOBAL__N_19CustomMinEEEEE10hipError_tPvRmT0_T1_jT2_SQ_T4_T3_P12ihipStream_tbEUlT_E_NS1_11comp_targetILNS1_3genE4ELNS1_11target_archE910ELNS1_3gpuE8ELNS1_3repE0EEENS1_30default_config_static_selectorELNS0_4arch9wavefront6targetE0EEEvSP_.uses_flat_scratch, 0
	.set _ZN7rocprim17ROCPRIM_400000_NS6detail17trampoline_kernelINS0_14default_configENS1_32segmented_reduce_config_selectorIdEEZNS1_21segmented_reduce_implIS3_PKdPdPKidN6hipcub16HIPCUB_304000_NS6detail27convert_result_type_wrapperIS8_S9_N2at6native12_GLOBAL__N_19CustomMinEEEEE10hipError_tPvRmT0_T1_jT2_SQ_T4_T3_P12ihipStream_tbEUlT_E_NS1_11comp_targetILNS1_3genE4ELNS1_11target_archE910ELNS1_3gpuE8ELNS1_3repE0EEENS1_30default_config_static_selectorELNS0_4arch9wavefront6targetE0EEEvSP_.has_dyn_sized_stack, 0
	.set _ZN7rocprim17ROCPRIM_400000_NS6detail17trampoline_kernelINS0_14default_configENS1_32segmented_reduce_config_selectorIdEEZNS1_21segmented_reduce_implIS3_PKdPdPKidN6hipcub16HIPCUB_304000_NS6detail27convert_result_type_wrapperIS8_S9_N2at6native12_GLOBAL__N_19CustomMinEEEEE10hipError_tPvRmT0_T1_jT2_SQ_T4_T3_P12ihipStream_tbEUlT_E_NS1_11comp_targetILNS1_3genE4ELNS1_11target_archE910ELNS1_3gpuE8ELNS1_3repE0EEENS1_30default_config_static_selectorELNS0_4arch9wavefront6targetE0EEEvSP_.has_recursion, 0
	.set _ZN7rocprim17ROCPRIM_400000_NS6detail17trampoline_kernelINS0_14default_configENS1_32segmented_reduce_config_selectorIdEEZNS1_21segmented_reduce_implIS3_PKdPdPKidN6hipcub16HIPCUB_304000_NS6detail27convert_result_type_wrapperIS8_S9_N2at6native12_GLOBAL__N_19CustomMinEEEEE10hipError_tPvRmT0_T1_jT2_SQ_T4_T3_P12ihipStream_tbEUlT_E_NS1_11comp_targetILNS1_3genE4ELNS1_11target_archE910ELNS1_3gpuE8ELNS1_3repE0EEENS1_30default_config_static_selectorELNS0_4arch9wavefront6targetE0EEEvSP_.has_indirect_call, 0
	.section	.AMDGPU.csdata,"",@progbits
; Kernel info:
; codeLenInByte = 0
; TotalNumSgprs: 0
; NumVgprs: 0
; ScratchSize: 0
; MemoryBound: 0
; FloatMode: 240
; IeeeMode: 1
; LDSByteSize: 0 bytes/workgroup (compile time only)
; SGPRBlocks: 0
; VGPRBlocks: 0
; NumSGPRsForWavesPerEU: 1
; NumVGPRsForWavesPerEU: 1
; NamedBarCnt: 0
; Occupancy: 16
; WaveLimiterHint : 0
; COMPUTE_PGM_RSRC2:SCRATCH_EN: 0
; COMPUTE_PGM_RSRC2:USER_SGPR: 2
; COMPUTE_PGM_RSRC2:TRAP_HANDLER: 0
; COMPUTE_PGM_RSRC2:TGID_X_EN: 1
; COMPUTE_PGM_RSRC2:TGID_Y_EN: 0
; COMPUTE_PGM_RSRC2:TGID_Z_EN: 0
; COMPUTE_PGM_RSRC2:TIDIG_COMP_CNT: 0
	.section	.text._ZN7rocprim17ROCPRIM_400000_NS6detail17trampoline_kernelINS0_14default_configENS1_32segmented_reduce_config_selectorIdEEZNS1_21segmented_reduce_implIS3_PKdPdPKidN6hipcub16HIPCUB_304000_NS6detail27convert_result_type_wrapperIS8_S9_N2at6native12_GLOBAL__N_19CustomMinEEEEE10hipError_tPvRmT0_T1_jT2_SQ_T4_T3_P12ihipStream_tbEUlT_E_NS1_11comp_targetILNS1_3genE3ELNS1_11target_archE908ELNS1_3gpuE7ELNS1_3repE0EEENS1_30default_config_static_selectorELNS0_4arch9wavefront6targetE0EEEvSP_,"axG",@progbits,_ZN7rocprim17ROCPRIM_400000_NS6detail17trampoline_kernelINS0_14default_configENS1_32segmented_reduce_config_selectorIdEEZNS1_21segmented_reduce_implIS3_PKdPdPKidN6hipcub16HIPCUB_304000_NS6detail27convert_result_type_wrapperIS8_S9_N2at6native12_GLOBAL__N_19CustomMinEEEEE10hipError_tPvRmT0_T1_jT2_SQ_T4_T3_P12ihipStream_tbEUlT_E_NS1_11comp_targetILNS1_3genE3ELNS1_11target_archE908ELNS1_3gpuE7ELNS1_3repE0EEENS1_30default_config_static_selectorELNS0_4arch9wavefront6targetE0EEEvSP_,comdat
	.globl	_ZN7rocprim17ROCPRIM_400000_NS6detail17trampoline_kernelINS0_14default_configENS1_32segmented_reduce_config_selectorIdEEZNS1_21segmented_reduce_implIS3_PKdPdPKidN6hipcub16HIPCUB_304000_NS6detail27convert_result_type_wrapperIS8_S9_N2at6native12_GLOBAL__N_19CustomMinEEEEE10hipError_tPvRmT0_T1_jT2_SQ_T4_T3_P12ihipStream_tbEUlT_E_NS1_11comp_targetILNS1_3genE3ELNS1_11target_archE908ELNS1_3gpuE7ELNS1_3repE0EEENS1_30default_config_static_selectorELNS0_4arch9wavefront6targetE0EEEvSP_ ; -- Begin function _ZN7rocprim17ROCPRIM_400000_NS6detail17trampoline_kernelINS0_14default_configENS1_32segmented_reduce_config_selectorIdEEZNS1_21segmented_reduce_implIS3_PKdPdPKidN6hipcub16HIPCUB_304000_NS6detail27convert_result_type_wrapperIS8_S9_N2at6native12_GLOBAL__N_19CustomMinEEEEE10hipError_tPvRmT0_T1_jT2_SQ_T4_T3_P12ihipStream_tbEUlT_E_NS1_11comp_targetILNS1_3genE3ELNS1_11target_archE908ELNS1_3gpuE7ELNS1_3repE0EEENS1_30default_config_static_selectorELNS0_4arch9wavefront6targetE0EEEvSP_
	.p2align	8
	.type	_ZN7rocprim17ROCPRIM_400000_NS6detail17trampoline_kernelINS0_14default_configENS1_32segmented_reduce_config_selectorIdEEZNS1_21segmented_reduce_implIS3_PKdPdPKidN6hipcub16HIPCUB_304000_NS6detail27convert_result_type_wrapperIS8_S9_N2at6native12_GLOBAL__N_19CustomMinEEEEE10hipError_tPvRmT0_T1_jT2_SQ_T4_T3_P12ihipStream_tbEUlT_E_NS1_11comp_targetILNS1_3genE3ELNS1_11target_archE908ELNS1_3gpuE7ELNS1_3repE0EEENS1_30default_config_static_selectorELNS0_4arch9wavefront6targetE0EEEvSP_,@function
_ZN7rocprim17ROCPRIM_400000_NS6detail17trampoline_kernelINS0_14default_configENS1_32segmented_reduce_config_selectorIdEEZNS1_21segmented_reduce_implIS3_PKdPdPKidN6hipcub16HIPCUB_304000_NS6detail27convert_result_type_wrapperIS8_S9_N2at6native12_GLOBAL__N_19CustomMinEEEEE10hipError_tPvRmT0_T1_jT2_SQ_T4_T3_P12ihipStream_tbEUlT_E_NS1_11comp_targetILNS1_3genE3ELNS1_11target_archE908ELNS1_3gpuE7ELNS1_3repE0EEENS1_30default_config_static_selectorELNS0_4arch9wavefront6targetE0EEEvSP_: ; @_ZN7rocprim17ROCPRIM_400000_NS6detail17trampoline_kernelINS0_14default_configENS1_32segmented_reduce_config_selectorIdEEZNS1_21segmented_reduce_implIS3_PKdPdPKidN6hipcub16HIPCUB_304000_NS6detail27convert_result_type_wrapperIS8_S9_N2at6native12_GLOBAL__N_19CustomMinEEEEE10hipError_tPvRmT0_T1_jT2_SQ_T4_T3_P12ihipStream_tbEUlT_E_NS1_11comp_targetILNS1_3genE3ELNS1_11target_archE908ELNS1_3gpuE7ELNS1_3repE0EEENS1_30default_config_static_selectorELNS0_4arch9wavefront6targetE0EEEvSP_
; %bb.0:
	.section	.rodata,"a",@progbits
	.p2align	6, 0x0
	.amdhsa_kernel _ZN7rocprim17ROCPRIM_400000_NS6detail17trampoline_kernelINS0_14default_configENS1_32segmented_reduce_config_selectorIdEEZNS1_21segmented_reduce_implIS3_PKdPdPKidN6hipcub16HIPCUB_304000_NS6detail27convert_result_type_wrapperIS8_S9_N2at6native12_GLOBAL__N_19CustomMinEEEEE10hipError_tPvRmT0_T1_jT2_SQ_T4_T3_P12ihipStream_tbEUlT_E_NS1_11comp_targetILNS1_3genE3ELNS1_11target_archE908ELNS1_3gpuE7ELNS1_3repE0EEENS1_30default_config_static_selectorELNS0_4arch9wavefront6targetE0EEEvSP_
		.amdhsa_group_segment_fixed_size 0
		.amdhsa_private_segment_fixed_size 0
		.amdhsa_kernarg_size 56
		.amdhsa_user_sgpr_count 2
		.amdhsa_user_sgpr_dispatch_ptr 0
		.amdhsa_user_sgpr_queue_ptr 0
		.amdhsa_user_sgpr_kernarg_segment_ptr 1
		.amdhsa_user_sgpr_dispatch_id 0
		.amdhsa_user_sgpr_kernarg_preload_length 0
		.amdhsa_user_sgpr_kernarg_preload_offset 0
		.amdhsa_user_sgpr_private_segment_size 0
		.amdhsa_wavefront_size32 1
		.amdhsa_uses_dynamic_stack 0
		.amdhsa_enable_private_segment 0
		.amdhsa_system_sgpr_workgroup_id_x 1
		.amdhsa_system_sgpr_workgroup_id_y 0
		.amdhsa_system_sgpr_workgroup_id_z 0
		.amdhsa_system_sgpr_workgroup_info 0
		.amdhsa_system_vgpr_workitem_id 0
		.amdhsa_next_free_vgpr 1
		.amdhsa_next_free_sgpr 1
		.amdhsa_named_barrier_count 0
		.amdhsa_reserve_vcc 0
		.amdhsa_float_round_mode_32 0
		.amdhsa_float_round_mode_16_64 0
		.amdhsa_float_denorm_mode_32 3
		.amdhsa_float_denorm_mode_16_64 3
		.amdhsa_fp16_overflow 0
		.amdhsa_memory_ordered 1
		.amdhsa_forward_progress 1
		.amdhsa_inst_pref_size 0
		.amdhsa_round_robin_scheduling 0
		.amdhsa_exception_fp_ieee_invalid_op 0
		.amdhsa_exception_fp_denorm_src 0
		.amdhsa_exception_fp_ieee_div_zero 0
		.amdhsa_exception_fp_ieee_overflow 0
		.amdhsa_exception_fp_ieee_underflow 0
		.amdhsa_exception_fp_ieee_inexact 0
		.amdhsa_exception_int_div_zero 0
	.end_amdhsa_kernel
	.section	.text._ZN7rocprim17ROCPRIM_400000_NS6detail17trampoline_kernelINS0_14default_configENS1_32segmented_reduce_config_selectorIdEEZNS1_21segmented_reduce_implIS3_PKdPdPKidN6hipcub16HIPCUB_304000_NS6detail27convert_result_type_wrapperIS8_S9_N2at6native12_GLOBAL__N_19CustomMinEEEEE10hipError_tPvRmT0_T1_jT2_SQ_T4_T3_P12ihipStream_tbEUlT_E_NS1_11comp_targetILNS1_3genE3ELNS1_11target_archE908ELNS1_3gpuE7ELNS1_3repE0EEENS1_30default_config_static_selectorELNS0_4arch9wavefront6targetE0EEEvSP_,"axG",@progbits,_ZN7rocprim17ROCPRIM_400000_NS6detail17trampoline_kernelINS0_14default_configENS1_32segmented_reduce_config_selectorIdEEZNS1_21segmented_reduce_implIS3_PKdPdPKidN6hipcub16HIPCUB_304000_NS6detail27convert_result_type_wrapperIS8_S9_N2at6native12_GLOBAL__N_19CustomMinEEEEE10hipError_tPvRmT0_T1_jT2_SQ_T4_T3_P12ihipStream_tbEUlT_E_NS1_11comp_targetILNS1_3genE3ELNS1_11target_archE908ELNS1_3gpuE7ELNS1_3repE0EEENS1_30default_config_static_selectorELNS0_4arch9wavefront6targetE0EEEvSP_,comdat
.Lfunc_end30:
	.size	_ZN7rocprim17ROCPRIM_400000_NS6detail17trampoline_kernelINS0_14default_configENS1_32segmented_reduce_config_selectorIdEEZNS1_21segmented_reduce_implIS3_PKdPdPKidN6hipcub16HIPCUB_304000_NS6detail27convert_result_type_wrapperIS8_S9_N2at6native12_GLOBAL__N_19CustomMinEEEEE10hipError_tPvRmT0_T1_jT2_SQ_T4_T3_P12ihipStream_tbEUlT_E_NS1_11comp_targetILNS1_3genE3ELNS1_11target_archE908ELNS1_3gpuE7ELNS1_3repE0EEENS1_30default_config_static_selectorELNS0_4arch9wavefront6targetE0EEEvSP_, .Lfunc_end30-_ZN7rocprim17ROCPRIM_400000_NS6detail17trampoline_kernelINS0_14default_configENS1_32segmented_reduce_config_selectorIdEEZNS1_21segmented_reduce_implIS3_PKdPdPKidN6hipcub16HIPCUB_304000_NS6detail27convert_result_type_wrapperIS8_S9_N2at6native12_GLOBAL__N_19CustomMinEEEEE10hipError_tPvRmT0_T1_jT2_SQ_T4_T3_P12ihipStream_tbEUlT_E_NS1_11comp_targetILNS1_3genE3ELNS1_11target_archE908ELNS1_3gpuE7ELNS1_3repE0EEENS1_30default_config_static_selectorELNS0_4arch9wavefront6targetE0EEEvSP_
                                        ; -- End function
	.set _ZN7rocprim17ROCPRIM_400000_NS6detail17trampoline_kernelINS0_14default_configENS1_32segmented_reduce_config_selectorIdEEZNS1_21segmented_reduce_implIS3_PKdPdPKidN6hipcub16HIPCUB_304000_NS6detail27convert_result_type_wrapperIS8_S9_N2at6native12_GLOBAL__N_19CustomMinEEEEE10hipError_tPvRmT0_T1_jT2_SQ_T4_T3_P12ihipStream_tbEUlT_E_NS1_11comp_targetILNS1_3genE3ELNS1_11target_archE908ELNS1_3gpuE7ELNS1_3repE0EEENS1_30default_config_static_selectorELNS0_4arch9wavefront6targetE0EEEvSP_.num_vgpr, 0
	.set _ZN7rocprim17ROCPRIM_400000_NS6detail17trampoline_kernelINS0_14default_configENS1_32segmented_reduce_config_selectorIdEEZNS1_21segmented_reduce_implIS3_PKdPdPKidN6hipcub16HIPCUB_304000_NS6detail27convert_result_type_wrapperIS8_S9_N2at6native12_GLOBAL__N_19CustomMinEEEEE10hipError_tPvRmT0_T1_jT2_SQ_T4_T3_P12ihipStream_tbEUlT_E_NS1_11comp_targetILNS1_3genE3ELNS1_11target_archE908ELNS1_3gpuE7ELNS1_3repE0EEENS1_30default_config_static_selectorELNS0_4arch9wavefront6targetE0EEEvSP_.num_agpr, 0
	.set _ZN7rocprim17ROCPRIM_400000_NS6detail17trampoline_kernelINS0_14default_configENS1_32segmented_reduce_config_selectorIdEEZNS1_21segmented_reduce_implIS3_PKdPdPKidN6hipcub16HIPCUB_304000_NS6detail27convert_result_type_wrapperIS8_S9_N2at6native12_GLOBAL__N_19CustomMinEEEEE10hipError_tPvRmT0_T1_jT2_SQ_T4_T3_P12ihipStream_tbEUlT_E_NS1_11comp_targetILNS1_3genE3ELNS1_11target_archE908ELNS1_3gpuE7ELNS1_3repE0EEENS1_30default_config_static_selectorELNS0_4arch9wavefront6targetE0EEEvSP_.numbered_sgpr, 0
	.set _ZN7rocprim17ROCPRIM_400000_NS6detail17trampoline_kernelINS0_14default_configENS1_32segmented_reduce_config_selectorIdEEZNS1_21segmented_reduce_implIS3_PKdPdPKidN6hipcub16HIPCUB_304000_NS6detail27convert_result_type_wrapperIS8_S9_N2at6native12_GLOBAL__N_19CustomMinEEEEE10hipError_tPvRmT0_T1_jT2_SQ_T4_T3_P12ihipStream_tbEUlT_E_NS1_11comp_targetILNS1_3genE3ELNS1_11target_archE908ELNS1_3gpuE7ELNS1_3repE0EEENS1_30default_config_static_selectorELNS0_4arch9wavefront6targetE0EEEvSP_.num_named_barrier, 0
	.set _ZN7rocprim17ROCPRIM_400000_NS6detail17trampoline_kernelINS0_14default_configENS1_32segmented_reduce_config_selectorIdEEZNS1_21segmented_reduce_implIS3_PKdPdPKidN6hipcub16HIPCUB_304000_NS6detail27convert_result_type_wrapperIS8_S9_N2at6native12_GLOBAL__N_19CustomMinEEEEE10hipError_tPvRmT0_T1_jT2_SQ_T4_T3_P12ihipStream_tbEUlT_E_NS1_11comp_targetILNS1_3genE3ELNS1_11target_archE908ELNS1_3gpuE7ELNS1_3repE0EEENS1_30default_config_static_selectorELNS0_4arch9wavefront6targetE0EEEvSP_.private_seg_size, 0
	.set _ZN7rocprim17ROCPRIM_400000_NS6detail17trampoline_kernelINS0_14default_configENS1_32segmented_reduce_config_selectorIdEEZNS1_21segmented_reduce_implIS3_PKdPdPKidN6hipcub16HIPCUB_304000_NS6detail27convert_result_type_wrapperIS8_S9_N2at6native12_GLOBAL__N_19CustomMinEEEEE10hipError_tPvRmT0_T1_jT2_SQ_T4_T3_P12ihipStream_tbEUlT_E_NS1_11comp_targetILNS1_3genE3ELNS1_11target_archE908ELNS1_3gpuE7ELNS1_3repE0EEENS1_30default_config_static_selectorELNS0_4arch9wavefront6targetE0EEEvSP_.uses_vcc, 0
	.set _ZN7rocprim17ROCPRIM_400000_NS6detail17trampoline_kernelINS0_14default_configENS1_32segmented_reduce_config_selectorIdEEZNS1_21segmented_reduce_implIS3_PKdPdPKidN6hipcub16HIPCUB_304000_NS6detail27convert_result_type_wrapperIS8_S9_N2at6native12_GLOBAL__N_19CustomMinEEEEE10hipError_tPvRmT0_T1_jT2_SQ_T4_T3_P12ihipStream_tbEUlT_E_NS1_11comp_targetILNS1_3genE3ELNS1_11target_archE908ELNS1_3gpuE7ELNS1_3repE0EEENS1_30default_config_static_selectorELNS0_4arch9wavefront6targetE0EEEvSP_.uses_flat_scratch, 0
	.set _ZN7rocprim17ROCPRIM_400000_NS6detail17trampoline_kernelINS0_14default_configENS1_32segmented_reduce_config_selectorIdEEZNS1_21segmented_reduce_implIS3_PKdPdPKidN6hipcub16HIPCUB_304000_NS6detail27convert_result_type_wrapperIS8_S9_N2at6native12_GLOBAL__N_19CustomMinEEEEE10hipError_tPvRmT0_T1_jT2_SQ_T4_T3_P12ihipStream_tbEUlT_E_NS1_11comp_targetILNS1_3genE3ELNS1_11target_archE908ELNS1_3gpuE7ELNS1_3repE0EEENS1_30default_config_static_selectorELNS0_4arch9wavefront6targetE0EEEvSP_.has_dyn_sized_stack, 0
	.set _ZN7rocprim17ROCPRIM_400000_NS6detail17trampoline_kernelINS0_14default_configENS1_32segmented_reduce_config_selectorIdEEZNS1_21segmented_reduce_implIS3_PKdPdPKidN6hipcub16HIPCUB_304000_NS6detail27convert_result_type_wrapperIS8_S9_N2at6native12_GLOBAL__N_19CustomMinEEEEE10hipError_tPvRmT0_T1_jT2_SQ_T4_T3_P12ihipStream_tbEUlT_E_NS1_11comp_targetILNS1_3genE3ELNS1_11target_archE908ELNS1_3gpuE7ELNS1_3repE0EEENS1_30default_config_static_selectorELNS0_4arch9wavefront6targetE0EEEvSP_.has_recursion, 0
	.set _ZN7rocprim17ROCPRIM_400000_NS6detail17trampoline_kernelINS0_14default_configENS1_32segmented_reduce_config_selectorIdEEZNS1_21segmented_reduce_implIS3_PKdPdPKidN6hipcub16HIPCUB_304000_NS6detail27convert_result_type_wrapperIS8_S9_N2at6native12_GLOBAL__N_19CustomMinEEEEE10hipError_tPvRmT0_T1_jT2_SQ_T4_T3_P12ihipStream_tbEUlT_E_NS1_11comp_targetILNS1_3genE3ELNS1_11target_archE908ELNS1_3gpuE7ELNS1_3repE0EEENS1_30default_config_static_selectorELNS0_4arch9wavefront6targetE0EEEvSP_.has_indirect_call, 0
	.section	.AMDGPU.csdata,"",@progbits
; Kernel info:
; codeLenInByte = 0
; TotalNumSgprs: 0
; NumVgprs: 0
; ScratchSize: 0
; MemoryBound: 0
; FloatMode: 240
; IeeeMode: 1
; LDSByteSize: 0 bytes/workgroup (compile time only)
; SGPRBlocks: 0
; VGPRBlocks: 0
; NumSGPRsForWavesPerEU: 1
; NumVGPRsForWavesPerEU: 1
; NamedBarCnt: 0
; Occupancy: 16
; WaveLimiterHint : 0
; COMPUTE_PGM_RSRC2:SCRATCH_EN: 0
; COMPUTE_PGM_RSRC2:USER_SGPR: 2
; COMPUTE_PGM_RSRC2:TRAP_HANDLER: 0
; COMPUTE_PGM_RSRC2:TGID_X_EN: 1
; COMPUTE_PGM_RSRC2:TGID_Y_EN: 0
; COMPUTE_PGM_RSRC2:TGID_Z_EN: 0
; COMPUTE_PGM_RSRC2:TIDIG_COMP_CNT: 0
	.section	.text._ZN7rocprim17ROCPRIM_400000_NS6detail17trampoline_kernelINS0_14default_configENS1_32segmented_reduce_config_selectorIdEEZNS1_21segmented_reduce_implIS3_PKdPdPKidN6hipcub16HIPCUB_304000_NS6detail27convert_result_type_wrapperIS8_S9_N2at6native12_GLOBAL__N_19CustomMinEEEEE10hipError_tPvRmT0_T1_jT2_SQ_T4_T3_P12ihipStream_tbEUlT_E_NS1_11comp_targetILNS1_3genE2ELNS1_11target_archE906ELNS1_3gpuE6ELNS1_3repE0EEENS1_30default_config_static_selectorELNS0_4arch9wavefront6targetE0EEEvSP_,"axG",@progbits,_ZN7rocprim17ROCPRIM_400000_NS6detail17trampoline_kernelINS0_14default_configENS1_32segmented_reduce_config_selectorIdEEZNS1_21segmented_reduce_implIS3_PKdPdPKidN6hipcub16HIPCUB_304000_NS6detail27convert_result_type_wrapperIS8_S9_N2at6native12_GLOBAL__N_19CustomMinEEEEE10hipError_tPvRmT0_T1_jT2_SQ_T4_T3_P12ihipStream_tbEUlT_E_NS1_11comp_targetILNS1_3genE2ELNS1_11target_archE906ELNS1_3gpuE6ELNS1_3repE0EEENS1_30default_config_static_selectorELNS0_4arch9wavefront6targetE0EEEvSP_,comdat
	.globl	_ZN7rocprim17ROCPRIM_400000_NS6detail17trampoline_kernelINS0_14default_configENS1_32segmented_reduce_config_selectorIdEEZNS1_21segmented_reduce_implIS3_PKdPdPKidN6hipcub16HIPCUB_304000_NS6detail27convert_result_type_wrapperIS8_S9_N2at6native12_GLOBAL__N_19CustomMinEEEEE10hipError_tPvRmT0_T1_jT2_SQ_T4_T3_P12ihipStream_tbEUlT_E_NS1_11comp_targetILNS1_3genE2ELNS1_11target_archE906ELNS1_3gpuE6ELNS1_3repE0EEENS1_30default_config_static_selectorELNS0_4arch9wavefront6targetE0EEEvSP_ ; -- Begin function _ZN7rocprim17ROCPRIM_400000_NS6detail17trampoline_kernelINS0_14default_configENS1_32segmented_reduce_config_selectorIdEEZNS1_21segmented_reduce_implIS3_PKdPdPKidN6hipcub16HIPCUB_304000_NS6detail27convert_result_type_wrapperIS8_S9_N2at6native12_GLOBAL__N_19CustomMinEEEEE10hipError_tPvRmT0_T1_jT2_SQ_T4_T3_P12ihipStream_tbEUlT_E_NS1_11comp_targetILNS1_3genE2ELNS1_11target_archE906ELNS1_3gpuE6ELNS1_3repE0EEENS1_30default_config_static_selectorELNS0_4arch9wavefront6targetE0EEEvSP_
	.p2align	8
	.type	_ZN7rocprim17ROCPRIM_400000_NS6detail17trampoline_kernelINS0_14default_configENS1_32segmented_reduce_config_selectorIdEEZNS1_21segmented_reduce_implIS3_PKdPdPKidN6hipcub16HIPCUB_304000_NS6detail27convert_result_type_wrapperIS8_S9_N2at6native12_GLOBAL__N_19CustomMinEEEEE10hipError_tPvRmT0_T1_jT2_SQ_T4_T3_P12ihipStream_tbEUlT_E_NS1_11comp_targetILNS1_3genE2ELNS1_11target_archE906ELNS1_3gpuE6ELNS1_3repE0EEENS1_30default_config_static_selectorELNS0_4arch9wavefront6targetE0EEEvSP_,@function
_ZN7rocprim17ROCPRIM_400000_NS6detail17trampoline_kernelINS0_14default_configENS1_32segmented_reduce_config_selectorIdEEZNS1_21segmented_reduce_implIS3_PKdPdPKidN6hipcub16HIPCUB_304000_NS6detail27convert_result_type_wrapperIS8_S9_N2at6native12_GLOBAL__N_19CustomMinEEEEE10hipError_tPvRmT0_T1_jT2_SQ_T4_T3_P12ihipStream_tbEUlT_E_NS1_11comp_targetILNS1_3genE2ELNS1_11target_archE906ELNS1_3gpuE6ELNS1_3repE0EEENS1_30default_config_static_selectorELNS0_4arch9wavefront6targetE0EEEvSP_: ; @_ZN7rocprim17ROCPRIM_400000_NS6detail17trampoline_kernelINS0_14default_configENS1_32segmented_reduce_config_selectorIdEEZNS1_21segmented_reduce_implIS3_PKdPdPKidN6hipcub16HIPCUB_304000_NS6detail27convert_result_type_wrapperIS8_S9_N2at6native12_GLOBAL__N_19CustomMinEEEEE10hipError_tPvRmT0_T1_jT2_SQ_T4_T3_P12ihipStream_tbEUlT_E_NS1_11comp_targetILNS1_3genE2ELNS1_11target_archE906ELNS1_3gpuE6ELNS1_3repE0EEENS1_30default_config_static_selectorELNS0_4arch9wavefront6targetE0EEEvSP_
; %bb.0:
	.section	.rodata,"a",@progbits
	.p2align	6, 0x0
	.amdhsa_kernel _ZN7rocprim17ROCPRIM_400000_NS6detail17trampoline_kernelINS0_14default_configENS1_32segmented_reduce_config_selectorIdEEZNS1_21segmented_reduce_implIS3_PKdPdPKidN6hipcub16HIPCUB_304000_NS6detail27convert_result_type_wrapperIS8_S9_N2at6native12_GLOBAL__N_19CustomMinEEEEE10hipError_tPvRmT0_T1_jT2_SQ_T4_T3_P12ihipStream_tbEUlT_E_NS1_11comp_targetILNS1_3genE2ELNS1_11target_archE906ELNS1_3gpuE6ELNS1_3repE0EEENS1_30default_config_static_selectorELNS0_4arch9wavefront6targetE0EEEvSP_
		.amdhsa_group_segment_fixed_size 0
		.amdhsa_private_segment_fixed_size 0
		.amdhsa_kernarg_size 56
		.amdhsa_user_sgpr_count 2
		.amdhsa_user_sgpr_dispatch_ptr 0
		.amdhsa_user_sgpr_queue_ptr 0
		.amdhsa_user_sgpr_kernarg_segment_ptr 1
		.amdhsa_user_sgpr_dispatch_id 0
		.amdhsa_user_sgpr_kernarg_preload_length 0
		.amdhsa_user_sgpr_kernarg_preload_offset 0
		.amdhsa_user_sgpr_private_segment_size 0
		.amdhsa_wavefront_size32 1
		.amdhsa_uses_dynamic_stack 0
		.amdhsa_enable_private_segment 0
		.amdhsa_system_sgpr_workgroup_id_x 1
		.amdhsa_system_sgpr_workgroup_id_y 0
		.amdhsa_system_sgpr_workgroup_id_z 0
		.amdhsa_system_sgpr_workgroup_info 0
		.amdhsa_system_vgpr_workitem_id 0
		.amdhsa_next_free_vgpr 1
		.amdhsa_next_free_sgpr 1
		.amdhsa_named_barrier_count 0
		.amdhsa_reserve_vcc 0
		.amdhsa_float_round_mode_32 0
		.amdhsa_float_round_mode_16_64 0
		.amdhsa_float_denorm_mode_32 3
		.amdhsa_float_denorm_mode_16_64 3
		.amdhsa_fp16_overflow 0
		.amdhsa_memory_ordered 1
		.amdhsa_forward_progress 1
		.amdhsa_inst_pref_size 0
		.amdhsa_round_robin_scheduling 0
		.amdhsa_exception_fp_ieee_invalid_op 0
		.amdhsa_exception_fp_denorm_src 0
		.amdhsa_exception_fp_ieee_div_zero 0
		.amdhsa_exception_fp_ieee_overflow 0
		.amdhsa_exception_fp_ieee_underflow 0
		.amdhsa_exception_fp_ieee_inexact 0
		.amdhsa_exception_int_div_zero 0
	.end_amdhsa_kernel
	.section	.text._ZN7rocprim17ROCPRIM_400000_NS6detail17trampoline_kernelINS0_14default_configENS1_32segmented_reduce_config_selectorIdEEZNS1_21segmented_reduce_implIS3_PKdPdPKidN6hipcub16HIPCUB_304000_NS6detail27convert_result_type_wrapperIS8_S9_N2at6native12_GLOBAL__N_19CustomMinEEEEE10hipError_tPvRmT0_T1_jT2_SQ_T4_T3_P12ihipStream_tbEUlT_E_NS1_11comp_targetILNS1_3genE2ELNS1_11target_archE906ELNS1_3gpuE6ELNS1_3repE0EEENS1_30default_config_static_selectorELNS0_4arch9wavefront6targetE0EEEvSP_,"axG",@progbits,_ZN7rocprim17ROCPRIM_400000_NS6detail17trampoline_kernelINS0_14default_configENS1_32segmented_reduce_config_selectorIdEEZNS1_21segmented_reduce_implIS3_PKdPdPKidN6hipcub16HIPCUB_304000_NS6detail27convert_result_type_wrapperIS8_S9_N2at6native12_GLOBAL__N_19CustomMinEEEEE10hipError_tPvRmT0_T1_jT2_SQ_T4_T3_P12ihipStream_tbEUlT_E_NS1_11comp_targetILNS1_3genE2ELNS1_11target_archE906ELNS1_3gpuE6ELNS1_3repE0EEENS1_30default_config_static_selectorELNS0_4arch9wavefront6targetE0EEEvSP_,comdat
.Lfunc_end31:
	.size	_ZN7rocprim17ROCPRIM_400000_NS6detail17trampoline_kernelINS0_14default_configENS1_32segmented_reduce_config_selectorIdEEZNS1_21segmented_reduce_implIS3_PKdPdPKidN6hipcub16HIPCUB_304000_NS6detail27convert_result_type_wrapperIS8_S9_N2at6native12_GLOBAL__N_19CustomMinEEEEE10hipError_tPvRmT0_T1_jT2_SQ_T4_T3_P12ihipStream_tbEUlT_E_NS1_11comp_targetILNS1_3genE2ELNS1_11target_archE906ELNS1_3gpuE6ELNS1_3repE0EEENS1_30default_config_static_selectorELNS0_4arch9wavefront6targetE0EEEvSP_, .Lfunc_end31-_ZN7rocprim17ROCPRIM_400000_NS6detail17trampoline_kernelINS0_14default_configENS1_32segmented_reduce_config_selectorIdEEZNS1_21segmented_reduce_implIS3_PKdPdPKidN6hipcub16HIPCUB_304000_NS6detail27convert_result_type_wrapperIS8_S9_N2at6native12_GLOBAL__N_19CustomMinEEEEE10hipError_tPvRmT0_T1_jT2_SQ_T4_T3_P12ihipStream_tbEUlT_E_NS1_11comp_targetILNS1_3genE2ELNS1_11target_archE906ELNS1_3gpuE6ELNS1_3repE0EEENS1_30default_config_static_selectorELNS0_4arch9wavefront6targetE0EEEvSP_
                                        ; -- End function
	.set _ZN7rocprim17ROCPRIM_400000_NS6detail17trampoline_kernelINS0_14default_configENS1_32segmented_reduce_config_selectorIdEEZNS1_21segmented_reduce_implIS3_PKdPdPKidN6hipcub16HIPCUB_304000_NS6detail27convert_result_type_wrapperIS8_S9_N2at6native12_GLOBAL__N_19CustomMinEEEEE10hipError_tPvRmT0_T1_jT2_SQ_T4_T3_P12ihipStream_tbEUlT_E_NS1_11comp_targetILNS1_3genE2ELNS1_11target_archE906ELNS1_3gpuE6ELNS1_3repE0EEENS1_30default_config_static_selectorELNS0_4arch9wavefront6targetE0EEEvSP_.num_vgpr, 0
	.set _ZN7rocprim17ROCPRIM_400000_NS6detail17trampoline_kernelINS0_14default_configENS1_32segmented_reduce_config_selectorIdEEZNS1_21segmented_reduce_implIS3_PKdPdPKidN6hipcub16HIPCUB_304000_NS6detail27convert_result_type_wrapperIS8_S9_N2at6native12_GLOBAL__N_19CustomMinEEEEE10hipError_tPvRmT0_T1_jT2_SQ_T4_T3_P12ihipStream_tbEUlT_E_NS1_11comp_targetILNS1_3genE2ELNS1_11target_archE906ELNS1_3gpuE6ELNS1_3repE0EEENS1_30default_config_static_selectorELNS0_4arch9wavefront6targetE0EEEvSP_.num_agpr, 0
	.set _ZN7rocprim17ROCPRIM_400000_NS6detail17trampoline_kernelINS0_14default_configENS1_32segmented_reduce_config_selectorIdEEZNS1_21segmented_reduce_implIS3_PKdPdPKidN6hipcub16HIPCUB_304000_NS6detail27convert_result_type_wrapperIS8_S9_N2at6native12_GLOBAL__N_19CustomMinEEEEE10hipError_tPvRmT0_T1_jT2_SQ_T4_T3_P12ihipStream_tbEUlT_E_NS1_11comp_targetILNS1_3genE2ELNS1_11target_archE906ELNS1_3gpuE6ELNS1_3repE0EEENS1_30default_config_static_selectorELNS0_4arch9wavefront6targetE0EEEvSP_.numbered_sgpr, 0
	.set _ZN7rocprim17ROCPRIM_400000_NS6detail17trampoline_kernelINS0_14default_configENS1_32segmented_reduce_config_selectorIdEEZNS1_21segmented_reduce_implIS3_PKdPdPKidN6hipcub16HIPCUB_304000_NS6detail27convert_result_type_wrapperIS8_S9_N2at6native12_GLOBAL__N_19CustomMinEEEEE10hipError_tPvRmT0_T1_jT2_SQ_T4_T3_P12ihipStream_tbEUlT_E_NS1_11comp_targetILNS1_3genE2ELNS1_11target_archE906ELNS1_3gpuE6ELNS1_3repE0EEENS1_30default_config_static_selectorELNS0_4arch9wavefront6targetE0EEEvSP_.num_named_barrier, 0
	.set _ZN7rocprim17ROCPRIM_400000_NS6detail17trampoline_kernelINS0_14default_configENS1_32segmented_reduce_config_selectorIdEEZNS1_21segmented_reduce_implIS3_PKdPdPKidN6hipcub16HIPCUB_304000_NS6detail27convert_result_type_wrapperIS8_S9_N2at6native12_GLOBAL__N_19CustomMinEEEEE10hipError_tPvRmT0_T1_jT2_SQ_T4_T3_P12ihipStream_tbEUlT_E_NS1_11comp_targetILNS1_3genE2ELNS1_11target_archE906ELNS1_3gpuE6ELNS1_3repE0EEENS1_30default_config_static_selectorELNS0_4arch9wavefront6targetE0EEEvSP_.private_seg_size, 0
	.set _ZN7rocprim17ROCPRIM_400000_NS6detail17trampoline_kernelINS0_14default_configENS1_32segmented_reduce_config_selectorIdEEZNS1_21segmented_reduce_implIS3_PKdPdPKidN6hipcub16HIPCUB_304000_NS6detail27convert_result_type_wrapperIS8_S9_N2at6native12_GLOBAL__N_19CustomMinEEEEE10hipError_tPvRmT0_T1_jT2_SQ_T4_T3_P12ihipStream_tbEUlT_E_NS1_11comp_targetILNS1_3genE2ELNS1_11target_archE906ELNS1_3gpuE6ELNS1_3repE0EEENS1_30default_config_static_selectorELNS0_4arch9wavefront6targetE0EEEvSP_.uses_vcc, 0
	.set _ZN7rocprim17ROCPRIM_400000_NS6detail17trampoline_kernelINS0_14default_configENS1_32segmented_reduce_config_selectorIdEEZNS1_21segmented_reduce_implIS3_PKdPdPKidN6hipcub16HIPCUB_304000_NS6detail27convert_result_type_wrapperIS8_S9_N2at6native12_GLOBAL__N_19CustomMinEEEEE10hipError_tPvRmT0_T1_jT2_SQ_T4_T3_P12ihipStream_tbEUlT_E_NS1_11comp_targetILNS1_3genE2ELNS1_11target_archE906ELNS1_3gpuE6ELNS1_3repE0EEENS1_30default_config_static_selectorELNS0_4arch9wavefront6targetE0EEEvSP_.uses_flat_scratch, 0
	.set _ZN7rocprim17ROCPRIM_400000_NS6detail17trampoline_kernelINS0_14default_configENS1_32segmented_reduce_config_selectorIdEEZNS1_21segmented_reduce_implIS3_PKdPdPKidN6hipcub16HIPCUB_304000_NS6detail27convert_result_type_wrapperIS8_S9_N2at6native12_GLOBAL__N_19CustomMinEEEEE10hipError_tPvRmT0_T1_jT2_SQ_T4_T3_P12ihipStream_tbEUlT_E_NS1_11comp_targetILNS1_3genE2ELNS1_11target_archE906ELNS1_3gpuE6ELNS1_3repE0EEENS1_30default_config_static_selectorELNS0_4arch9wavefront6targetE0EEEvSP_.has_dyn_sized_stack, 0
	.set _ZN7rocprim17ROCPRIM_400000_NS6detail17trampoline_kernelINS0_14default_configENS1_32segmented_reduce_config_selectorIdEEZNS1_21segmented_reduce_implIS3_PKdPdPKidN6hipcub16HIPCUB_304000_NS6detail27convert_result_type_wrapperIS8_S9_N2at6native12_GLOBAL__N_19CustomMinEEEEE10hipError_tPvRmT0_T1_jT2_SQ_T4_T3_P12ihipStream_tbEUlT_E_NS1_11comp_targetILNS1_3genE2ELNS1_11target_archE906ELNS1_3gpuE6ELNS1_3repE0EEENS1_30default_config_static_selectorELNS0_4arch9wavefront6targetE0EEEvSP_.has_recursion, 0
	.set _ZN7rocprim17ROCPRIM_400000_NS6detail17trampoline_kernelINS0_14default_configENS1_32segmented_reduce_config_selectorIdEEZNS1_21segmented_reduce_implIS3_PKdPdPKidN6hipcub16HIPCUB_304000_NS6detail27convert_result_type_wrapperIS8_S9_N2at6native12_GLOBAL__N_19CustomMinEEEEE10hipError_tPvRmT0_T1_jT2_SQ_T4_T3_P12ihipStream_tbEUlT_E_NS1_11comp_targetILNS1_3genE2ELNS1_11target_archE906ELNS1_3gpuE6ELNS1_3repE0EEENS1_30default_config_static_selectorELNS0_4arch9wavefront6targetE0EEEvSP_.has_indirect_call, 0
	.section	.AMDGPU.csdata,"",@progbits
; Kernel info:
; codeLenInByte = 0
; TotalNumSgprs: 0
; NumVgprs: 0
; ScratchSize: 0
; MemoryBound: 0
; FloatMode: 240
; IeeeMode: 1
; LDSByteSize: 0 bytes/workgroup (compile time only)
; SGPRBlocks: 0
; VGPRBlocks: 0
; NumSGPRsForWavesPerEU: 1
; NumVGPRsForWavesPerEU: 1
; NamedBarCnt: 0
; Occupancy: 16
; WaveLimiterHint : 0
; COMPUTE_PGM_RSRC2:SCRATCH_EN: 0
; COMPUTE_PGM_RSRC2:USER_SGPR: 2
; COMPUTE_PGM_RSRC2:TRAP_HANDLER: 0
; COMPUTE_PGM_RSRC2:TGID_X_EN: 1
; COMPUTE_PGM_RSRC2:TGID_Y_EN: 0
; COMPUTE_PGM_RSRC2:TGID_Z_EN: 0
; COMPUTE_PGM_RSRC2:TIDIG_COMP_CNT: 0
	.section	.text._ZN7rocprim17ROCPRIM_400000_NS6detail17trampoline_kernelINS0_14default_configENS1_32segmented_reduce_config_selectorIdEEZNS1_21segmented_reduce_implIS3_PKdPdPKidN6hipcub16HIPCUB_304000_NS6detail27convert_result_type_wrapperIS8_S9_N2at6native12_GLOBAL__N_19CustomMinEEEEE10hipError_tPvRmT0_T1_jT2_SQ_T4_T3_P12ihipStream_tbEUlT_E_NS1_11comp_targetILNS1_3genE9ELNS1_11target_archE1100ELNS1_3gpuE3ELNS1_3repE0EEENS1_30default_config_static_selectorELNS0_4arch9wavefront6targetE0EEEvSP_,"axG",@progbits,_ZN7rocprim17ROCPRIM_400000_NS6detail17trampoline_kernelINS0_14default_configENS1_32segmented_reduce_config_selectorIdEEZNS1_21segmented_reduce_implIS3_PKdPdPKidN6hipcub16HIPCUB_304000_NS6detail27convert_result_type_wrapperIS8_S9_N2at6native12_GLOBAL__N_19CustomMinEEEEE10hipError_tPvRmT0_T1_jT2_SQ_T4_T3_P12ihipStream_tbEUlT_E_NS1_11comp_targetILNS1_3genE9ELNS1_11target_archE1100ELNS1_3gpuE3ELNS1_3repE0EEENS1_30default_config_static_selectorELNS0_4arch9wavefront6targetE0EEEvSP_,comdat
	.globl	_ZN7rocprim17ROCPRIM_400000_NS6detail17trampoline_kernelINS0_14default_configENS1_32segmented_reduce_config_selectorIdEEZNS1_21segmented_reduce_implIS3_PKdPdPKidN6hipcub16HIPCUB_304000_NS6detail27convert_result_type_wrapperIS8_S9_N2at6native12_GLOBAL__N_19CustomMinEEEEE10hipError_tPvRmT0_T1_jT2_SQ_T4_T3_P12ihipStream_tbEUlT_E_NS1_11comp_targetILNS1_3genE9ELNS1_11target_archE1100ELNS1_3gpuE3ELNS1_3repE0EEENS1_30default_config_static_selectorELNS0_4arch9wavefront6targetE0EEEvSP_ ; -- Begin function _ZN7rocprim17ROCPRIM_400000_NS6detail17trampoline_kernelINS0_14default_configENS1_32segmented_reduce_config_selectorIdEEZNS1_21segmented_reduce_implIS3_PKdPdPKidN6hipcub16HIPCUB_304000_NS6detail27convert_result_type_wrapperIS8_S9_N2at6native12_GLOBAL__N_19CustomMinEEEEE10hipError_tPvRmT0_T1_jT2_SQ_T4_T3_P12ihipStream_tbEUlT_E_NS1_11comp_targetILNS1_3genE9ELNS1_11target_archE1100ELNS1_3gpuE3ELNS1_3repE0EEENS1_30default_config_static_selectorELNS0_4arch9wavefront6targetE0EEEvSP_
	.p2align	8
	.type	_ZN7rocprim17ROCPRIM_400000_NS6detail17trampoline_kernelINS0_14default_configENS1_32segmented_reduce_config_selectorIdEEZNS1_21segmented_reduce_implIS3_PKdPdPKidN6hipcub16HIPCUB_304000_NS6detail27convert_result_type_wrapperIS8_S9_N2at6native12_GLOBAL__N_19CustomMinEEEEE10hipError_tPvRmT0_T1_jT2_SQ_T4_T3_P12ihipStream_tbEUlT_E_NS1_11comp_targetILNS1_3genE9ELNS1_11target_archE1100ELNS1_3gpuE3ELNS1_3repE0EEENS1_30default_config_static_selectorELNS0_4arch9wavefront6targetE0EEEvSP_,@function
_ZN7rocprim17ROCPRIM_400000_NS6detail17trampoline_kernelINS0_14default_configENS1_32segmented_reduce_config_selectorIdEEZNS1_21segmented_reduce_implIS3_PKdPdPKidN6hipcub16HIPCUB_304000_NS6detail27convert_result_type_wrapperIS8_S9_N2at6native12_GLOBAL__N_19CustomMinEEEEE10hipError_tPvRmT0_T1_jT2_SQ_T4_T3_P12ihipStream_tbEUlT_E_NS1_11comp_targetILNS1_3genE9ELNS1_11target_archE1100ELNS1_3gpuE3ELNS1_3repE0EEENS1_30default_config_static_selectorELNS0_4arch9wavefront6targetE0EEEvSP_: ; @_ZN7rocprim17ROCPRIM_400000_NS6detail17trampoline_kernelINS0_14default_configENS1_32segmented_reduce_config_selectorIdEEZNS1_21segmented_reduce_implIS3_PKdPdPKidN6hipcub16HIPCUB_304000_NS6detail27convert_result_type_wrapperIS8_S9_N2at6native12_GLOBAL__N_19CustomMinEEEEE10hipError_tPvRmT0_T1_jT2_SQ_T4_T3_P12ihipStream_tbEUlT_E_NS1_11comp_targetILNS1_3genE9ELNS1_11target_archE1100ELNS1_3gpuE3ELNS1_3repE0EEENS1_30default_config_static_selectorELNS0_4arch9wavefront6targetE0EEEvSP_
; %bb.0:
	.section	.rodata,"a",@progbits
	.p2align	6, 0x0
	.amdhsa_kernel _ZN7rocprim17ROCPRIM_400000_NS6detail17trampoline_kernelINS0_14default_configENS1_32segmented_reduce_config_selectorIdEEZNS1_21segmented_reduce_implIS3_PKdPdPKidN6hipcub16HIPCUB_304000_NS6detail27convert_result_type_wrapperIS8_S9_N2at6native12_GLOBAL__N_19CustomMinEEEEE10hipError_tPvRmT0_T1_jT2_SQ_T4_T3_P12ihipStream_tbEUlT_E_NS1_11comp_targetILNS1_3genE9ELNS1_11target_archE1100ELNS1_3gpuE3ELNS1_3repE0EEENS1_30default_config_static_selectorELNS0_4arch9wavefront6targetE0EEEvSP_
		.amdhsa_group_segment_fixed_size 0
		.amdhsa_private_segment_fixed_size 0
		.amdhsa_kernarg_size 56
		.amdhsa_user_sgpr_count 2
		.amdhsa_user_sgpr_dispatch_ptr 0
		.amdhsa_user_sgpr_queue_ptr 0
		.amdhsa_user_sgpr_kernarg_segment_ptr 1
		.amdhsa_user_sgpr_dispatch_id 0
		.amdhsa_user_sgpr_kernarg_preload_length 0
		.amdhsa_user_sgpr_kernarg_preload_offset 0
		.amdhsa_user_sgpr_private_segment_size 0
		.amdhsa_wavefront_size32 1
		.amdhsa_uses_dynamic_stack 0
		.amdhsa_enable_private_segment 0
		.amdhsa_system_sgpr_workgroup_id_x 1
		.amdhsa_system_sgpr_workgroup_id_y 0
		.amdhsa_system_sgpr_workgroup_id_z 0
		.amdhsa_system_sgpr_workgroup_info 0
		.amdhsa_system_vgpr_workitem_id 0
		.amdhsa_next_free_vgpr 1
		.amdhsa_next_free_sgpr 1
		.amdhsa_named_barrier_count 0
		.amdhsa_reserve_vcc 0
		.amdhsa_float_round_mode_32 0
		.amdhsa_float_round_mode_16_64 0
		.amdhsa_float_denorm_mode_32 3
		.amdhsa_float_denorm_mode_16_64 3
		.amdhsa_fp16_overflow 0
		.amdhsa_memory_ordered 1
		.amdhsa_forward_progress 1
		.amdhsa_inst_pref_size 0
		.amdhsa_round_robin_scheduling 0
		.amdhsa_exception_fp_ieee_invalid_op 0
		.amdhsa_exception_fp_denorm_src 0
		.amdhsa_exception_fp_ieee_div_zero 0
		.amdhsa_exception_fp_ieee_overflow 0
		.amdhsa_exception_fp_ieee_underflow 0
		.amdhsa_exception_fp_ieee_inexact 0
		.amdhsa_exception_int_div_zero 0
	.end_amdhsa_kernel
	.section	.text._ZN7rocprim17ROCPRIM_400000_NS6detail17trampoline_kernelINS0_14default_configENS1_32segmented_reduce_config_selectorIdEEZNS1_21segmented_reduce_implIS3_PKdPdPKidN6hipcub16HIPCUB_304000_NS6detail27convert_result_type_wrapperIS8_S9_N2at6native12_GLOBAL__N_19CustomMinEEEEE10hipError_tPvRmT0_T1_jT2_SQ_T4_T3_P12ihipStream_tbEUlT_E_NS1_11comp_targetILNS1_3genE9ELNS1_11target_archE1100ELNS1_3gpuE3ELNS1_3repE0EEENS1_30default_config_static_selectorELNS0_4arch9wavefront6targetE0EEEvSP_,"axG",@progbits,_ZN7rocprim17ROCPRIM_400000_NS6detail17trampoline_kernelINS0_14default_configENS1_32segmented_reduce_config_selectorIdEEZNS1_21segmented_reduce_implIS3_PKdPdPKidN6hipcub16HIPCUB_304000_NS6detail27convert_result_type_wrapperIS8_S9_N2at6native12_GLOBAL__N_19CustomMinEEEEE10hipError_tPvRmT0_T1_jT2_SQ_T4_T3_P12ihipStream_tbEUlT_E_NS1_11comp_targetILNS1_3genE9ELNS1_11target_archE1100ELNS1_3gpuE3ELNS1_3repE0EEENS1_30default_config_static_selectorELNS0_4arch9wavefront6targetE0EEEvSP_,comdat
.Lfunc_end32:
	.size	_ZN7rocprim17ROCPRIM_400000_NS6detail17trampoline_kernelINS0_14default_configENS1_32segmented_reduce_config_selectorIdEEZNS1_21segmented_reduce_implIS3_PKdPdPKidN6hipcub16HIPCUB_304000_NS6detail27convert_result_type_wrapperIS8_S9_N2at6native12_GLOBAL__N_19CustomMinEEEEE10hipError_tPvRmT0_T1_jT2_SQ_T4_T3_P12ihipStream_tbEUlT_E_NS1_11comp_targetILNS1_3genE9ELNS1_11target_archE1100ELNS1_3gpuE3ELNS1_3repE0EEENS1_30default_config_static_selectorELNS0_4arch9wavefront6targetE0EEEvSP_, .Lfunc_end32-_ZN7rocprim17ROCPRIM_400000_NS6detail17trampoline_kernelINS0_14default_configENS1_32segmented_reduce_config_selectorIdEEZNS1_21segmented_reduce_implIS3_PKdPdPKidN6hipcub16HIPCUB_304000_NS6detail27convert_result_type_wrapperIS8_S9_N2at6native12_GLOBAL__N_19CustomMinEEEEE10hipError_tPvRmT0_T1_jT2_SQ_T4_T3_P12ihipStream_tbEUlT_E_NS1_11comp_targetILNS1_3genE9ELNS1_11target_archE1100ELNS1_3gpuE3ELNS1_3repE0EEENS1_30default_config_static_selectorELNS0_4arch9wavefront6targetE0EEEvSP_
                                        ; -- End function
	.set _ZN7rocprim17ROCPRIM_400000_NS6detail17trampoline_kernelINS0_14default_configENS1_32segmented_reduce_config_selectorIdEEZNS1_21segmented_reduce_implIS3_PKdPdPKidN6hipcub16HIPCUB_304000_NS6detail27convert_result_type_wrapperIS8_S9_N2at6native12_GLOBAL__N_19CustomMinEEEEE10hipError_tPvRmT0_T1_jT2_SQ_T4_T3_P12ihipStream_tbEUlT_E_NS1_11comp_targetILNS1_3genE9ELNS1_11target_archE1100ELNS1_3gpuE3ELNS1_3repE0EEENS1_30default_config_static_selectorELNS0_4arch9wavefront6targetE0EEEvSP_.num_vgpr, 0
	.set _ZN7rocprim17ROCPRIM_400000_NS6detail17trampoline_kernelINS0_14default_configENS1_32segmented_reduce_config_selectorIdEEZNS1_21segmented_reduce_implIS3_PKdPdPKidN6hipcub16HIPCUB_304000_NS6detail27convert_result_type_wrapperIS8_S9_N2at6native12_GLOBAL__N_19CustomMinEEEEE10hipError_tPvRmT0_T1_jT2_SQ_T4_T3_P12ihipStream_tbEUlT_E_NS1_11comp_targetILNS1_3genE9ELNS1_11target_archE1100ELNS1_3gpuE3ELNS1_3repE0EEENS1_30default_config_static_selectorELNS0_4arch9wavefront6targetE0EEEvSP_.num_agpr, 0
	.set _ZN7rocprim17ROCPRIM_400000_NS6detail17trampoline_kernelINS0_14default_configENS1_32segmented_reduce_config_selectorIdEEZNS1_21segmented_reduce_implIS3_PKdPdPKidN6hipcub16HIPCUB_304000_NS6detail27convert_result_type_wrapperIS8_S9_N2at6native12_GLOBAL__N_19CustomMinEEEEE10hipError_tPvRmT0_T1_jT2_SQ_T4_T3_P12ihipStream_tbEUlT_E_NS1_11comp_targetILNS1_3genE9ELNS1_11target_archE1100ELNS1_3gpuE3ELNS1_3repE0EEENS1_30default_config_static_selectorELNS0_4arch9wavefront6targetE0EEEvSP_.numbered_sgpr, 0
	.set _ZN7rocprim17ROCPRIM_400000_NS6detail17trampoline_kernelINS0_14default_configENS1_32segmented_reduce_config_selectorIdEEZNS1_21segmented_reduce_implIS3_PKdPdPKidN6hipcub16HIPCUB_304000_NS6detail27convert_result_type_wrapperIS8_S9_N2at6native12_GLOBAL__N_19CustomMinEEEEE10hipError_tPvRmT0_T1_jT2_SQ_T4_T3_P12ihipStream_tbEUlT_E_NS1_11comp_targetILNS1_3genE9ELNS1_11target_archE1100ELNS1_3gpuE3ELNS1_3repE0EEENS1_30default_config_static_selectorELNS0_4arch9wavefront6targetE0EEEvSP_.num_named_barrier, 0
	.set _ZN7rocprim17ROCPRIM_400000_NS6detail17trampoline_kernelINS0_14default_configENS1_32segmented_reduce_config_selectorIdEEZNS1_21segmented_reduce_implIS3_PKdPdPKidN6hipcub16HIPCUB_304000_NS6detail27convert_result_type_wrapperIS8_S9_N2at6native12_GLOBAL__N_19CustomMinEEEEE10hipError_tPvRmT0_T1_jT2_SQ_T4_T3_P12ihipStream_tbEUlT_E_NS1_11comp_targetILNS1_3genE9ELNS1_11target_archE1100ELNS1_3gpuE3ELNS1_3repE0EEENS1_30default_config_static_selectorELNS0_4arch9wavefront6targetE0EEEvSP_.private_seg_size, 0
	.set _ZN7rocprim17ROCPRIM_400000_NS6detail17trampoline_kernelINS0_14default_configENS1_32segmented_reduce_config_selectorIdEEZNS1_21segmented_reduce_implIS3_PKdPdPKidN6hipcub16HIPCUB_304000_NS6detail27convert_result_type_wrapperIS8_S9_N2at6native12_GLOBAL__N_19CustomMinEEEEE10hipError_tPvRmT0_T1_jT2_SQ_T4_T3_P12ihipStream_tbEUlT_E_NS1_11comp_targetILNS1_3genE9ELNS1_11target_archE1100ELNS1_3gpuE3ELNS1_3repE0EEENS1_30default_config_static_selectorELNS0_4arch9wavefront6targetE0EEEvSP_.uses_vcc, 0
	.set _ZN7rocprim17ROCPRIM_400000_NS6detail17trampoline_kernelINS0_14default_configENS1_32segmented_reduce_config_selectorIdEEZNS1_21segmented_reduce_implIS3_PKdPdPKidN6hipcub16HIPCUB_304000_NS6detail27convert_result_type_wrapperIS8_S9_N2at6native12_GLOBAL__N_19CustomMinEEEEE10hipError_tPvRmT0_T1_jT2_SQ_T4_T3_P12ihipStream_tbEUlT_E_NS1_11comp_targetILNS1_3genE9ELNS1_11target_archE1100ELNS1_3gpuE3ELNS1_3repE0EEENS1_30default_config_static_selectorELNS0_4arch9wavefront6targetE0EEEvSP_.uses_flat_scratch, 0
	.set _ZN7rocprim17ROCPRIM_400000_NS6detail17trampoline_kernelINS0_14default_configENS1_32segmented_reduce_config_selectorIdEEZNS1_21segmented_reduce_implIS3_PKdPdPKidN6hipcub16HIPCUB_304000_NS6detail27convert_result_type_wrapperIS8_S9_N2at6native12_GLOBAL__N_19CustomMinEEEEE10hipError_tPvRmT0_T1_jT2_SQ_T4_T3_P12ihipStream_tbEUlT_E_NS1_11comp_targetILNS1_3genE9ELNS1_11target_archE1100ELNS1_3gpuE3ELNS1_3repE0EEENS1_30default_config_static_selectorELNS0_4arch9wavefront6targetE0EEEvSP_.has_dyn_sized_stack, 0
	.set _ZN7rocprim17ROCPRIM_400000_NS6detail17trampoline_kernelINS0_14default_configENS1_32segmented_reduce_config_selectorIdEEZNS1_21segmented_reduce_implIS3_PKdPdPKidN6hipcub16HIPCUB_304000_NS6detail27convert_result_type_wrapperIS8_S9_N2at6native12_GLOBAL__N_19CustomMinEEEEE10hipError_tPvRmT0_T1_jT2_SQ_T4_T3_P12ihipStream_tbEUlT_E_NS1_11comp_targetILNS1_3genE9ELNS1_11target_archE1100ELNS1_3gpuE3ELNS1_3repE0EEENS1_30default_config_static_selectorELNS0_4arch9wavefront6targetE0EEEvSP_.has_recursion, 0
	.set _ZN7rocprim17ROCPRIM_400000_NS6detail17trampoline_kernelINS0_14default_configENS1_32segmented_reduce_config_selectorIdEEZNS1_21segmented_reduce_implIS3_PKdPdPKidN6hipcub16HIPCUB_304000_NS6detail27convert_result_type_wrapperIS8_S9_N2at6native12_GLOBAL__N_19CustomMinEEEEE10hipError_tPvRmT0_T1_jT2_SQ_T4_T3_P12ihipStream_tbEUlT_E_NS1_11comp_targetILNS1_3genE9ELNS1_11target_archE1100ELNS1_3gpuE3ELNS1_3repE0EEENS1_30default_config_static_selectorELNS0_4arch9wavefront6targetE0EEEvSP_.has_indirect_call, 0
	.section	.AMDGPU.csdata,"",@progbits
; Kernel info:
; codeLenInByte = 0
; TotalNumSgprs: 0
; NumVgprs: 0
; ScratchSize: 0
; MemoryBound: 0
; FloatMode: 240
; IeeeMode: 1
; LDSByteSize: 0 bytes/workgroup (compile time only)
; SGPRBlocks: 0
; VGPRBlocks: 0
; NumSGPRsForWavesPerEU: 1
; NumVGPRsForWavesPerEU: 1
; NamedBarCnt: 0
; Occupancy: 16
; WaveLimiterHint : 0
; COMPUTE_PGM_RSRC2:SCRATCH_EN: 0
; COMPUTE_PGM_RSRC2:USER_SGPR: 2
; COMPUTE_PGM_RSRC2:TRAP_HANDLER: 0
; COMPUTE_PGM_RSRC2:TGID_X_EN: 1
; COMPUTE_PGM_RSRC2:TGID_Y_EN: 0
; COMPUTE_PGM_RSRC2:TGID_Z_EN: 0
; COMPUTE_PGM_RSRC2:TIDIG_COMP_CNT: 0
	.section	.text._ZN7rocprim17ROCPRIM_400000_NS6detail17trampoline_kernelINS0_14default_configENS1_32segmented_reduce_config_selectorIdEEZNS1_21segmented_reduce_implIS3_PKdPdPKidN6hipcub16HIPCUB_304000_NS6detail27convert_result_type_wrapperIS8_S9_N2at6native12_GLOBAL__N_19CustomMinEEEEE10hipError_tPvRmT0_T1_jT2_SQ_T4_T3_P12ihipStream_tbEUlT_E_NS1_11comp_targetILNS1_3genE8ELNS1_11target_archE1030ELNS1_3gpuE2ELNS1_3repE0EEENS1_30default_config_static_selectorELNS0_4arch9wavefront6targetE0EEEvSP_,"axG",@progbits,_ZN7rocprim17ROCPRIM_400000_NS6detail17trampoline_kernelINS0_14default_configENS1_32segmented_reduce_config_selectorIdEEZNS1_21segmented_reduce_implIS3_PKdPdPKidN6hipcub16HIPCUB_304000_NS6detail27convert_result_type_wrapperIS8_S9_N2at6native12_GLOBAL__N_19CustomMinEEEEE10hipError_tPvRmT0_T1_jT2_SQ_T4_T3_P12ihipStream_tbEUlT_E_NS1_11comp_targetILNS1_3genE8ELNS1_11target_archE1030ELNS1_3gpuE2ELNS1_3repE0EEENS1_30default_config_static_selectorELNS0_4arch9wavefront6targetE0EEEvSP_,comdat
	.globl	_ZN7rocprim17ROCPRIM_400000_NS6detail17trampoline_kernelINS0_14default_configENS1_32segmented_reduce_config_selectorIdEEZNS1_21segmented_reduce_implIS3_PKdPdPKidN6hipcub16HIPCUB_304000_NS6detail27convert_result_type_wrapperIS8_S9_N2at6native12_GLOBAL__N_19CustomMinEEEEE10hipError_tPvRmT0_T1_jT2_SQ_T4_T3_P12ihipStream_tbEUlT_E_NS1_11comp_targetILNS1_3genE8ELNS1_11target_archE1030ELNS1_3gpuE2ELNS1_3repE0EEENS1_30default_config_static_selectorELNS0_4arch9wavefront6targetE0EEEvSP_ ; -- Begin function _ZN7rocprim17ROCPRIM_400000_NS6detail17trampoline_kernelINS0_14default_configENS1_32segmented_reduce_config_selectorIdEEZNS1_21segmented_reduce_implIS3_PKdPdPKidN6hipcub16HIPCUB_304000_NS6detail27convert_result_type_wrapperIS8_S9_N2at6native12_GLOBAL__N_19CustomMinEEEEE10hipError_tPvRmT0_T1_jT2_SQ_T4_T3_P12ihipStream_tbEUlT_E_NS1_11comp_targetILNS1_3genE8ELNS1_11target_archE1030ELNS1_3gpuE2ELNS1_3repE0EEENS1_30default_config_static_selectorELNS0_4arch9wavefront6targetE0EEEvSP_
	.p2align	8
	.type	_ZN7rocprim17ROCPRIM_400000_NS6detail17trampoline_kernelINS0_14default_configENS1_32segmented_reduce_config_selectorIdEEZNS1_21segmented_reduce_implIS3_PKdPdPKidN6hipcub16HIPCUB_304000_NS6detail27convert_result_type_wrapperIS8_S9_N2at6native12_GLOBAL__N_19CustomMinEEEEE10hipError_tPvRmT0_T1_jT2_SQ_T4_T3_P12ihipStream_tbEUlT_E_NS1_11comp_targetILNS1_3genE8ELNS1_11target_archE1030ELNS1_3gpuE2ELNS1_3repE0EEENS1_30default_config_static_selectorELNS0_4arch9wavefront6targetE0EEEvSP_,@function
_ZN7rocprim17ROCPRIM_400000_NS6detail17trampoline_kernelINS0_14default_configENS1_32segmented_reduce_config_selectorIdEEZNS1_21segmented_reduce_implIS3_PKdPdPKidN6hipcub16HIPCUB_304000_NS6detail27convert_result_type_wrapperIS8_S9_N2at6native12_GLOBAL__N_19CustomMinEEEEE10hipError_tPvRmT0_T1_jT2_SQ_T4_T3_P12ihipStream_tbEUlT_E_NS1_11comp_targetILNS1_3genE8ELNS1_11target_archE1030ELNS1_3gpuE2ELNS1_3repE0EEENS1_30default_config_static_selectorELNS0_4arch9wavefront6targetE0EEEvSP_: ; @_ZN7rocprim17ROCPRIM_400000_NS6detail17trampoline_kernelINS0_14default_configENS1_32segmented_reduce_config_selectorIdEEZNS1_21segmented_reduce_implIS3_PKdPdPKidN6hipcub16HIPCUB_304000_NS6detail27convert_result_type_wrapperIS8_S9_N2at6native12_GLOBAL__N_19CustomMinEEEEE10hipError_tPvRmT0_T1_jT2_SQ_T4_T3_P12ihipStream_tbEUlT_E_NS1_11comp_targetILNS1_3genE8ELNS1_11target_archE1030ELNS1_3gpuE2ELNS1_3repE0EEENS1_30default_config_static_selectorELNS0_4arch9wavefront6targetE0EEEvSP_
; %bb.0:
	.section	.rodata,"a",@progbits
	.p2align	6, 0x0
	.amdhsa_kernel _ZN7rocprim17ROCPRIM_400000_NS6detail17trampoline_kernelINS0_14default_configENS1_32segmented_reduce_config_selectorIdEEZNS1_21segmented_reduce_implIS3_PKdPdPKidN6hipcub16HIPCUB_304000_NS6detail27convert_result_type_wrapperIS8_S9_N2at6native12_GLOBAL__N_19CustomMinEEEEE10hipError_tPvRmT0_T1_jT2_SQ_T4_T3_P12ihipStream_tbEUlT_E_NS1_11comp_targetILNS1_3genE8ELNS1_11target_archE1030ELNS1_3gpuE2ELNS1_3repE0EEENS1_30default_config_static_selectorELNS0_4arch9wavefront6targetE0EEEvSP_
		.amdhsa_group_segment_fixed_size 0
		.amdhsa_private_segment_fixed_size 0
		.amdhsa_kernarg_size 56
		.amdhsa_user_sgpr_count 2
		.amdhsa_user_sgpr_dispatch_ptr 0
		.amdhsa_user_sgpr_queue_ptr 0
		.amdhsa_user_sgpr_kernarg_segment_ptr 1
		.amdhsa_user_sgpr_dispatch_id 0
		.amdhsa_user_sgpr_kernarg_preload_length 0
		.amdhsa_user_sgpr_kernarg_preload_offset 0
		.amdhsa_user_sgpr_private_segment_size 0
		.amdhsa_wavefront_size32 1
		.amdhsa_uses_dynamic_stack 0
		.amdhsa_enable_private_segment 0
		.amdhsa_system_sgpr_workgroup_id_x 1
		.amdhsa_system_sgpr_workgroup_id_y 0
		.amdhsa_system_sgpr_workgroup_id_z 0
		.amdhsa_system_sgpr_workgroup_info 0
		.amdhsa_system_vgpr_workitem_id 0
		.amdhsa_next_free_vgpr 1
		.amdhsa_next_free_sgpr 1
		.amdhsa_named_barrier_count 0
		.amdhsa_reserve_vcc 0
		.amdhsa_float_round_mode_32 0
		.amdhsa_float_round_mode_16_64 0
		.amdhsa_float_denorm_mode_32 3
		.amdhsa_float_denorm_mode_16_64 3
		.amdhsa_fp16_overflow 0
		.amdhsa_memory_ordered 1
		.amdhsa_forward_progress 1
		.amdhsa_inst_pref_size 0
		.amdhsa_round_robin_scheduling 0
		.amdhsa_exception_fp_ieee_invalid_op 0
		.amdhsa_exception_fp_denorm_src 0
		.amdhsa_exception_fp_ieee_div_zero 0
		.amdhsa_exception_fp_ieee_overflow 0
		.amdhsa_exception_fp_ieee_underflow 0
		.amdhsa_exception_fp_ieee_inexact 0
		.amdhsa_exception_int_div_zero 0
	.end_amdhsa_kernel
	.section	.text._ZN7rocprim17ROCPRIM_400000_NS6detail17trampoline_kernelINS0_14default_configENS1_32segmented_reduce_config_selectorIdEEZNS1_21segmented_reduce_implIS3_PKdPdPKidN6hipcub16HIPCUB_304000_NS6detail27convert_result_type_wrapperIS8_S9_N2at6native12_GLOBAL__N_19CustomMinEEEEE10hipError_tPvRmT0_T1_jT2_SQ_T4_T3_P12ihipStream_tbEUlT_E_NS1_11comp_targetILNS1_3genE8ELNS1_11target_archE1030ELNS1_3gpuE2ELNS1_3repE0EEENS1_30default_config_static_selectorELNS0_4arch9wavefront6targetE0EEEvSP_,"axG",@progbits,_ZN7rocprim17ROCPRIM_400000_NS6detail17trampoline_kernelINS0_14default_configENS1_32segmented_reduce_config_selectorIdEEZNS1_21segmented_reduce_implIS3_PKdPdPKidN6hipcub16HIPCUB_304000_NS6detail27convert_result_type_wrapperIS8_S9_N2at6native12_GLOBAL__N_19CustomMinEEEEE10hipError_tPvRmT0_T1_jT2_SQ_T4_T3_P12ihipStream_tbEUlT_E_NS1_11comp_targetILNS1_3genE8ELNS1_11target_archE1030ELNS1_3gpuE2ELNS1_3repE0EEENS1_30default_config_static_selectorELNS0_4arch9wavefront6targetE0EEEvSP_,comdat
.Lfunc_end33:
	.size	_ZN7rocprim17ROCPRIM_400000_NS6detail17trampoline_kernelINS0_14default_configENS1_32segmented_reduce_config_selectorIdEEZNS1_21segmented_reduce_implIS3_PKdPdPKidN6hipcub16HIPCUB_304000_NS6detail27convert_result_type_wrapperIS8_S9_N2at6native12_GLOBAL__N_19CustomMinEEEEE10hipError_tPvRmT0_T1_jT2_SQ_T4_T3_P12ihipStream_tbEUlT_E_NS1_11comp_targetILNS1_3genE8ELNS1_11target_archE1030ELNS1_3gpuE2ELNS1_3repE0EEENS1_30default_config_static_selectorELNS0_4arch9wavefront6targetE0EEEvSP_, .Lfunc_end33-_ZN7rocprim17ROCPRIM_400000_NS6detail17trampoline_kernelINS0_14default_configENS1_32segmented_reduce_config_selectorIdEEZNS1_21segmented_reduce_implIS3_PKdPdPKidN6hipcub16HIPCUB_304000_NS6detail27convert_result_type_wrapperIS8_S9_N2at6native12_GLOBAL__N_19CustomMinEEEEE10hipError_tPvRmT0_T1_jT2_SQ_T4_T3_P12ihipStream_tbEUlT_E_NS1_11comp_targetILNS1_3genE8ELNS1_11target_archE1030ELNS1_3gpuE2ELNS1_3repE0EEENS1_30default_config_static_selectorELNS0_4arch9wavefront6targetE0EEEvSP_
                                        ; -- End function
	.set _ZN7rocprim17ROCPRIM_400000_NS6detail17trampoline_kernelINS0_14default_configENS1_32segmented_reduce_config_selectorIdEEZNS1_21segmented_reduce_implIS3_PKdPdPKidN6hipcub16HIPCUB_304000_NS6detail27convert_result_type_wrapperIS8_S9_N2at6native12_GLOBAL__N_19CustomMinEEEEE10hipError_tPvRmT0_T1_jT2_SQ_T4_T3_P12ihipStream_tbEUlT_E_NS1_11comp_targetILNS1_3genE8ELNS1_11target_archE1030ELNS1_3gpuE2ELNS1_3repE0EEENS1_30default_config_static_selectorELNS0_4arch9wavefront6targetE0EEEvSP_.num_vgpr, 0
	.set _ZN7rocprim17ROCPRIM_400000_NS6detail17trampoline_kernelINS0_14default_configENS1_32segmented_reduce_config_selectorIdEEZNS1_21segmented_reduce_implIS3_PKdPdPKidN6hipcub16HIPCUB_304000_NS6detail27convert_result_type_wrapperIS8_S9_N2at6native12_GLOBAL__N_19CustomMinEEEEE10hipError_tPvRmT0_T1_jT2_SQ_T4_T3_P12ihipStream_tbEUlT_E_NS1_11comp_targetILNS1_3genE8ELNS1_11target_archE1030ELNS1_3gpuE2ELNS1_3repE0EEENS1_30default_config_static_selectorELNS0_4arch9wavefront6targetE0EEEvSP_.num_agpr, 0
	.set _ZN7rocprim17ROCPRIM_400000_NS6detail17trampoline_kernelINS0_14default_configENS1_32segmented_reduce_config_selectorIdEEZNS1_21segmented_reduce_implIS3_PKdPdPKidN6hipcub16HIPCUB_304000_NS6detail27convert_result_type_wrapperIS8_S9_N2at6native12_GLOBAL__N_19CustomMinEEEEE10hipError_tPvRmT0_T1_jT2_SQ_T4_T3_P12ihipStream_tbEUlT_E_NS1_11comp_targetILNS1_3genE8ELNS1_11target_archE1030ELNS1_3gpuE2ELNS1_3repE0EEENS1_30default_config_static_selectorELNS0_4arch9wavefront6targetE0EEEvSP_.numbered_sgpr, 0
	.set _ZN7rocprim17ROCPRIM_400000_NS6detail17trampoline_kernelINS0_14default_configENS1_32segmented_reduce_config_selectorIdEEZNS1_21segmented_reduce_implIS3_PKdPdPKidN6hipcub16HIPCUB_304000_NS6detail27convert_result_type_wrapperIS8_S9_N2at6native12_GLOBAL__N_19CustomMinEEEEE10hipError_tPvRmT0_T1_jT2_SQ_T4_T3_P12ihipStream_tbEUlT_E_NS1_11comp_targetILNS1_3genE8ELNS1_11target_archE1030ELNS1_3gpuE2ELNS1_3repE0EEENS1_30default_config_static_selectorELNS0_4arch9wavefront6targetE0EEEvSP_.num_named_barrier, 0
	.set _ZN7rocprim17ROCPRIM_400000_NS6detail17trampoline_kernelINS0_14default_configENS1_32segmented_reduce_config_selectorIdEEZNS1_21segmented_reduce_implIS3_PKdPdPKidN6hipcub16HIPCUB_304000_NS6detail27convert_result_type_wrapperIS8_S9_N2at6native12_GLOBAL__N_19CustomMinEEEEE10hipError_tPvRmT0_T1_jT2_SQ_T4_T3_P12ihipStream_tbEUlT_E_NS1_11comp_targetILNS1_3genE8ELNS1_11target_archE1030ELNS1_3gpuE2ELNS1_3repE0EEENS1_30default_config_static_selectorELNS0_4arch9wavefront6targetE0EEEvSP_.private_seg_size, 0
	.set _ZN7rocprim17ROCPRIM_400000_NS6detail17trampoline_kernelINS0_14default_configENS1_32segmented_reduce_config_selectorIdEEZNS1_21segmented_reduce_implIS3_PKdPdPKidN6hipcub16HIPCUB_304000_NS6detail27convert_result_type_wrapperIS8_S9_N2at6native12_GLOBAL__N_19CustomMinEEEEE10hipError_tPvRmT0_T1_jT2_SQ_T4_T3_P12ihipStream_tbEUlT_E_NS1_11comp_targetILNS1_3genE8ELNS1_11target_archE1030ELNS1_3gpuE2ELNS1_3repE0EEENS1_30default_config_static_selectorELNS0_4arch9wavefront6targetE0EEEvSP_.uses_vcc, 0
	.set _ZN7rocprim17ROCPRIM_400000_NS6detail17trampoline_kernelINS0_14default_configENS1_32segmented_reduce_config_selectorIdEEZNS1_21segmented_reduce_implIS3_PKdPdPKidN6hipcub16HIPCUB_304000_NS6detail27convert_result_type_wrapperIS8_S9_N2at6native12_GLOBAL__N_19CustomMinEEEEE10hipError_tPvRmT0_T1_jT2_SQ_T4_T3_P12ihipStream_tbEUlT_E_NS1_11comp_targetILNS1_3genE8ELNS1_11target_archE1030ELNS1_3gpuE2ELNS1_3repE0EEENS1_30default_config_static_selectorELNS0_4arch9wavefront6targetE0EEEvSP_.uses_flat_scratch, 0
	.set _ZN7rocprim17ROCPRIM_400000_NS6detail17trampoline_kernelINS0_14default_configENS1_32segmented_reduce_config_selectorIdEEZNS1_21segmented_reduce_implIS3_PKdPdPKidN6hipcub16HIPCUB_304000_NS6detail27convert_result_type_wrapperIS8_S9_N2at6native12_GLOBAL__N_19CustomMinEEEEE10hipError_tPvRmT0_T1_jT2_SQ_T4_T3_P12ihipStream_tbEUlT_E_NS1_11comp_targetILNS1_3genE8ELNS1_11target_archE1030ELNS1_3gpuE2ELNS1_3repE0EEENS1_30default_config_static_selectorELNS0_4arch9wavefront6targetE0EEEvSP_.has_dyn_sized_stack, 0
	.set _ZN7rocprim17ROCPRIM_400000_NS6detail17trampoline_kernelINS0_14default_configENS1_32segmented_reduce_config_selectorIdEEZNS1_21segmented_reduce_implIS3_PKdPdPKidN6hipcub16HIPCUB_304000_NS6detail27convert_result_type_wrapperIS8_S9_N2at6native12_GLOBAL__N_19CustomMinEEEEE10hipError_tPvRmT0_T1_jT2_SQ_T4_T3_P12ihipStream_tbEUlT_E_NS1_11comp_targetILNS1_3genE8ELNS1_11target_archE1030ELNS1_3gpuE2ELNS1_3repE0EEENS1_30default_config_static_selectorELNS0_4arch9wavefront6targetE0EEEvSP_.has_recursion, 0
	.set _ZN7rocprim17ROCPRIM_400000_NS6detail17trampoline_kernelINS0_14default_configENS1_32segmented_reduce_config_selectorIdEEZNS1_21segmented_reduce_implIS3_PKdPdPKidN6hipcub16HIPCUB_304000_NS6detail27convert_result_type_wrapperIS8_S9_N2at6native12_GLOBAL__N_19CustomMinEEEEE10hipError_tPvRmT0_T1_jT2_SQ_T4_T3_P12ihipStream_tbEUlT_E_NS1_11comp_targetILNS1_3genE8ELNS1_11target_archE1030ELNS1_3gpuE2ELNS1_3repE0EEENS1_30default_config_static_selectorELNS0_4arch9wavefront6targetE0EEEvSP_.has_indirect_call, 0
	.section	.AMDGPU.csdata,"",@progbits
; Kernel info:
; codeLenInByte = 0
; TotalNumSgprs: 0
; NumVgprs: 0
; ScratchSize: 0
; MemoryBound: 0
; FloatMode: 240
; IeeeMode: 1
; LDSByteSize: 0 bytes/workgroup (compile time only)
; SGPRBlocks: 0
; VGPRBlocks: 0
; NumSGPRsForWavesPerEU: 1
; NumVGPRsForWavesPerEU: 1
; NamedBarCnt: 0
; Occupancy: 16
; WaveLimiterHint : 0
; COMPUTE_PGM_RSRC2:SCRATCH_EN: 0
; COMPUTE_PGM_RSRC2:USER_SGPR: 2
; COMPUTE_PGM_RSRC2:TRAP_HANDLER: 0
; COMPUTE_PGM_RSRC2:TGID_X_EN: 1
; COMPUTE_PGM_RSRC2:TGID_Y_EN: 0
; COMPUTE_PGM_RSRC2:TGID_Z_EN: 0
; COMPUTE_PGM_RSRC2:TIDIG_COMP_CNT: 0
	.section	.text._ZN7rocprim17ROCPRIM_400000_NS6detail17trampoline_kernelINS0_14default_configENS1_32segmented_reduce_config_selectorIdEEZNS1_21segmented_reduce_implIS3_PKdPdPKidN6hipcub16HIPCUB_304000_NS6detail27convert_result_type_wrapperIS8_S9_N2at6native12_GLOBAL__N_110CustomProdEEEEE10hipError_tPvRmT0_T1_jT2_SQ_T4_T3_P12ihipStream_tbEUlT_E_NS1_11comp_targetILNS1_3genE0ELNS1_11target_archE4294967295ELNS1_3gpuE0ELNS1_3repE0EEENS1_30default_config_static_selectorELNS0_4arch9wavefront6targetE0EEEvSP_,"axG",@progbits,_ZN7rocprim17ROCPRIM_400000_NS6detail17trampoline_kernelINS0_14default_configENS1_32segmented_reduce_config_selectorIdEEZNS1_21segmented_reduce_implIS3_PKdPdPKidN6hipcub16HIPCUB_304000_NS6detail27convert_result_type_wrapperIS8_S9_N2at6native12_GLOBAL__N_110CustomProdEEEEE10hipError_tPvRmT0_T1_jT2_SQ_T4_T3_P12ihipStream_tbEUlT_E_NS1_11comp_targetILNS1_3genE0ELNS1_11target_archE4294967295ELNS1_3gpuE0ELNS1_3repE0EEENS1_30default_config_static_selectorELNS0_4arch9wavefront6targetE0EEEvSP_,comdat
	.globl	_ZN7rocprim17ROCPRIM_400000_NS6detail17trampoline_kernelINS0_14default_configENS1_32segmented_reduce_config_selectorIdEEZNS1_21segmented_reduce_implIS3_PKdPdPKidN6hipcub16HIPCUB_304000_NS6detail27convert_result_type_wrapperIS8_S9_N2at6native12_GLOBAL__N_110CustomProdEEEEE10hipError_tPvRmT0_T1_jT2_SQ_T4_T3_P12ihipStream_tbEUlT_E_NS1_11comp_targetILNS1_3genE0ELNS1_11target_archE4294967295ELNS1_3gpuE0ELNS1_3repE0EEENS1_30default_config_static_selectorELNS0_4arch9wavefront6targetE0EEEvSP_ ; -- Begin function _ZN7rocprim17ROCPRIM_400000_NS6detail17trampoline_kernelINS0_14default_configENS1_32segmented_reduce_config_selectorIdEEZNS1_21segmented_reduce_implIS3_PKdPdPKidN6hipcub16HIPCUB_304000_NS6detail27convert_result_type_wrapperIS8_S9_N2at6native12_GLOBAL__N_110CustomProdEEEEE10hipError_tPvRmT0_T1_jT2_SQ_T4_T3_P12ihipStream_tbEUlT_E_NS1_11comp_targetILNS1_3genE0ELNS1_11target_archE4294967295ELNS1_3gpuE0ELNS1_3repE0EEENS1_30default_config_static_selectorELNS0_4arch9wavefront6targetE0EEEvSP_
	.p2align	8
	.type	_ZN7rocprim17ROCPRIM_400000_NS6detail17trampoline_kernelINS0_14default_configENS1_32segmented_reduce_config_selectorIdEEZNS1_21segmented_reduce_implIS3_PKdPdPKidN6hipcub16HIPCUB_304000_NS6detail27convert_result_type_wrapperIS8_S9_N2at6native12_GLOBAL__N_110CustomProdEEEEE10hipError_tPvRmT0_T1_jT2_SQ_T4_T3_P12ihipStream_tbEUlT_E_NS1_11comp_targetILNS1_3genE0ELNS1_11target_archE4294967295ELNS1_3gpuE0ELNS1_3repE0EEENS1_30default_config_static_selectorELNS0_4arch9wavefront6targetE0EEEvSP_,@function
_ZN7rocprim17ROCPRIM_400000_NS6detail17trampoline_kernelINS0_14default_configENS1_32segmented_reduce_config_selectorIdEEZNS1_21segmented_reduce_implIS3_PKdPdPKidN6hipcub16HIPCUB_304000_NS6detail27convert_result_type_wrapperIS8_S9_N2at6native12_GLOBAL__N_110CustomProdEEEEE10hipError_tPvRmT0_T1_jT2_SQ_T4_T3_P12ihipStream_tbEUlT_E_NS1_11comp_targetILNS1_3genE0ELNS1_11target_archE4294967295ELNS1_3gpuE0ELNS1_3repE0EEENS1_30default_config_static_selectorELNS0_4arch9wavefront6targetE0EEEvSP_: ; @_ZN7rocprim17ROCPRIM_400000_NS6detail17trampoline_kernelINS0_14default_configENS1_32segmented_reduce_config_selectorIdEEZNS1_21segmented_reduce_implIS3_PKdPdPKidN6hipcub16HIPCUB_304000_NS6detail27convert_result_type_wrapperIS8_S9_N2at6native12_GLOBAL__N_110CustomProdEEEEE10hipError_tPvRmT0_T1_jT2_SQ_T4_T3_P12ihipStream_tbEUlT_E_NS1_11comp_targetILNS1_3genE0ELNS1_11target_archE4294967295ELNS1_3gpuE0ELNS1_3repE0EEENS1_30default_config_static_selectorELNS0_4arch9wavefront6targetE0EEEvSP_
; %bb.0:
	s_clause 0x1
	s_load_b256 s[8:15], s[0:1], 0x0
	s_load_b64 s[2:3], s[0:1], 0x20
	s_bfe_u32 s4, ttmp6, 0x4000c
	s_and_b32 s5, ttmp6, 15
	s_add_co_i32 s4, s4, 1
	s_getreg_b32 s6, hwreg(HW_REG_IB_STS2, 6, 4)
	s_mul_i32 s4, ttmp9, s4
	s_load_b64 s[16:17], s[0:1], 0x30
	s_add_co_i32 s7, s5, s4
	v_cmp_eq_u32_e32 vcc_lo, 0, v0
	s_wait_kmcnt 0x0
	s_lshl_b64 s[0:1], s[12:13], 2
	s_cmp_eq_u32 s6, 0
	s_add_nc_u64 s[4:5], s[14:15], s[0:1]
	s_cselect_b32 s14, ttmp9, s7
	s_add_nc_u64 s[0:1], s[2:3], s[0:1]
	s_load_b32 s18, s[4:5], s14 offset:0x0 scale_offset
	s_load_b32 s22, s[0:1], s14 offset:0x0 scale_offset
	s_mov_b32 s15, 0
	s_wait_xcnt 0x0
	s_mov_b32 s0, -1
	s_mov_b32 s7, 0
	s_wait_kmcnt 0x0
	s_cmp_gt_i32 s22, s18
	s_cbranch_scc1 .LBB34_2
; %bb.1:
	s_mov_b32 s0, 0
	s_and_b32 s7, vcc_lo, exec_lo
.LBB34_2:
	s_and_not1_b32 vcc_lo, exec_lo, s0
	s_cbranch_vccnz .LBB34_28
; %bb.3:
	s_add_co_i32 s0, s18, 0x800
	s_delay_alu instid0(SALU_CYCLE_1)
	s_cmp_le_i32 s0, s22
	s_cbranch_scc0 .LBB34_29
; %bb.4:
	s_ashr_i32 s19, s18, 31
	s_add_co_i32 s1, s18, 0x1000
	s_lshl_b64 s[2:3], s[18:19], 3
	s_cmp_ge_i32 s1, s22
	s_add_nc_u64 s[2:3], s[8:9], s[2:3]
	s_clause 0x7
	global_load_b64 v[16:17], v0, s[2:3] scale_offset
	global_load_b64 v[14:15], v0, s[2:3] offset:2048 scale_offset
	global_load_b64 v[12:13], v0, s[2:3] offset:4096 scale_offset
	global_load_b64 v[10:11], v0, s[2:3] offset:6144 scale_offset
	global_load_b64 v[8:9], v0, s[2:3] offset:8192 scale_offset
	global_load_b64 v[6:7], v0, s[2:3] offset:10240 scale_offset
	global_load_b64 v[4:5], v0, s[2:3] offset:12288 scale_offset
	global_load_b64 v[2:3], v0, s[2:3] offset:14336 scale_offset
	s_wait_loadcnt 0x6
	v_dual_mul_f64 v[18:19], v[16:17], v[14:15] :: v_dual_mov_b32 v21, 0
	s_wait_loadcnt 0x5
	s_delay_alu instid0(VALU_DEP_1) | instskip(SKIP_1) | instid1(VALU_DEP_1)
	v_mul_f64_e32 v[18:19], v[18:19], v[12:13]
	s_wait_loadcnt 0x4
	v_mul_f64_e32 v[18:19], v[18:19], v[10:11]
	s_wait_loadcnt 0x3
	s_delay_alu instid0(VALU_DEP_1) | instskip(SKIP_1) | instid1(VALU_DEP_1)
	v_mul_f64_e32 v[18:19], v[18:19], v[8:9]
	s_wait_loadcnt 0x2
	v_mul_f64_e32 v[18:19], v[18:19], v[6:7]
	;; [unrolled: 5-line block ×3, first 2 shown]
	s_cbranch_scc1 .LBB34_7
; %bb.5:
	v_lshlrev_b32_e32 v20, 3, v0
	s_delay_alu instid0(VALU_DEP_1)
	v_add_nc_u64_e32 v[20:21], s[8:9], v[20:21]
.LBB34_6:                               ; =>This Inner Loop Header: Depth=1
	s_ashr_i32 s1, s0, 31
	s_delay_alu instid0(VALU_DEP_1) | instid1(SALU_CYCLE_1)
	v_lshl_add_u64 v[22:23], s[0:1], 3, v[20:21]
	s_add_co_i32 s1, s0, 0x1000
	s_addk_co_i32 s0, 0x800
	s_cmp_lt_i32 s1, s22
	s_clause 0x7
	global_load_b64 v[16:17], v[22:23], off
	global_load_b64 v[14:15], v[22:23], off offset:2048
	global_load_b64 v[12:13], v[22:23], off offset:4096
	;; [unrolled: 1-line block ×7, first 2 shown]
	s_wait_loadcnt 0x7
	v_mul_f64_e32 v[18:19], v[18:19], v[16:17]
	s_wait_loadcnt 0x6
	s_delay_alu instid0(VALU_DEP_1) | instskip(SKIP_1) | instid1(VALU_DEP_1)
	v_mul_f64_e32 v[18:19], v[18:19], v[14:15]
	s_wait_loadcnt 0x5
	v_mul_f64_e32 v[18:19], v[18:19], v[12:13]
	s_wait_loadcnt 0x4
	s_delay_alu instid0(VALU_DEP_1) | instskip(SKIP_1) | instid1(VALU_DEP_1)
	v_mul_f64_e32 v[18:19], v[18:19], v[10:11]
	;; [unrolled: 5-line block ×3, first 2 shown]
	s_wait_loadcnt 0x1
	v_mul_f64_e32 v[18:19], v[18:19], v[4:5]
	s_wait_loadcnt 0x0
	s_delay_alu instid0(VALU_DEP_1)
	v_mul_f64_e32 v[18:19], v[18:19], v[2:3]
	s_cbranch_scc1 .LBB34_6
.LBB34_7:
	s_sub_co_i32 s6, s22, s0
	s_ashr_i32 s1, s0, 31
	v_cmp_gt_u32_e32 vcc_lo, s6, v0
	s_lshl_b64 s[0:1], s[0:1], 3
	s_delay_alu instid0(SALU_CYCLE_1)
	s_add_nc_u64 s[20:21], s[8:9], s[0:1]
	s_and_saveexec_b32 s0, vcc_lo
	s_cbranch_execz .LBB34_9
; %bb.8:
	global_load_b64 v[16:17], v0, s[20:21] scale_offset
.LBB34_9:
	s_wait_xcnt 0x0
	s_or_b32 exec_lo, exec_lo, s0
	v_or_b32_e32 v1, 0x100, v0
	s_delay_alu instid0(VALU_DEP_1)
	v_cmp_gt_u32_e64 s0, s6, v1
	s_and_saveexec_b32 s1, s0
	s_cbranch_execz .LBB34_11
; %bb.10:
	global_load_b64 v[14:15], v0, s[20:21] offset:2048 scale_offset
.LBB34_11:
	s_wait_xcnt 0x0
	s_or_b32 exec_lo, exec_lo, s1
	v_or_b32_e32 v1, 0x200, v0
	s_delay_alu instid0(VALU_DEP_1)
	v_cmp_gt_u32_e64 s1, s6, v1
	s_and_saveexec_b32 s2, s1
	s_cbranch_execz .LBB34_13
; %bb.12:
	global_load_b64 v[12:13], v0, s[20:21] offset:4096 scale_offset
.LBB34_13:
	;; [unrolled: 10-line block ×7, first 2 shown]
	s_wait_xcnt 0x0
	s_or_b32 exec_lo, exec_lo, s19
	s_wait_loadcnt 0x0
	v_dual_mul_f64 v[16:17], v[18:19], v[16:17] :: v_dual_mov_b32 v1, 0
	s_delay_alu instid0(VALU_DEP_1) | instskip(NEXT) | instid1(VALU_DEP_1)
	v_dual_cndmask_b32 v17, v19, v17 :: v_dual_cndmask_b32 v16, v18, v16
	v_mul_f64_e32 v[14:15], v[14:15], v[16:17]
	s_delay_alu instid0(VALU_DEP_1) | instskip(SKIP_1) | instid1(VALU_DEP_1)
	v_dual_cndmask_b32 v15, v17, v15, s0 :: v_dual_cndmask_b32 v14, v16, v14, s0
	s_mov_b32 s0, exec_lo
	v_mul_f64_e32 v[12:13], v[12:13], v[14:15]
	s_delay_alu instid0(VALU_DEP_1) | instskip(NEXT) | instid1(VALU_DEP_1)
	v_dual_cndmask_b32 v13, v15, v13, s1 :: v_dual_cndmask_b32 v12, v14, v12, s1
	v_mul_f64_e32 v[10:11], v[10:11], v[12:13]
	s_delay_alu instid0(VALU_DEP_1) | instskip(NEXT) | instid1(VALU_DEP_1)
	v_dual_cndmask_b32 v11, v13, v11, s2 :: v_dual_cndmask_b32 v10, v12, v10, s2
	;; [unrolled: 3-line block ×6, first 2 shown]
	v_mov_b32_dpp v5, v3 quad_perm:[1,0,3,2] row_mask:0xf bank_mask:0xf
	s_delay_alu instid0(VALU_DEP_2) | instskip(NEXT) | instid1(VALU_DEP_1)
	v_mov_b32_dpp v4, v2 quad_perm:[1,0,3,2] row_mask:0xf bank_mask:0xf
	v_mul_f64_e32 v[2:3], v[2:3], v[4:5]
	s_delay_alu instid0(VALU_DEP_1) | instskip(NEXT) | instid1(VALU_DEP_2)
	v_mov_b32_dpp v4, v2 quad_perm:[2,3,0,1] row_mask:0xf bank_mask:0xf
	v_mov_b32_dpp v5, v3 quad_perm:[2,3,0,1] row_mask:0xf bank_mask:0xf
	s_delay_alu instid0(VALU_DEP_1) | instskip(NEXT) | instid1(VALU_DEP_1)
	v_mul_f64_e32 v[2:3], v[2:3], v[4:5]
	v_mov_b32_dpp v4, v2 row_ror:4 row_mask:0xf bank_mask:0xf
	s_delay_alu instid0(VALU_DEP_2) | instskip(NEXT) | instid1(VALU_DEP_1)
	v_mov_b32_dpp v5, v3 row_ror:4 row_mask:0xf bank_mask:0xf
	v_mul_f64_e32 v[2:3], v[2:3], v[4:5]
	s_delay_alu instid0(VALU_DEP_1) | instskip(NEXT) | instid1(VALU_DEP_2)
	v_mov_b32_dpp v4, v2 row_ror:8 row_mask:0xf bank_mask:0xf
	v_mov_b32_dpp v5, v3 row_ror:8 row_mask:0xf bank_mask:0xf
	s_delay_alu instid0(VALU_DEP_1)
	v_mul_f64_e32 v[2:3], v[2:3], v[4:5]
	ds_swizzle_b32 v4, v2 offset:swizzle(BROADCAST,32,15)
	ds_swizzle_b32 v5, v3 offset:swizzle(BROADCAST,32,15)
	s_wait_dscnt 0x0
	v_mul_f64_e32 v[2:3], v[2:3], v[4:5]
	ds_bpermute_b32 v2, v1, v2 offset:124
	ds_bpermute_b32 v3, v1, v3 offset:124
	v_mbcnt_lo_u32_b32 v1, -1, 0
	s_delay_alu instid0(VALU_DEP_1)
	v_cmpx_eq_u32_e32 0, v1
	s_cbranch_execz .LBB34_25
; %bb.24:
	v_lshrrev_b32_e32 v4, 2, v0
	s_delay_alu instid0(VALU_DEP_1)
	v_and_b32_e32 v4, 56, v4
	s_wait_dscnt 0x0
	ds_store_b64 v4, v[2:3]
.LBB34_25:
	s_or_b32 exec_lo, exec_lo, s0
	s_delay_alu instid0(SALU_CYCLE_1)
	s_mov_b32 s0, exec_lo
	s_wait_dscnt 0x0
	s_barrier_signal -1
	s_barrier_wait -1
	v_cmpx_gt_u32_e32 32, v0
	s_cbranch_execz .LBB34_27
; %bb.26:
	v_and_b32_e32 v6, 7, v1
	s_delay_alu instid0(VALU_DEP_1) | instskip(SKIP_1) | instid1(VALU_DEP_1)
	v_cmp_ne_u32_e32 vcc_lo, 7, v6
	v_add_co_ci_u32_e64 v4, null, 0, v1, vcc_lo
	v_dual_lshlrev_b32 v5, 2, v4 :: v_dual_lshlrev_b32 v2, 3, v6
	v_cmp_gt_u32_e32 vcc_lo, 6, v6
	ds_load_b64 v[2:3], v2
	s_wait_dscnt 0x0
	ds_bpermute_b32 v4, v5, v2
	ds_bpermute_b32 v5, v5, v3
	s_wait_dscnt 0x0
	v_mul_f64_e32 v[2:3], v[2:3], v[4:5]
	v_cndmask_b32_e64 v4, 0, 2, vcc_lo
	s_delay_alu instid0(VALU_DEP_1) | instskip(SKIP_1) | instid1(VALU_DEP_1)
	v_add_lshl_u32 v5, v4, v1, 2
	v_lshlrev_b32_e32 v1, 2, v1
	v_or_b32_e32 v1, 16, v1
	ds_bpermute_b32 v4, v5, v2
	ds_bpermute_b32 v5, v5, v3
	s_wait_dscnt 0x0
	v_mul_f64_e32 v[2:3], v[2:3], v[4:5]
	ds_bpermute_b32 v4, v1, v2
	ds_bpermute_b32 v5, v1, v3
	s_wait_dscnt 0x0
	v_mul_f64_e32 v[2:3], v[2:3], v[4:5]
.LBB34_27:
	s_or_b32 exec_lo, exec_lo, s0
	s_branch .LBB34_64
.LBB34_28:
	v_mov_b64_e32 v[4:5], s[16:17]
	s_and_saveexec_b32 s0, s7
	s_cbranch_execnz .LBB34_67
	s_branch .LBB34_68
.LBB34_29:
                                        ; implicit-def: $vgpr2_vgpr3
	s_cbranch_execz .LBB34_64
; %bb.30:
	s_sub_co_i32 s0, s22, s18
	s_mov_b32 s1, exec_lo
                                        ; implicit-def: $vgpr4_vgpr5
	v_cmpx_gt_u32_e64 s0, v0
	s_cbranch_execz .LBB34_36
; %bb.31:
	v_add_nc_u32_e32 v1, s18, v0
	s_mov_b32 s2, exec_lo
	global_load_b64 v[4:5], v1, s[8:9] scale_offset
	s_wait_xcnt 0x0
	v_add_nc_u32_e32 v1, 0x100, v1
	s_delay_alu instid0(VALU_DEP_1)
	v_cmpx_gt_i32_e64 s22, v1
	s_cbranch_execz .LBB34_35
; %bb.32:
	s_mov_b32 s3, 0
.LBB34_33:                              ; =>This Inner Loop Header: Depth=1
	global_load_b64 v[2:3], v1, s[8:9] scale_offset
	s_wait_xcnt 0x0
	v_add_nc_u32_e32 v1, 0x100, v1
	s_delay_alu instid0(VALU_DEP_1)
	v_cmp_le_i32_e32 vcc_lo, s22, v1
	s_or_b32 s3, vcc_lo, s3
	s_wait_loadcnt 0x0
	v_mul_f64_e32 v[4:5], v[4:5], v[2:3]
	s_and_not1_b32 exec_lo, exec_lo, s3
	s_cbranch_execnz .LBB34_33
; %bb.34:
	s_or_b32 exec_lo, exec_lo, s3
.LBB34_35:
	s_delay_alu instid0(SALU_CYCLE_1)
	s_or_b32 exec_lo, exec_lo, s2
.LBB34_36:
	s_delay_alu instid0(SALU_CYCLE_1)
	s_or_b32 exec_lo, exec_lo, s1
	v_mbcnt_lo_u32_b32 v1, -1, 0
	s_cmp_lt_u32 s0, 0x100
	s_cbranch_scc0 .LBB34_58
; %bb.37:
	s_delay_alu instid0(VALU_DEP_1) | instskip(SKIP_1) | instid1(VALU_DEP_3)
	v_cmp_ne_u32_e32 vcc_lo, 31, v1
	s_wait_loadcnt 0x0
	v_dual_mov_b32 v10, v5 :: v_dual_mov_b32 v11, v4
	v_add_co_ci_u32_e64 v2, null, 0, v1, vcc_lo
	s_delay_alu instid0(VALU_DEP_1) | instskip(SKIP_3) | instid1(VALU_DEP_1)
	v_lshlrev_b32_e32 v2, 2, v2
	ds_bpermute_b32 v6, v2, v4
	ds_bpermute_b32 v7, v2, v5
	v_and_b32_e32 v2, 0xe0, v0
	v_sub_nc_u32_e64 v8, s0, v2 clamp
	v_add_nc_u32_e32 v2, 1, v1
	s_delay_alu instid0(VALU_DEP_1)
	v_cmp_lt_u32_e32 vcc_lo, v2, v8
	v_mov_b64_e32 v[2:3], v[4:5]
	s_and_saveexec_b32 s1, vcc_lo
	s_cbranch_execz .LBB34_39
; %bb.38:
	s_wait_dscnt 0x0
	v_mul_f64_e32 v[2:3], v[4:5], v[6:7]
	s_delay_alu instid0(VALU_DEP_1)
	v_dual_mov_b32 v10, v3 :: v_dual_mov_b32 v11, v2
.LBB34_39:
	s_or_b32 exec_lo, exec_lo, s1
	v_cmp_gt_u32_e32 vcc_lo, 30, v1
	v_add_nc_u32_e32 v9, 2, v1
	s_mov_b32 s1, exec_lo
	s_wait_dscnt 0x1
	v_cndmask_b32_e64 v6, 0, 2, vcc_lo
	s_wait_dscnt 0x0
	s_delay_alu instid0(VALU_DEP_1)
	v_add_lshl_u32 v7, v6, v1, 2
	ds_bpermute_b32 v6, v7, v11
	ds_bpermute_b32 v7, v7, v10
	v_cmpx_lt_u32_e64 v9, v8
	s_cbranch_execz .LBB34_41
; %bb.40:
	s_wait_dscnt 0x0
	v_mul_f64_e32 v[2:3], v[2:3], v[6:7]
	s_delay_alu instid0(VALU_DEP_1)
	v_dual_mov_b32 v10, v3 :: v_dual_mov_b32 v11, v2
.LBB34_41:
	s_or_b32 exec_lo, exec_lo, s1
	v_cmp_gt_u32_e32 vcc_lo, 28, v1
	v_add_nc_u32_e32 v9, 4, v1
	s_mov_b32 s1, exec_lo
	s_wait_dscnt 0x1
	v_cndmask_b32_e64 v6, 0, 4, vcc_lo
	s_wait_dscnt 0x0
	s_delay_alu instid0(VALU_DEP_1)
	v_add_lshl_u32 v7, v6, v1, 2
	ds_bpermute_b32 v6, v7, v11
	ds_bpermute_b32 v7, v7, v10
	v_cmpx_lt_u32_e64 v9, v8
	;; [unrolled: 19-line block ×3, first 2 shown]
	s_cbranch_execz .LBB34_45
; %bb.44:
	s_wait_dscnt 0x0
	v_mul_f64_e32 v[2:3], v[2:3], v[6:7]
	s_delay_alu instid0(VALU_DEP_1)
	v_dual_mov_b32 v10, v3 :: v_dual_mov_b32 v11, v2
.LBB34_45:
	s_or_b32 exec_lo, exec_lo, s1
	v_lshlrev_b32_e32 v9, 2, v1
	s_mov_b32 s1, exec_lo
	s_wait_dscnt 0x0
	s_delay_alu instid0(VALU_DEP_1) | instskip(SKIP_3) | instid1(VALU_DEP_1)
	v_or_b32_e32 v7, 64, v9
	ds_bpermute_b32 v6, v7, v11
	ds_bpermute_b32 v7, v7, v10
	v_add_nc_u32_e32 v10, 16, v1
	v_cmpx_lt_u32_e64 v10, v8
	s_cbranch_execz .LBB34_47
; %bb.46:
	s_wait_dscnt 0x0
	v_mul_f64_e32 v[2:3], v[2:3], v[6:7]
.LBB34_47:
	s_or_b32 exec_lo, exec_lo, s1
	s_delay_alu instid0(SALU_CYCLE_1)
	s_mov_b32 s1, exec_lo
	v_cmpx_eq_u32_e32 0, v1
	s_cbranch_execz .LBB34_49
; %bb.48:
	s_wait_dscnt 0x1
	v_lshrrev_b32_e32 v6, 2, v0
	s_delay_alu instid0(VALU_DEP_1)
	v_and_b32_e32 v6, 56, v6
	ds_store_b64 v6, v[2:3]
.LBB34_49:
	s_or_b32 exec_lo, exec_lo, s1
	s_delay_alu instid0(SALU_CYCLE_1)
	s_mov_b32 s1, exec_lo
	s_wait_dscnt 0x0
	s_barrier_signal -1
	s_barrier_wait -1
	v_cmpx_gt_u32_e32 8, v0
	s_cbranch_execz .LBB34_57
; %bb.50:
	v_dual_lshlrev_b32 v2, 3, v1 :: v_dual_bitop2_b32 v8, 7, v1 bitop3:0x40
	s_add_co_i32 s0, s0, 31
	s_mov_b32 s2, exec_lo
	s_lshr_b32 s0, s0, 5
	ds_load_b64 v[2:3], v2
	v_cmp_ne_u32_e32 vcc_lo, 7, v8
	v_add_nc_u32_e32 v10, 1, v8
	v_add_co_ci_u32_e64 v6, null, 0, v1, vcc_lo
	s_delay_alu instid0(VALU_DEP_1)
	v_lshlrev_b32_e32 v7, 2, v6
	s_wait_dscnt 0x0
	ds_bpermute_b32 v6, v7, v2
	ds_bpermute_b32 v7, v7, v3
	v_cmpx_gt_u32_e64 s0, v10
	s_cbranch_execz .LBB34_52
; %bb.51:
	s_wait_dscnt 0x0
	v_mul_f64_e32 v[2:3], v[2:3], v[6:7]
.LBB34_52:
	s_or_b32 exec_lo, exec_lo, s2
	v_cmp_gt_u32_e32 vcc_lo, 6, v8
	v_add_nc_u32_e32 v10, 2, v8
	s_mov_b32 s2, exec_lo
	s_wait_dscnt 0x1
	v_cndmask_b32_e64 v6, 0, 2, vcc_lo
	s_wait_dscnt 0x0
	s_delay_alu instid0(VALU_DEP_1)
	v_add_lshl_u32 v7, v6, v1, 2
	ds_bpermute_b32 v6, v7, v2
	ds_bpermute_b32 v7, v7, v3
	v_cmpx_gt_u32_e64 s0, v10
	s_cbranch_execz .LBB34_54
; %bb.53:
	s_wait_dscnt 0x0
	v_mul_f64_e32 v[2:3], v[2:3], v[6:7]
.LBB34_54:
	s_or_b32 exec_lo, exec_lo, s2
	s_wait_dscnt 0x0
	v_dual_add_nc_u32 v8, 4, v8 :: v_dual_bitop2_b32 v7, 16, v9 bitop3:0x54
	ds_bpermute_b32 v6, v7, v2
	ds_bpermute_b32 v7, v7, v3
	v_cmp_gt_u32_e32 vcc_lo, s0, v8
	s_and_saveexec_b32 s0, vcc_lo
	s_cbranch_execz .LBB34_56
; %bb.55:
	s_wait_dscnt 0x0
	v_mul_f64_e32 v[2:3], v[2:3], v[6:7]
.LBB34_56:
	s_or_b32 exec_lo, exec_lo, s0
.LBB34_57:
	s_delay_alu instid0(SALU_CYCLE_1)
	s_or_b32 exec_lo, exec_lo, s1
	s_branch .LBB34_64
.LBB34_58:
                                        ; implicit-def: $vgpr2_vgpr3
	s_cbranch_execz .LBB34_64
; %bb.59:
	s_wait_loadcnt 0x0
	s_delay_alu instid0(VALU_DEP_2) | instskip(NEXT) | instid1(VALU_DEP_3)
	v_mov_b32_dpp v2, v4 quad_perm:[1,0,3,2] row_mask:0xf bank_mask:0xf
	v_mov_b32_dpp v3, v5 quad_perm:[1,0,3,2] row_mask:0xf bank_mask:0xf
	s_mov_b32 s0, exec_lo
	s_delay_alu instid0(VALU_DEP_1) | instskip(NEXT) | instid1(VALU_DEP_1)
	v_mul_f64_e32 v[2:3], v[4:5], v[2:3]
	v_mov_b32_dpp v4, v2 quad_perm:[2,3,0,1] row_mask:0xf bank_mask:0xf
	s_delay_alu instid0(VALU_DEP_2) | instskip(NEXT) | instid1(VALU_DEP_1)
	v_mov_b32_dpp v5, v3 quad_perm:[2,3,0,1] row_mask:0xf bank_mask:0xf
	v_mul_f64_e32 v[2:3], v[2:3], v[4:5]
	s_delay_alu instid0(VALU_DEP_1) | instskip(NEXT) | instid1(VALU_DEP_2)
	v_mov_b32_dpp v4, v2 row_ror:4 row_mask:0xf bank_mask:0xf
	v_mov_b32_dpp v5, v3 row_ror:4 row_mask:0xf bank_mask:0xf
	s_delay_alu instid0(VALU_DEP_1) | instskip(NEXT) | instid1(VALU_DEP_1)
	v_mul_f64_e32 v[2:3], v[2:3], v[4:5]
	v_mov_b32_dpp v4, v2 row_ror:8 row_mask:0xf bank_mask:0xf
	s_delay_alu instid0(VALU_DEP_2) | instskip(NEXT) | instid1(VALU_DEP_1)
	v_mov_b32_dpp v5, v3 row_ror:8 row_mask:0xf bank_mask:0xf
	v_mul_f64_e32 v[2:3], v[2:3], v[4:5]
	ds_swizzle_b32 v4, v2 offset:swizzle(BROADCAST,32,15)
	ds_swizzle_b32 v5, v3 offset:swizzle(BROADCAST,32,15)
	s_wait_dscnt 0x0
	v_dual_mul_f64 v[2:3], v[2:3], v[4:5] :: v_dual_mov_b32 v4, 0
	ds_bpermute_b32 v2, v4, v2 offset:124
	ds_bpermute_b32 v3, v4, v3 offset:124
	v_cmpx_eq_u32_e32 0, v1
	s_cbranch_execz .LBB34_61
; %bb.60:
	v_lshrrev_b32_e32 v4, 2, v0
	s_delay_alu instid0(VALU_DEP_1)
	v_and_b32_e32 v4, 56, v4
	s_wait_dscnt 0x0
	ds_store_b64 v4, v[2:3]
.LBB34_61:
	s_or_b32 exec_lo, exec_lo, s0
	s_delay_alu instid0(SALU_CYCLE_1)
	s_mov_b32 s0, exec_lo
	s_wait_dscnt 0x0
	s_barrier_signal -1
	s_barrier_wait -1
	v_cmpx_gt_u32_e32 32, v0
	s_cbranch_execz .LBB34_63
; %bb.62:
	v_and_b32_e32 v6, 7, v1
	s_delay_alu instid0(VALU_DEP_1) | instskip(SKIP_1) | instid1(VALU_DEP_1)
	v_cmp_ne_u32_e32 vcc_lo, 7, v6
	v_add_co_ci_u32_e64 v4, null, 0, v1, vcc_lo
	v_dual_lshlrev_b32 v5, 2, v4 :: v_dual_lshlrev_b32 v2, 3, v6
	v_cmp_gt_u32_e32 vcc_lo, 6, v6
	ds_load_b64 v[2:3], v2
	s_wait_dscnt 0x0
	ds_bpermute_b32 v4, v5, v2
	ds_bpermute_b32 v5, v5, v3
	s_wait_dscnt 0x0
	v_mul_f64_e32 v[2:3], v[2:3], v[4:5]
	v_cndmask_b32_e64 v4, 0, 2, vcc_lo
	s_delay_alu instid0(VALU_DEP_1) | instskip(SKIP_1) | instid1(VALU_DEP_1)
	v_add_lshl_u32 v5, v4, v1, 2
	v_lshlrev_b32_e32 v1, 2, v1
	v_or_b32_e32 v1, 16, v1
	ds_bpermute_b32 v4, v5, v2
	ds_bpermute_b32 v5, v5, v3
	s_wait_dscnt 0x0
	v_mul_f64_e32 v[2:3], v[2:3], v[4:5]
	ds_bpermute_b32 v4, v1, v2
	ds_bpermute_b32 v5, v1, v3
	s_wait_dscnt 0x0
	v_mul_f64_e32 v[2:3], v[2:3], v[4:5]
.LBB34_63:
	s_or_b32 exec_lo, exec_lo, s0
.LBB34_64:
	s_delay_alu instid0(SALU_CYCLE_1)
	s_mov_b32 s0, exec_lo
                                        ; implicit-def: $vgpr4_vgpr5
	v_cmpx_eq_u32_e32 0, v0
	s_cbranch_execz .LBB34_66
; %bb.65:
	s_wait_loadcnt 0x0
	s_delay_alu instid0(VALU_DEP_2)
	v_mul_f64_e32 v[4:5], s[16:17], v[2:3]
	s_or_b32 s7, s7, exec_lo
.LBB34_66:
	s_or_b32 exec_lo, exec_lo, s0
	s_and_saveexec_b32 s0, s7
	s_cbranch_execz .LBB34_68
.LBB34_67:
	s_lshl_b64 s[0:1], s[12:13], 3
	v_mov_b32_e32 v0, 0
	s_add_nc_u64 s[0:1], s[10:11], s[0:1]
	s_lshl_b64 s[2:3], s[14:15], 3
	s_delay_alu instid0(SALU_CYCLE_1)
	s_add_nc_u64 s[0:1], s[0:1], s[2:3]
	s_wait_loadcnt 0x0
	global_store_b64 v0, v[4:5], s[0:1]
.LBB34_68:
	s_endpgm
	.section	.rodata,"a",@progbits
	.p2align	6, 0x0
	.amdhsa_kernel _ZN7rocprim17ROCPRIM_400000_NS6detail17trampoline_kernelINS0_14default_configENS1_32segmented_reduce_config_selectorIdEEZNS1_21segmented_reduce_implIS3_PKdPdPKidN6hipcub16HIPCUB_304000_NS6detail27convert_result_type_wrapperIS8_S9_N2at6native12_GLOBAL__N_110CustomProdEEEEE10hipError_tPvRmT0_T1_jT2_SQ_T4_T3_P12ihipStream_tbEUlT_E_NS1_11comp_targetILNS1_3genE0ELNS1_11target_archE4294967295ELNS1_3gpuE0ELNS1_3repE0EEENS1_30default_config_static_selectorELNS0_4arch9wavefront6targetE0EEEvSP_
		.amdhsa_group_segment_fixed_size 64
		.amdhsa_private_segment_fixed_size 0
		.amdhsa_kernarg_size 56
		.amdhsa_user_sgpr_count 2
		.amdhsa_user_sgpr_dispatch_ptr 0
		.amdhsa_user_sgpr_queue_ptr 0
		.amdhsa_user_sgpr_kernarg_segment_ptr 1
		.amdhsa_user_sgpr_dispatch_id 0
		.amdhsa_user_sgpr_kernarg_preload_length 0
		.amdhsa_user_sgpr_kernarg_preload_offset 0
		.amdhsa_user_sgpr_private_segment_size 0
		.amdhsa_wavefront_size32 1
		.amdhsa_uses_dynamic_stack 0
		.amdhsa_enable_private_segment 0
		.amdhsa_system_sgpr_workgroup_id_x 1
		.amdhsa_system_sgpr_workgroup_id_y 0
		.amdhsa_system_sgpr_workgroup_id_z 0
		.amdhsa_system_sgpr_workgroup_info 0
		.amdhsa_system_vgpr_workitem_id 0
		.amdhsa_next_free_vgpr 24
		.amdhsa_next_free_sgpr 23
		.amdhsa_named_barrier_count 0
		.amdhsa_reserve_vcc 1
		.amdhsa_float_round_mode_32 0
		.amdhsa_float_round_mode_16_64 0
		.amdhsa_float_denorm_mode_32 3
		.amdhsa_float_denorm_mode_16_64 3
		.amdhsa_fp16_overflow 0
		.amdhsa_memory_ordered 1
		.amdhsa_forward_progress 1
		.amdhsa_inst_pref_size 24
		.amdhsa_round_robin_scheduling 0
		.amdhsa_exception_fp_ieee_invalid_op 0
		.amdhsa_exception_fp_denorm_src 0
		.amdhsa_exception_fp_ieee_div_zero 0
		.amdhsa_exception_fp_ieee_overflow 0
		.amdhsa_exception_fp_ieee_underflow 0
		.amdhsa_exception_fp_ieee_inexact 0
		.amdhsa_exception_int_div_zero 0
	.end_amdhsa_kernel
	.section	.text._ZN7rocprim17ROCPRIM_400000_NS6detail17trampoline_kernelINS0_14default_configENS1_32segmented_reduce_config_selectorIdEEZNS1_21segmented_reduce_implIS3_PKdPdPKidN6hipcub16HIPCUB_304000_NS6detail27convert_result_type_wrapperIS8_S9_N2at6native12_GLOBAL__N_110CustomProdEEEEE10hipError_tPvRmT0_T1_jT2_SQ_T4_T3_P12ihipStream_tbEUlT_E_NS1_11comp_targetILNS1_3genE0ELNS1_11target_archE4294967295ELNS1_3gpuE0ELNS1_3repE0EEENS1_30default_config_static_selectorELNS0_4arch9wavefront6targetE0EEEvSP_,"axG",@progbits,_ZN7rocprim17ROCPRIM_400000_NS6detail17trampoline_kernelINS0_14default_configENS1_32segmented_reduce_config_selectorIdEEZNS1_21segmented_reduce_implIS3_PKdPdPKidN6hipcub16HIPCUB_304000_NS6detail27convert_result_type_wrapperIS8_S9_N2at6native12_GLOBAL__N_110CustomProdEEEEE10hipError_tPvRmT0_T1_jT2_SQ_T4_T3_P12ihipStream_tbEUlT_E_NS1_11comp_targetILNS1_3genE0ELNS1_11target_archE4294967295ELNS1_3gpuE0ELNS1_3repE0EEENS1_30default_config_static_selectorELNS0_4arch9wavefront6targetE0EEEvSP_,comdat
.Lfunc_end34:
	.size	_ZN7rocprim17ROCPRIM_400000_NS6detail17trampoline_kernelINS0_14default_configENS1_32segmented_reduce_config_selectorIdEEZNS1_21segmented_reduce_implIS3_PKdPdPKidN6hipcub16HIPCUB_304000_NS6detail27convert_result_type_wrapperIS8_S9_N2at6native12_GLOBAL__N_110CustomProdEEEEE10hipError_tPvRmT0_T1_jT2_SQ_T4_T3_P12ihipStream_tbEUlT_E_NS1_11comp_targetILNS1_3genE0ELNS1_11target_archE4294967295ELNS1_3gpuE0ELNS1_3repE0EEENS1_30default_config_static_selectorELNS0_4arch9wavefront6targetE0EEEvSP_, .Lfunc_end34-_ZN7rocprim17ROCPRIM_400000_NS6detail17trampoline_kernelINS0_14default_configENS1_32segmented_reduce_config_selectorIdEEZNS1_21segmented_reduce_implIS3_PKdPdPKidN6hipcub16HIPCUB_304000_NS6detail27convert_result_type_wrapperIS8_S9_N2at6native12_GLOBAL__N_110CustomProdEEEEE10hipError_tPvRmT0_T1_jT2_SQ_T4_T3_P12ihipStream_tbEUlT_E_NS1_11comp_targetILNS1_3genE0ELNS1_11target_archE4294967295ELNS1_3gpuE0ELNS1_3repE0EEENS1_30default_config_static_selectorELNS0_4arch9wavefront6targetE0EEEvSP_
                                        ; -- End function
	.set _ZN7rocprim17ROCPRIM_400000_NS6detail17trampoline_kernelINS0_14default_configENS1_32segmented_reduce_config_selectorIdEEZNS1_21segmented_reduce_implIS3_PKdPdPKidN6hipcub16HIPCUB_304000_NS6detail27convert_result_type_wrapperIS8_S9_N2at6native12_GLOBAL__N_110CustomProdEEEEE10hipError_tPvRmT0_T1_jT2_SQ_T4_T3_P12ihipStream_tbEUlT_E_NS1_11comp_targetILNS1_3genE0ELNS1_11target_archE4294967295ELNS1_3gpuE0ELNS1_3repE0EEENS1_30default_config_static_selectorELNS0_4arch9wavefront6targetE0EEEvSP_.num_vgpr, 24
	.set _ZN7rocprim17ROCPRIM_400000_NS6detail17trampoline_kernelINS0_14default_configENS1_32segmented_reduce_config_selectorIdEEZNS1_21segmented_reduce_implIS3_PKdPdPKidN6hipcub16HIPCUB_304000_NS6detail27convert_result_type_wrapperIS8_S9_N2at6native12_GLOBAL__N_110CustomProdEEEEE10hipError_tPvRmT0_T1_jT2_SQ_T4_T3_P12ihipStream_tbEUlT_E_NS1_11comp_targetILNS1_3genE0ELNS1_11target_archE4294967295ELNS1_3gpuE0ELNS1_3repE0EEENS1_30default_config_static_selectorELNS0_4arch9wavefront6targetE0EEEvSP_.num_agpr, 0
	.set _ZN7rocprim17ROCPRIM_400000_NS6detail17trampoline_kernelINS0_14default_configENS1_32segmented_reduce_config_selectorIdEEZNS1_21segmented_reduce_implIS3_PKdPdPKidN6hipcub16HIPCUB_304000_NS6detail27convert_result_type_wrapperIS8_S9_N2at6native12_GLOBAL__N_110CustomProdEEEEE10hipError_tPvRmT0_T1_jT2_SQ_T4_T3_P12ihipStream_tbEUlT_E_NS1_11comp_targetILNS1_3genE0ELNS1_11target_archE4294967295ELNS1_3gpuE0ELNS1_3repE0EEENS1_30default_config_static_selectorELNS0_4arch9wavefront6targetE0EEEvSP_.numbered_sgpr, 23
	.set _ZN7rocprim17ROCPRIM_400000_NS6detail17trampoline_kernelINS0_14default_configENS1_32segmented_reduce_config_selectorIdEEZNS1_21segmented_reduce_implIS3_PKdPdPKidN6hipcub16HIPCUB_304000_NS6detail27convert_result_type_wrapperIS8_S9_N2at6native12_GLOBAL__N_110CustomProdEEEEE10hipError_tPvRmT0_T1_jT2_SQ_T4_T3_P12ihipStream_tbEUlT_E_NS1_11comp_targetILNS1_3genE0ELNS1_11target_archE4294967295ELNS1_3gpuE0ELNS1_3repE0EEENS1_30default_config_static_selectorELNS0_4arch9wavefront6targetE0EEEvSP_.num_named_barrier, 0
	.set _ZN7rocprim17ROCPRIM_400000_NS6detail17trampoline_kernelINS0_14default_configENS1_32segmented_reduce_config_selectorIdEEZNS1_21segmented_reduce_implIS3_PKdPdPKidN6hipcub16HIPCUB_304000_NS6detail27convert_result_type_wrapperIS8_S9_N2at6native12_GLOBAL__N_110CustomProdEEEEE10hipError_tPvRmT0_T1_jT2_SQ_T4_T3_P12ihipStream_tbEUlT_E_NS1_11comp_targetILNS1_3genE0ELNS1_11target_archE4294967295ELNS1_3gpuE0ELNS1_3repE0EEENS1_30default_config_static_selectorELNS0_4arch9wavefront6targetE0EEEvSP_.private_seg_size, 0
	.set _ZN7rocprim17ROCPRIM_400000_NS6detail17trampoline_kernelINS0_14default_configENS1_32segmented_reduce_config_selectorIdEEZNS1_21segmented_reduce_implIS3_PKdPdPKidN6hipcub16HIPCUB_304000_NS6detail27convert_result_type_wrapperIS8_S9_N2at6native12_GLOBAL__N_110CustomProdEEEEE10hipError_tPvRmT0_T1_jT2_SQ_T4_T3_P12ihipStream_tbEUlT_E_NS1_11comp_targetILNS1_3genE0ELNS1_11target_archE4294967295ELNS1_3gpuE0ELNS1_3repE0EEENS1_30default_config_static_selectorELNS0_4arch9wavefront6targetE0EEEvSP_.uses_vcc, 1
	.set _ZN7rocprim17ROCPRIM_400000_NS6detail17trampoline_kernelINS0_14default_configENS1_32segmented_reduce_config_selectorIdEEZNS1_21segmented_reduce_implIS3_PKdPdPKidN6hipcub16HIPCUB_304000_NS6detail27convert_result_type_wrapperIS8_S9_N2at6native12_GLOBAL__N_110CustomProdEEEEE10hipError_tPvRmT0_T1_jT2_SQ_T4_T3_P12ihipStream_tbEUlT_E_NS1_11comp_targetILNS1_3genE0ELNS1_11target_archE4294967295ELNS1_3gpuE0ELNS1_3repE0EEENS1_30default_config_static_selectorELNS0_4arch9wavefront6targetE0EEEvSP_.uses_flat_scratch, 0
	.set _ZN7rocprim17ROCPRIM_400000_NS6detail17trampoline_kernelINS0_14default_configENS1_32segmented_reduce_config_selectorIdEEZNS1_21segmented_reduce_implIS3_PKdPdPKidN6hipcub16HIPCUB_304000_NS6detail27convert_result_type_wrapperIS8_S9_N2at6native12_GLOBAL__N_110CustomProdEEEEE10hipError_tPvRmT0_T1_jT2_SQ_T4_T3_P12ihipStream_tbEUlT_E_NS1_11comp_targetILNS1_3genE0ELNS1_11target_archE4294967295ELNS1_3gpuE0ELNS1_3repE0EEENS1_30default_config_static_selectorELNS0_4arch9wavefront6targetE0EEEvSP_.has_dyn_sized_stack, 0
	.set _ZN7rocprim17ROCPRIM_400000_NS6detail17trampoline_kernelINS0_14default_configENS1_32segmented_reduce_config_selectorIdEEZNS1_21segmented_reduce_implIS3_PKdPdPKidN6hipcub16HIPCUB_304000_NS6detail27convert_result_type_wrapperIS8_S9_N2at6native12_GLOBAL__N_110CustomProdEEEEE10hipError_tPvRmT0_T1_jT2_SQ_T4_T3_P12ihipStream_tbEUlT_E_NS1_11comp_targetILNS1_3genE0ELNS1_11target_archE4294967295ELNS1_3gpuE0ELNS1_3repE0EEENS1_30default_config_static_selectorELNS0_4arch9wavefront6targetE0EEEvSP_.has_recursion, 0
	.set _ZN7rocprim17ROCPRIM_400000_NS6detail17trampoline_kernelINS0_14default_configENS1_32segmented_reduce_config_selectorIdEEZNS1_21segmented_reduce_implIS3_PKdPdPKidN6hipcub16HIPCUB_304000_NS6detail27convert_result_type_wrapperIS8_S9_N2at6native12_GLOBAL__N_110CustomProdEEEEE10hipError_tPvRmT0_T1_jT2_SQ_T4_T3_P12ihipStream_tbEUlT_E_NS1_11comp_targetILNS1_3genE0ELNS1_11target_archE4294967295ELNS1_3gpuE0ELNS1_3repE0EEENS1_30default_config_static_selectorELNS0_4arch9wavefront6targetE0EEEvSP_.has_indirect_call, 0
	.section	.AMDGPU.csdata,"",@progbits
; Kernel info:
; codeLenInByte = 2960
; TotalNumSgprs: 25
; NumVgprs: 24
; ScratchSize: 0
; MemoryBound: 1
; FloatMode: 240
; IeeeMode: 1
; LDSByteSize: 64 bytes/workgroup (compile time only)
; SGPRBlocks: 0
; VGPRBlocks: 1
; NumSGPRsForWavesPerEU: 25
; NumVGPRsForWavesPerEU: 24
; NamedBarCnt: 0
; Occupancy: 16
; WaveLimiterHint : 1
; COMPUTE_PGM_RSRC2:SCRATCH_EN: 0
; COMPUTE_PGM_RSRC2:USER_SGPR: 2
; COMPUTE_PGM_RSRC2:TRAP_HANDLER: 0
; COMPUTE_PGM_RSRC2:TGID_X_EN: 1
; COMPUTE_PGM_RSRC2:TGID_Y_EN: 0
; COMPUTE_PGM_RSRC2:TGID_Z_EN: 0
; COMPUTE_PGM_RSRC2:TIDIG_COMP_CNT: 0
	.section	.text._ZN7rocprim17ROCPRIM_400000_NS6detail17trampoline_kernelINS0_14default_configENS1_32segmented_reduce_config_selectorIdEEZNS1_21segmented_reduce_implIS3_PKdPdPKidN6hipcub16HIPCUB_304000_NS6detail27convert_result_type_wrapperIS8_S9_N2at6native12_GLOBAL__N_110CustomProdEEEEE10hipError_tPvRmT0_T1_jT2_SQ_T4_T3_P12ihipStream_tbEUlT_E_NS1_11comp_targetILNS1_3genE5ELNS1_11target_archE942ELNS1_3gpuE9ELNS1_3repE0EEENS1_30default_config_static_selectorELNS0_4arch9wavefront6targetE0EEEvSP_,"axG",@progbits,_ZN7rocprim17ROCPRIM_400000_NS6detail17trampoline_kernelINS0_14default_configENS1_32segmented_reduce_config_selectorIdEEZNS1_21segmented_reduce_implIS3_PKdPdPKidN6hipcub16HIPCUB_304000_NS6detail27convert_result_type_wrapperIS8_S9_N2at6native12_GLOBAL__N_110CustomProdEEEEE10hipError_tPvRmT0_T1_jT2_SQ_T4_T3_P12ihipStream_tbEUlT_E_NS1_11comp_targetILNS1_3genE5ELNS1_11target_archE942ELNS1_3gpuE9ELNS1_3repE0EEENS1_30default_config_static_selectorELNS0_4arch9wavefront6targetE0EEEvSP_,comdat
	.globl	_ZN7rocprim17ROCPRIM_400000_NS6detail17trampoline_kernelINS0_14default_configENS1_32segmented_reduce_config_selectorIdEEZNS1_21segmented_reduce_implIS3_PKdPdPKidN6hipcub16HIPCUB_304000_NS6detail27convert_result_type_wrapperIS8_S9_N2at6native12_GLOBAL__N_110CustomProdEEEEE10hipError_tPvRmT0_T1_jT2_SQ_T4_T3_P12ihipStream_tbEUlT_E_NS1_11comp_targetILNS1_3genE5ELNS1_11target_archE942ELNS1_3gpuE9ELNS1_3repE0EEENS1_30default_config_static_selectorELNS0_4arch9wavefront6targetE0EEEvSP_ ; -- Begin function _ZN7rocprim17ROCPRIM_400000_NS6detail17trampoline_kernelINS0_14default_configENS1_32segmented_reduce_config_selectorIdEEZNS1_21segmented_reduce_implIS3_PKdPdPKidN6hipcub16HIPCUB_304000_NS6detail27convert_result_type_wrapperIS8_S9_N2at6native12_GLOBAL__N_110CustomProdEEEEE10hipError_tPvRmT0_T1_jT2_SQ_T4_T3_P12ihipStream_tbEUlT_E_NS1_11comp_targetILNS1_3genE5ELNS1_11target_archE942ELNS1_3gpuE9ELNS1_3repE0EEENS1_30default_config_static_selectorELNS0_4arch9wavefront6targetE0EEEvSP_
	.p2align	8
	.type	_ZN7rocprim17ROCPRIM_400000_NS6detail17trampoline_kernelINS0_14default_configENS1_32segmented_reduce_config_selectorIdEEZNS1_21segmented_reduce_implIS3_PKdPdPKidN6hipcub16HIPCUB_304000_NS6detail27convert_result_type_wrapperIS8_S9_N2at6native12_GLOBAL__N_110CustomProdEEEEE10hipError_tPvRmT0_T1_jT2_SQ_T4_T3_P12ihipStream_tbEUlT_E_NS1_11comp_targetILNS1_3genE5ELNS1_11target_archE942ELNS1_3gpuE9ELNS1_3repE0EEENS1_30default_config_static_selectorELNS0_4arch9wavefront6targetE0EEEvSP_,@function
_ZN7rocprim17ROCPRIM_400000_NS6detail17trampoline_kernelINS0_14default_configENS1_32segmented_reduce_config_selectorIdEEZNS1_21segmented_reduce_implIS3_PKdPdPKidN6hipcub16HIPCUB_304000_NS6detail27convert_result_type_wrapperIS8_S9_N2at6native12_GLOBAL__N_110CustomProdEEEEE10hipError_tPvRmT0_T1_jT2_SQ_T4_T3_P12ihipStream_tbEUlT_E_NS1_11comp_targetILNS1_3genE5ELNS1_11target_archE942ELNS1_3gpuE9ELNS1_3repE0EEENS1_30default_config_static_selectorELNS0_4arch9wavefront6targetE0EEEvSP_: ; @_ZN7rocprim17ROCPRIM_400000_NS6detail17trampoline_kernelINS0_14default_configENS1_32segmented_reduce_config_selectorIdEEZNS1_21segmented_reduce_implIS3_PKdPdPKidN6hipcub16HIPCUB_304000_NS6detail27convert_result_type_wrapperIS8_S9_N2at6native12_GLOBAL__N_110CustomProdEEEEE10hipError_tPvRmT0_T1_jT2_SQ_T4_T3_P12ihipStream_tbEUlT_E_NS1_11comp_targetILNS1_3genE5ELNS1_11target_archE942ELNS1_3gpuE9ELNS1_3repE0EEENS1_30default_config_static_selectorELNS0_4arch9wavefront6targetE0EEEvSP_
; %bb.0:
	.section	.rodata,"a",@progbits
	.p2align	6, 0x0
	.amdhsa_kernel _ZN7rocprim17ROCPRIM_400000_NS6detail17trampoline_kernelINS0_14default_configENS1_32segmented_reduce_config_selectorIdEEZNS1_21segmented_reduce_implIS3_PKdPdPKidN6hipcub16HIPCUB_304000_NS6detail27convert_result_type_wrapperIS8_S9_N2at6native12_GLOBAL__N_110CustomProdEEEEE10hipError_tPvRmT0_T1_jT2_SQ_T4_T3_P12ihipStream_tbEUlT_E_NS1_11comp_targetILNS1_3genE5ELNS1_11target_archE942ELNS1_3gpuE9ELNS1_3repE0EEENS1_30default_config_static_selectorELNS0_4arch9wavefront6targetE0EEEvSP_
		.amdhsa_group_segment_fixed_size 0
		.amdhsa_private_segment_fixed_size 0
		.amdhsa_kernarg_size 56
		.amdhsa_user_sgpr_count 2
		.amdhsa_user_sgpr_dispatch_ptr 0
		.amdhsa_user_sgpr_queue_ptr 0
		.amdhsa_user_sgpr_kernarg_segment_ptr 1
		.amdhsa_user_sgpr_dispatch_id 0
		.amdhsa_user_sgpr_kernarg_preload_length 0
		.amdhsa_user_sgpr_kernarg_preload_offset 0
		.amdhsa_user_sgpr_private_segment_size 0
		.amdhsa_wavefront_size32 1
		.amdhsa_uses_dynamic_stack 0
		.amdhsa_enable_private_segment 0
		.amdhsa_system_sgpr_workgroup_id_x 1
		.amdhsa_system_sgpr_workgroup_id_y 0
		.amdhsa_system_sgpr_workgroup_id_z 0
		.amdhsa_system_sgpr_workgroup_info 0
		.amdhsa_system_vgpr_workitem_id 0
		.amdhsa_next_free_vgpr 1
		.amdhsa_next_free_sgpr 1
		.amdhsa_named_barrier_count 0
		.amdhsa_reserve_vcc 0
		.amdhsa_float_round_mode_32 0
		.amdhsa_float_round_mode_16_64 0
		.amdhsa_float_denorm_mode_32 3
		.amdhsa_float_denorm_mode_16_64 3
		.amdhsa_fp16_overflow 0
		.amdhsa_memory_ordered 1
		.amdhsa_forward_progress 1
		.amdhsa_inst_pref_size 0
		.amdhsa_round_robin_scheduling 0
		.amdhsa_exception_fp_ieee_invalid_op 0
		.amdhsa_exception_fp_denorm_src 0
		.amdhsa_exception_fp_ieee_div_zero 0
		.amdhsa_exception_fp_ieee_overflow 0
		.amdhsa_exception_fp_ieee_underflow 0
		.amdhsa_exception_fp_ieee_inexact 0
		.amdhsa_exception_int_div_zero 0
	.end_amdhsa_kernel
	.section	.text._ZN7rocprim17ROCPRIM_400000_NS6detail17trampoline_kernelINS0_14default_configENS1_32segmented_reduce_config_selectorIdEEZNS1_21segmented_reduce_implIS3_PKdPdPKidN6hipcub16HIPCUB_304000_NS6detail27convert_result_type_wrapperIS8_S9_N2at6native12_GLOBAL__N_110CustomProdEEEEE10hipError_tPvRmT0_T1_jT2_SQ_T4_T3_P12ihipStream_tbEUlT_E_NS1_11comp_targetILNS1_3genE5ELNS1_11target_archE942ELNS1_3gpuE9ELNS1_3repE0EEENS1_30default_config_static_selectorELNS0_4arch9wavefront6targetE0EEEvSP_,"axG",@progbits,_ZN7rocprim17ROCPRIM_400000_NS6detail17trampoline_kernelINS0_14default_configENS1_32segmented_reduce_config_selectorIdEEZNS1_21segmented_reduce_implIS3_PKdPdPKidN6hipcub16HIPCUB_304000_NS6detail27convert_result_type_wrapperIS8_S9_N2at6native12_GLOBAL__N_110CustomProdEEEEE10hipError_tPvRmT0_T1_jT2_SQ_T4_T3_P12ihipStream_tbEUlT_E_NS1_11comp_targetILNS1_3genE5ELNS1_11target_archE942ELNS1_3gpuE9ELNS1_3repE0EEENS1_30default_config_static_selectorELNS0_4arch9wavefront6targetE0EEEvSP_,comdat
.Lfunc_end35:
	.size	_ZN7rocprim17ROCPRIM_400000_NS6detail17trampoline_kernelINS0_14default_configENS1_32segmented_reduce_config_selectorIdEEZNS1_21segmented_reduce_implIS3_PKdPdPKidN6hipcub16HIPCUB_304000_NS6detail27convert_result_type_wrapperIS8_S9_N2at6native12_GLOBAL__N_110CustomProdEEEEE10hipError_tPvRmT0_T1_jT2_SQ_T4_T3_P12ihipStream_tbEUlT_E_NS1_11comp_targetILNS1_3genE5ELNS1_11target_archE942ELNS1_3gpuE9ELNS1_3repE0EEENS1_30default_config_static_selectorELNS0_4arch9wavefront6targetE0EEEvSP_, .Lfunc_end35-_ZN7rocprim17ROCPRIM_400000_NS6detail17trampoline_kernelINS0_14default_configENS1_32segmented_reduce_config_selectorIdEEZNS1_21segmented_reduce_implIS3_PKdPdPKidN6hipcub16HIPCUB_304000_NS6detail27convert_result_type_wrapperIS8_S9_N2at6native12_GLOBAL__N_110CustomProdEEEEE10hipError_tPvRmT0_T1_jT2_SQ_T4_T3_P12ihipStream_tbEUlT_E_NS1_11comp_targetILNS1_3genE5ELNS1_11target_archE942ELNS1_3gpuE9ELNS1_3repE0EEENS1_30default_config_static_selectorELNS0_4arch9wavefront6targetE0EEEvSP_
                                        ; -- End function
	.set _ZN7rocprim17ROCPRIM_400000_NS6detail17trampoline_kernelINS0_14default_configENS1_32segmented_reduce_config_selectorIdEEZNS1_21segmented_reduce_implIS3_PKdPdPKidN6hipcub16HIPCUB_304000_NS6detail27convert_result_type_wrapperIS8_S9_N2at6native12_GLOBAL__N_110CustomProdEEEEE10hipError_tPvRmT0_T1_jT2_SQ_T4_T3_P12ihipStream_tbEUlT_E_NS1_11comp_targetILNS1_3genE5ELNS1_11target_archE942ELNS1_3gpuE9ELNS1_3repE0EEENS1_30default_config_static_selectorELNS0_4arch9wavefront6targetE0EEEvSP_.num_vgpr, 0
	.set _ZN7rocprim17ROCPRIM_400000_NS6detail17trampoline_kernelINS0_14default_configENS1_32segmented_reduce_config_selectorIdEEZNS1_21segmented_reduce_implIS3_PKdPdPKidN6hipcub16HIPCUB_304000_NS6detail27convert_result_type_wrapperIS8_S9_N2at6native12_GLOBAL__N_110CustomProdEEEEE10hipError_tPvRmT0_T1_jT2_SQ_T4_T3_P12ihipStream_tbEUlT_E_NS1_11comp_targetILNS1_3genE5ELNS1_11target_archE942ELNS1_3gpuE9ELNS1_3repE0EEENS1_30default_config_static_selectorELNS0_4arch9wavefront6targetE0EEEvSP_.num_agpr, 0
	.set _ZN7rocprim17ROCPRIM_400000_NS6detail17trampoline_kernelINS0_14default_configENS1_32segmented_reduce_config_selectorIdEEZNS1_21segmented_reduce_implIS3_PKdPdPKidN6hipcub16HIPCUB_304000_NS6detail27convert_result_type_wrapperIS8_S9_N2at6native12_GLOBAL__N_110CustomProdEEEEE10hipError_tPvRmT0_T1_jT2_SQ_T4_T3_P12ihipStream_tbEUlT_E_NS1_11comp_targetILNS1_3genE5ELNS1_11target_archE942ELNS1_3gpuE9ELNS1_3repE0EEENS1_30default_config_static_selectorELNS0_4arch9wavefront6targetE0EEEvSP_.numbered_sgpr, 0
	.set _ZN7rocprim17ROCPRIM_400000_NS6detail17trampoline_kernelINS0_14default_configENS1_32segmented_reduce_config_selectorIdEEZNS1_21segmented_reduce_implIS3_PKdPdPKidN6hipcub16HIPCUB_304000_NS6detail27convert_result_type_wrapperIS8_S9_N2at6native12_GLOBAL__N_110CustomProdEEEEE10hipError_tPvRmT0_T1_jT2_SQ_T4_T3_P12ihipStream_tbEUlT_E_NS1_11comp_targetILNS1_3genE5ELNS1_11target_archE942ELNS1_3gpuE9ELNS1_3repE0EEENS1_30default_config_static_selectorELNS0_4arch9wavefront6targetE0EEEvSP_.num_named_barrier, 0
	.set _ZN7rocprim17ROCPRIM_400000_NS6detail17trampoline_kernelINS0_14default_configENS1_32segmented_reduce_config_selectorIdEEZNS1_21segmented_reduce_implIS3_PKdPdPKidN6hipcub16HIPCUB_304000_NS6detail27convert_result_type_wrapperIS8_S9_N2at6native12_GLOBAL__N_110CustomProdEEEEE10hipError_tPvRmT0_T1_jT2_SQ_T4_T3_P12ihipStream_tbEUlT_E_NS1_11comp_targetILNS1_3genE5ELNS1_11target_archE942ELNS1_3gpuE9ELNS1_3repE0EEENS1_30default_config_static_selectorELNS0_4arch9wavefront6targetE0EEEvSP_.private_seg_size, 0
	.set _ZN7rocprim17ROCPRIM_400000_NS6detail17trampoline_kernelINS0_14default_configENS1_32segmented_reduce_config_selectorIdEEZNS1_21segmented_reduce_implIS3_PKdPdPKidN6hipcub16HIPCUB_304000_NS6detail27convert_result_type_wrapperIS8_S9_N2at6native12_GLOBAL__N_110CustomProdEEEEE10hipError_tPvRmT0_T1_jT2_SQ_T4_T3_P12ihipStream_tbEUlT_E_NS1_11comp_targetILNS1_3genE5ELNS1_11target_archE942ELNS1_3gpuE9ELNS1_3repE0EEENS1_30default_config_static_selectorELNS0_4arch9wavefront6targetE0EEEvSP_.uses_vcc, 0
	.set _ZN7rocprim17ROCPRIM_400000_NS6detail17trampoline_kernelINS0_14default_configENS1_32segmented_reduce_config_selectorIdEEZNS1_21segmented_reduce_implIS3_PKdPdPKidN6hipcub16HIPCUB_304000_NS6detail27convert_result_type_wrapperIS8_S9_N2at6native12_GLOBAL__N_110CustomProdEEEEE10hipError_tPvRmT0_T1_jT2_SQ_T4_T3_P12ihipStream_tbEUlT_E_NS1_11comp_targetILNS1_3genE5ELNS1_11target_archE942ELNS1_3gpuE9ELNS1_3repE0EEENS1_30default_config_static_selectorELNS0_4arch9wavefront6targetE0EEEvSP_.uses_flat_scratch, 0
	.set _ZN7rocprim17ROCPRIM_400000_NS6detail17trampoline_kernelINS0_14default_configENS1_32segmented_reduce_config_selectorIdEEZNS1_21segmented_reduce_implIS3_PKdPdPKidN6hipcub16HIPCUB_304000_NS6detail27convert_result_type_wrapperIS8_S9_N2at6native12_GLOBAL__N_110CustomProdEEEEE10hipError_tPvRmT0_T1_jT2_SQ_T4_T3_P12ihipStream_tbEUlT_E_NS1_11comp_targetILNS1_3genE5ELNS1_11target_archE942ELNS1_3gpuE9ELNS1_3repE0EEENS1_30default_config_static_selectorELNS0_4arch9wavefront6targetE0EEEvSP_.has_dyn_sized_stack, 0
	.set _ZN7rocprim17ROCPRIM_400000_NS6detail17trampoline_kernelINS0_14default_configENS1_32segmented_reduce_config_selectorIdEEZNS1_21segmented_reduce_implIS3_PKdPdPKidN6hipcub16HIPCUB_304000_NS6detail27convert_result_type_wrapperIS8_S9_N2at6native12_GLOBAL__N_110CustomProdEEEEE10hipError_tPvRmT0_T1_jT2_SQ_T4_T3_P12ihipStream_tbEUlT_E_NS1_11comp_targetILNS1_3genE5ELNS1_11target_archE942ELNS1_3gpuE9ELNS1_3repE0EEENS1_30default_config_static_selectorELNS0_4arch9wavefront6targetE0EEEvSP_.has_recursion, 0
	.set _ZN7rocprim17ROCPRIM_400000_NS6detail17trampoline_kernelINS0_14default_configENS1_32segmented_reduce_config_selectorIdEEZNS1_21segmented_reduce_implIS3_PKdPdPKidN6hipcub16HIPCUB_304000_NS6detail27convert_result_type_wrapperIS8_S9_N2at6native12_GLOBAL__N_110CustomProdEEEEE10hipError_tPvRmT0_T1_jT2_SQ_T4_T3_P12ihipStream_tbEUlT_E_NS1_11comp_targetILNS1_3genE5ELNS1_11target_archE942ELNS1_3gpuE9ELNS1_3repE0EEENS1_30default_config_static_selectorELNS0_4arch9wavefront6targetE0EEEvSP_.has_indirect_call, 0
	.section	.AMDGPU.csdata,"",@progbits
; Kernel info:
; codeLenInByte = 0
; TotalNumSgprs: 0
; NumVgprs: 0
; ScratchSize: 0
; MemoryBound: 0
; FloatMode: 240
; IeeeMode: 1
; LDSByteSize: 0 bytes/workgroup (compile time only)
; SGPRBlocks: 0
; VGPRBlocks: 0
; NumSGPRsForWavesPerEU: 1
; NumVGPRsForWavesPerEU: 1
; NamedBarCnt: 0
; Occupancy: 16
; WaveLimiterHint : 0
; COMPUTE_PGM_RSRC2:SCRATCH_EN: 0
; COMPUTE_PGM_RSRC2:USER_SGPR: 2
; COMPUTE_PGM_RSRC2:TRAP_HANDLER: 0
; COMPUTE_PGM_RSRC2:TGID_X_EN: 1
; COMPUTE_PGM_RSRC2:TGID_Y_EN: 0
; COMPUTE_PGM_RSRC2:TGID_Z_EN: 0
; COMPUTE_PGM_RSRC2:TIDIG_COMP_CNT: 0
	.section	.text._ZN7rocprim17ROCPRIM_400000_NS6detail17trampoline_kernelINS0_14default_configENS1_32segmented_reduce_config_selectorIdEEZNS1_21segmented_reduce_implIS3_PKdPdPKidN6hipcub16HIPCUB_304000_NS6detail27convert_result_type_wrapperIS8_S9_N2at6native12_GLOBAL__N_110CustomProdEEEEE10hipError_tPvRmT0_T1_jT2_SQ_T4_T3_P12ihipStream_tbEUlT_E_NS1_11comp_targetILNS1_3genE10ELNS1_11target_archE1201ELNS1_3gpuE5ELNS1_3repE0EEENS1_30default_config_static_selectorELNS0_4arch9wavefront6targetE0EEEvSP_,"axG",@progbits,_ZN7rocprim17ROCPRIM_400000_NS6detail17trampoline_kernelINS0_14default_configENS1_32segmented_reduce_config_selectorIdEEZNS1_21segmented_reduce_implIS3_PKdPdPKidN6hipcub16HIPCUB_304000_NS6detail27convert_result_type_wrapperIS8_S9_N2at6native12_GLOBAL__N_110CustomProdEEEEE10hipError_tPvRmT0_T1_jT2_SQ_T4_T3_P12ihipStream_tbEUlT_E_NS1_11comp_targetILNS1_3genE10ELNS1_11target_archE1201ELNS1_3gpuE5ELNS1_3repE0EEENS1_30default_config_static_selectorELNS0_4arch9wavefront6targetE0EEEvSP_,comdat
	.globl	_ZN7rocprim17ROCPRIM_400000_NS6detail17trampoline_kernelINS0_14default_configENS1_32segmented_reduce_config_selectorIdEEZNS1_21segmented_reduce_implIS3_PKdPdPKidN6hipcub16HIPCUB_304000_NS6detail27convert_result_type_wrapperIS8_S9_N2at6native12_GLOBAL__N_110CustomProdEEEEE10hipError_tPvRmT0_T1_jT2_SQ_T4_T3_P12ihipStream_tbEUlT_E_NS1_11comp_targetILNS1_3genE10ELNS1_11target_archE1201ELNS1_3gpuE5ELNS1_3repE0EEENS1_30default_config_static_selectorELNS0_4arch9wavefront6targetE0EEEvSP_ ; -- Begin function _ZN7rocprim17ROCPRIM_400000_NS6detail17trampoline_kernelINS0_14default_configENS1_32segmented_reduce_config_selectorIdEEZNS1_21segmented_reduce_implIS3_PKdPdPKidN6hipcub16HIPCUB_304000_NS6detail27convert_result_type_wrapperIS8_S9_N2at6native12_GLOBAL__N_110CustomProdEEEEE10hipError_tPvRmT0_T1_jT2_SQ_T4_T3_P12ihipStream_tbEUlT_E_NS1_11comp_targetILNS1_3genE10ELNS1_11target_archE1201ELNS1_3gpuE5ELNS1_3repE0EEENS1_30default_config_static_selectorELNS0_4arch9wavefront6targetE0EEEvSP_
	.p2align	8
	.type	_ZN7rocprim17ROCPRIM_400000_NS6detail17trampoline_kernelINS0_14default_configENS1_32segmented_reduce_config_selectorIdEEZNS1_21segmented_reduce_implIS3_PKdPdPKidN6hipcub16HIPCUB_304000_NS6detail27convert_result_type_wrapperIS8_S9_N2at6native12_GLOBAL__N_110CustomProdEEEEE10hipError_tPvRmT0_T1_jT2_SQ_T4_T3_P12ihipStream_tbEUlT_E_NS1_11comp_targetILNS1_3genE10ELNS1_11target_archE1201ELNS1_3gpuE5ELNS1_3repE0EEENS1_30default_config_static_selectorELNS0_4arch9wavefront6targetE0EEEvSP_,@function
_ZN7rocprim17ROCPRIM_400000_NS6detail17trampoline_kernelINS0_14default_configENS1_32segmented_reduce_config_selectorIdEEZNS1_21segmented_reduce_implIS3_PKdPdPKidN6hipcub16HIPCUB_304000_NS6detail27convert_result_type_wrapperIS8_S9_N2at6native12_GLOBAL__N_110CustomProdEEEEE10hipError_tPvRmT0_T1_jT2_SQ_T4_T3_P12ihipStream_tbEUlT_E_NS1_11comp_targetILNS1_3genE10ELNS1_11target_archE1201ELNS1_3gpuE5ELNS1_3repE0EEENS1_30default_config_static_selectorELNS0_4arch9wavefront6targetE0EEEvSP_: ; @_ZN7rocprim17ROCPRIM_400000_NS6detail17trampoline_kernelINS0_14default_configENS1_32segmented_reduce_config_selectorIdEEZNS1_21segmented_reduce_implIS3_PKdPdPKidN6hipcub16HIPCUB_304000_NS6detail27convert_result_type_wrapperIS8_S9_N2at6native12_GLOBAL__N_110CustomProdEEEEE10hipError_tPvRmT0_T1_jT2_SQ_T4_T3_P12ihipStream_tbEUlT_E_NS1_11comp_targetILNS1_3genE10ELNS1_11target_archE1201ELNS1_3gpuE5ELNS1_3repE0EEENS1_30default_config_static_selectorELNS0_4arch9wavefront6targetE0EEEvSP_
; %bb.0:
	.section	.rodata,"a",@progbits
	.p2align	6, 0x0
	.amdhsa_kernel _ZN7rocprim17ROCPRIM_400000_NS6detail17trampoline_kernelINS0_14default_configENS1_32segmented_reduce_config_selectorIdEEZNS1_21segmented_reduce_implIS3_PKdPdPKidN6hipcub16HIPCUB_304000_NS6detail27convert_result_type_wrapperIS8_S9_N2at6native12_GLOBAL__N_110CustomProdEEEEE10hipError_tPvRmT0_T1_jT2_SQ_T4_T3_P12ihipStream_tbEUlT_E_NS1_11comp_targetILNS1_3genE10ELNS1_11target_archE1201ELNS1_3gpuE5ELNS1_3repE0EEENS1_30default_config_static_selectorELNS0_4arch9wavefront6targetE0EEEvSP_
		.amdhsa_group_segment_fixed_size 0
		.amdhsa_private_segment_fixed_size 0
		.amdhsa_kernarg_size 56
		.amdhsa_user_sgpr_count 2
		.amdhsa_user_sgpr_dispatch_ptr 0
		.amdhsa_user_sgpr_queue_ptr 0
		.amdhsa_user_sgpr_kernarg_segment_ptr 1
		.amdhsa_user_sgpr_dispatch_id 0
		.amdhsa_user_sgpr_kernarg_preload_length 0
		.amdhsa_user_sgpr_kernarg_preload_offset 0
		.amdhsa_user_sgpr_private_segment_size 0
		.amdhsa_wavefront_size32 1
		.amdhsa_uses_dynamic_stack 0
		.amdhsa_enable_private_segment 0
		.amdhsa_system_sgpr_workgroup_id_x 1
		.amdhsa_system_sgpr_workgroup_id_y 0
		.amdhsa_system_sgpr_workgroup_id_z 0
		.amdhsa_system_sgpr_workgroup_info 0
		.amdhsa_system_vgpr_workitem_id 0
		.amdhsa_next_free_vgpr 1
		.amdhsa_next_free_sgpr 1
		.amdhsa_named_barrier_count 0
		.amdhsa_reserve_vcc 0
		.amdhsa_float_round_mode_32 0
		.amdhsa_float_round_mode_16_64 0
		.amdhsa_float_denorm_mode_32 3
		.amdhsa_float_denorm_mode_16_64 3
		.amdhsa_fp16_overflow 0
		.amdhsa_memory_ordered 1
		.amdhsa_forward_progress 1
		.amdhsa_inst_pref_size 0
		.amdhsa_round_robin_scheduling 0
		.amdhsa_exception_fp_ieee_invalid_op 0
		.amdhsa_exception_fp_denorm_src 0
		.amdhsa_exception_fp_ieee_div_zero 0
		.amdhsa_exception_fp_ieee_overflow 0
		.amdhsa_exception_fp_ieee_underflow 0
		.amdhsa_exception_fp_ieee_inexact 0
		.amdhsa_exception_int_div_zero 0
	.end_amdhsa_kernel
	.section	.text._ZN7rocprim17ROCPRIM_400000_NS6detail17trampoline_kernelINS0_14default_configENS1_32segmented_reduce_config_selectorIdEEZNS1_21segmented_reduce_implIS3_PKdPdPKidN6hipcub16HIPCUB_304000_NS6detail27convert_result_type_wrapperIS8_S9_N2at6native12_GLOBAL__N_110CustomProdEEEEE10hipError_tPvRmT0_T1_jT2_SQ_T4_T3_P12ihipStream_tbEUlT_E_NS1_11comp_targetILNS1_3genE10ELNS1_11target_archE1201ELNS1_3gpuE5ELNS1_3repE0EEENS1_30default_config_static_selectorELNS0_4arch9wavefront6targetE0EEEvSP_,"axG",@progbits,_ZN7rocprim17ROCPRIM_400000_NS6detail17trampoline_kernelINS0_14default_configENS1_32segmented_reduce_config_selectorIdEEZNS1_21segmented_reduce_implIS3_PKdPdPKidN6hipcub16HIPCUB_304000_NS6detail27convert_result_type_wrapperIS8_S9_N2at6native12_GLOBAL__N_110CustomProdEEEEE10hipError_tPvRmT0_T1_jT2_SQ_T4_T3_P12ihipStream_tbEUlT_E_NS1_11comp_targetILNS1_3genE10ELNS1_11target_archE1201ELNS1_3gpuE5ELNS1_3repE0EEENS1_30default_config_static_selectorELNS0_4arch9wavefront6targetE0EEEvSP_,comdat
.Lfunc_end36:
	.size	_ZN7rocprim17ROCPRIM_400000_NS6detail17trampoline_kernelINS0_14default_configENS1_32segmented_reduce_config_selectorIdEEZNS1_21segmented_reduce_implIS3_PKdPdPKidN6hipcub16HIPCUB_304000_NS6detail27convert_result_type_wrapperIS8_S9_N2at6native12_GLOBAL__N_110CustomProdEEEEE10hipError_tPvRmT0_T1_jT2_SQ_T4_T3_P12ihipStream_tbEUlT_E_NS1_11comp_targetILNS1_3genE10ELNS1_11target_archE1201ELNS1_3gpuE5ELNS1_3repE0EEENS1_30default_config_static_selectorELNS0_4arch9wavefront6targetE0EEEvSP_, .Lfunc_end36-_ZN7rocprim17ROCPRIM_400000_NS6detail17trampoline_kernelINS0_14default_configENS1_32segmented_reduce_config_selectorIdEEZNS1_21segmented_reduce_implIS3_PKdPdPKidN6hipcub16HIPCUB_304000_NS6detail27convert_result_type_wrapperIS8_S9_N2at6native12_GLOBAL__N_110CustomProdEEEEE10hipError_tPvRmT0_T1_jT2_SQ_T4_T3_P12ihipStream_tbEUlT_E_NS1_11comp_targetILNS1_3genE10ELNS1_11target_archE1201ELNS1_3gpuE5ELNS1_3repE0EEENS1_30default_config_static_selectorELNS0_4arch9wavefront6targetE0EEEvSP_
                                        ; -- End function
	.set _ZN7rocprim17ROCPRIM_400000_NS6detail17trampoline_kernelINS0_14default_configENS1_32segmented_reduce_config_selectorIdEEZNS1_21segmented_reduce_implIS3_PKdPdPKidN6hipcub16HIPCUB_304000_NS6detail27convert_result_type_wrapperIS8_S9_N2at6native12_GLOBAL__N_110CustomProdEEEEE10hipError_tPvRmT0_T1_jT2_SQ_T4_T3_P12ihipStream_tbEUlT_E_NS1_11comp_targetILNS1_3genE10ELNS1_11target_archE1201ELNS1_3gpuE5ELNS1_3repE0EEENS1_30default_config_static_selectorELNS0_4arch9wavefront6targetE0EEEvSP_.num_vgpr, 0
	.set _ZN7rocprim17ROCPRIM_400000_NS6detail17trampoline_kernelINS0_14default_configENS1_32segmented_reduce_config_selectorIdEEZNS1_21segmented_reduce_implIS3_PKdPdPKidN6hipcub16HIPCUB_304000_NS6detail27convert_result_type_wrapperIS8_S9_N2at6native12_GLOBAL__N_110CustomProdEEEEE10hipError_tPvRmT0_T1_jT2_SQ_T4_T3_P12ihipStream_tbEUlT_E_NS1_11comp_targetILNS1_3genE10ELNS1_11target_archE1201ELNS1_3gpuE5ELNS1_3repE0EEENS1_30default_config_static_selectorELNS0_4arch9wavefront6targetE0EEEvSP_.num_agpr, 0
	.set _ZN7rocprim17ROCPRIM_400000_NS6detail17trampoline_kernelINS0_14default_configENS1_32segmented_reduce_config_selectorIdEEZNS1_21segmented_reduce_implIS3_PKdPdPKidN6hipcub16HIPCUB_304000_NS6detail27convert_result_type_wrapperIS8_S9_N2at6native12_GLOBAL__N_110CustomProdEEEEE10hipError_tPvRmT0_T1_jT2_SQ_T4_T3_P12ihipStream_tbEUlT_E_NS1_11comp_targetILNS1_3genE10ELNS1_11target_archE1201ELNS1_3gpuE5ELNS1_3repE0EEENS1_30default_config_static_selectorELNS0_4arch9wavefront6targetE0EEEvSP_.numbered_sgpr, 0
	.set _ZN7rocprim17ROCPRIM_400000_NS6detail17trampoline_kernelINS0_14default_configENS1_32segmented_reduce_config_selectorIdEEZNS1_21segmented_reduce_implIS3_PKdPdPKidN6hipcub16HIPCUB_304000_NS6detail27convert_result_type_wrapperIS8_S9_N2at6native12_GLOBAL__N_110CustomProdEEEEE10hipError_tPvRmT0_T1_jT2_SQ_T4_T3_P12ihipStream_tbEUlT_E_NS1_11comp_targetILNS1_3genE10ELNS1_11target_archE1201ELNS1_3gpuE5ELNS1_3repE0EEENS1_30default_config_static_selectorELNS0_4arch9wavefront6targetE0EEEvSP_.num_named_barrier, 0
	.set _ZN7rocprim17ROCPRIM_400000_NS6detail17trampoline_kernelINS0_14default_configENS1_32segmented_reduce_config_selectorIdEEZNS1_21segmented_reduce_implIS3_PKdPdPKidN6hipcub16HIPCUB_304000_NS6detail27convert_result_type_wrapperIS8_S9_N2at6native12_GLOBAL__N_110CustomProdEEEEE10hipError_tPvRmT0_T1_jT2_SQ_T4_T3_P12ihipStream_tbEUlT_E_NS1_11comp_targetILNS1_3genE10ELNS1_11target_archE1201ELNS1_3gpuE5ELNS1_3repE0EEENS1_30default_config_static_selectorELNS0_4arch9wavefront6targetE0EEEvSP_.private_seg_size, 0
	.set _ZN7rocprim17ROCPRIM_400000_NS6detail17trampoline_kernelINS0_14default_configENS1_32segmented_reduce_config_selectorIdEEZNS1_21segmented_reduce_implIS3_PKdPdPKidN6hipcub16HIPCUB_304000_NS6detail27convert_result_type_wrapperIS8_S9_N2at6native12_GLOBAL__N_110CustomProdEEEEE10hipError_tPvRmT0_T1_jT2_SQ_T4_T3_P12ihipStream_tbEUlT_E_NS1_11comp_targetILNS1_3genE10ELNS1_11target_archE1201ELNS1_3gpuE5ELNS1_3repE0EEENS1_30default_config_static_selectorELNS0_4arch9wavefront6targetE0EEEvSP_.uses_vcc, 0
	.set _ZN7rocprim17ROCPRIM_400000_NS6detail17trampoline_kernelINS0_14default_configENS1_32segmented_reduce_config_selectorIdEEZNS1_21segmented_reduce_implIS3_PKdPdPKidN6hipcub16HIPCUB_304000_NS6detail27convert_result_type_wrapperIS8_S9_N2at6native12_GLOBAL__N_110CustomProdEEEEE10hipError_tPvRmT0_T1_jT2_SQ_T4_T3_P12ihipStream_tbEUlT_E_NS1_11comp_targetILNS1_3genE10ELNS1_11target_archE1201ELNS1_3gpuE5ELNS1_3repE0EEENS1_30default_config_static_selectorELNS0_4arch9wavefront6targetE0EEEvSP_.uses_flat_scratch, 0
	.set _ZN7rocprim17ROCPRIM_400000_NS6detail17trampoline_kernelINS0_14default_configENS1_32segmented_reduce_config_selectorIdEEZNS1_21segmented_reduce_implIS3_PKdPdPKidN6hipcub16HIPCUB_304000_NS6detail27convert_result_type_wrapperIS8_S9_N2at6native12_GLOBAL__N_110CustomProdEEEEE10hipError_tPvRmT0_T1_jT2_SQ_T4_T3_P12ihipStream_tbEUlT_E_NS1_11comp_targetILNS1_3genE10ELNS1_11target_archE1201ELNS1_3gpuE5ELNS1_3repE0EEENS1_30default_config_static_selectorELNS0_4arch9wavefront6targetE0EEEvSP_.has_dyn_sized_stack, 0
	.set _ZN7rocprim17ROCPRIM_400000_NS6detail17trampoline_kernelINS0_14default_configENS1_32segmented_reduce_config_selectorIdEEZNS1_21segmented_reduce_implIS3_PKdPdPKidN6hipcub16HIPCUB_304000_NS6detail27convert_result_type_wrapperIS8_S9_N2at6native12_GLOBAL__N_110CustomProdEEEEE10hipError_tPvRmT0_T1_jT2_SQ_T4_T3_P12ihipStream_tbEUlT_E_NS1_11comp_targetILNS1_3genE10ELNS1_11target_archE1201ELNS1_3gpuE5ELNS1_3repE0EEENS1_30default_config_static_selectorELNS0_4arch9wavefront6targetE0EEEvSP_.has_recursion, 0
	.set _ZN7rocprim17ROCPRIM_400000_NS6detail17trampoline_kernelINS0_14default_configENS1_32segmented_reduce_config_selectorIdEEZNS1_21segmented_reduce_implIS3_PKdPdPKidN6hipcub16HIPCUB_304000_NS6detail27convert_result_type_wrapperIS8_S9_N2at6native12_GLOBAL__N_110CustomProdEEEEE10hipError_tPvRmT0_T1_jT2_SQ_T4_T3_P12ihipStream_tbEUlT_E_NS1_11comp_targetILNS1_3genE10ELNS1_11target_archE1201ELNS1_3gpuE5ELNS1_3repE0EEENS1_30default_config_static_selectorELNS0_4arch9wavefront6targetE0EEEvSP_.has_indirect_call, 0
	.section	.AMDGPU.csdata,"",@progbits
; Kernel info:
; codeLenInByte = 0
; TotalNumSgprs: 0
; NumVgprs: 0
; ScratchSize: 0
; MemoryBound: 0
; FloatMode: 240
; IeeeMode: 1
; LDSByteSize: 0 bytes/workgroup (compile time only)
; SGPRBlocks: 0
; VGPRBlocks: 0
; NumSGPRsForWavesPerEU: 1
; NumVGPRsForWavesPerEU: 1
; NamedBarCnt: 0
; Occupancy: 16
; WaveLimiterHint : 0
; COMPUTE_PGM_RSRC2:SCRATCH_EN: 0
; COMPUTE_PGM_RSRC2:USER_SGPR: 2
; COMPUTE_PGM_RSRC2:TRAP_HANDLER: 0
; COMPUTE_PGM_RSRC2:TGID_X_EN: 1
; COMPUTE_PGM_RSRC2:TGID_Y_EN: 0
; COMPUTE_PGM_RSRC2:TGID_Z_EN: 0
; COMPUTE_PGM_RSRC2:TIDIG_COMP_CNT: 0
	.section	.text._ZN7rocprim17ROCPRIM_400000_NS6detail17trampoline_kernelINS0_14default_configENS1_32segmented_reduce_config_selectorIdEEZNS1_21segmented_reduce_implIS3_PKdPdPKidN6hipcub16HIPCUB_304000_NS6detail27convert_result_type_wrapperIS8_S9_N2at6native12_GLOBAL__N_110CustomProdEEEEE10hipError_tPvRmT0_T1_jT2_SQ_T4_T3_P12ihipStream_tbEUlT_E_NS1_11comp_targetILNS1_3genE4ELNS1_11target_archE910ELNS1_3gpuE8ELNS1_3repE0EEENS1_30default_config_static_selectorELNS0_4arch9wavefront6targetE0EEEvSP_,"axG",@progbits,_ZN7rocprim17ROCPRIM_400000_NS6detail17trampoline_kernelINS0_14default_configENS1_32segmented_reduce_config_selectorIdEEZNS1_21segmented_reduce_implIS3_PKdPdPKidN6hipcub16HIPCUB_304000_NS6detail27convert_result_type_wrapperIS8_S9_N2at6native12_GLOBAL__N_110CustomProdEEEEE10hipError_tPvRmT0_T1_jT2_SQ_T4_T3_P12ihipStream_tbEUlT_E_NS1_11comp_targetILNS1_3genE4ELNS1_11target_archE910ELNS1_3gpuE8ELNS1_3repE0EEENS1_30default_config_static_selectorELNS0_4arch9wavefront6targetE0EEEvSP_,comdat
	.globl	_ZN7rocprim17ROCPRIM_400000_NS6detail17trampoline_kernelINS0_14default_configENS1_32segmented_reduce_config_selectorIdEEZNS1_21segmented_reduce_implIS3_PKdPdPKidN6hipcub16HIPCUB_304000_NS6detail27convert_result_type_wrapperIS8_S9_N2at6native12_GLOBAL__N_110CustomProdEEEEE10hipError_tPvRmT0_T1_jT2_SQ_T4_T3_P12ihipStream_tbEUlT_E_NS1_11comp_targetILNS1_3genE4ELNS1_11target_archE910ELNS1_3gpuE8ELNS1_3repE0EEENS1_30default_config_static_selectorELNS0_4arch9wavefront6targetE0EEEvSP_ ; -- Begin function _ZN7rocprim17ROCPRIM_400000_NS6detail17trampoline_kernelINS0_14default_configENS1_32segmented_reduce_config_selectorIdEEZNS1_21segmented_reduce_implIS3_PKdPdPKidN6hipcub16HIPCUB_304000_NS6detail27convert_result_type_wrapperIS8_S9_N2at6native12_GLOBAL__N_110CustomProdEEEEE10hipError_tPvRmT0_T1_jT2_SQ_T4_T3_P12ihipStream_tbEUlT_E_NS1_11comp_targetILNS1_3genE4ELNS1_11target_archE910ELNS1_3gpuE8ELNS1_3repE0EEENS1_30default_config_static_selectorELNS0_4arch9wavefront6targetE0EEEvSP_
	.p2align	8
	.type	_ZN7rocprim17ROCPRIM_400000_NS6detail17trampoline_kernelINS0_14default_configENS1_32segmented_reduce_config_selectorIdEEZNS1_21segmented_reduce_implIS3_PKdPdPKidN6hipcub16HIPCUB_304000_NS6detail27convert_result_type_wrapperIS8_S9_N2at6native12_GLOBAL__N_110CustomProdEEEEE10hipError_tPvRmT0_T1_jT2_SQ_T4_T3_P12ihipStream_tbEUlT_E_NS1_11comp_targetILNS1_3genE4ELNS1_11target_archE910ELNS1_3gpuE8ELNS1_3repE0EEENS1_30default_config_static_selectorELNS0_4arch9wavefront6targetE0EEEvSP_,@function
_ZN7rocprim17ROCPRIM_400000_NS6detail17trampoline_kernelINS0_14default_configENS1_32segmented_reduce_config_selectorIdEEZNS1_21segmented_reduce_implIS3_PKdPdPKidN6hipcub16HIPCUB_304000_NS6detail27convert_result_type_wrapperIS8_S9_N2at6native12_GLOBAL__N_110CustomProdEEEEE10hipError_tPvRmT0_T1_jT2_SQ_T4_T3_P12ihipStream_tbEUlT_E_NS1_11comp_targetILNS1_3genE4ELNS1_11target_archE910ELNS1_3gpuE8ELNS1_3repE0EEENS1_30default_config_static_selectorELNS0_4arch9wavefront6targetE0EEEvSP_: ; @_ZN7rocprim17ROCPRIM_400000_NS6detail17trampoline_kernelINS0_14default_configENS1_32segmented_reduce_config_selectorIdEEZNS1_21segmented_reduce_implIS3_PKdPdPKidN6hipcub16HIPCUB_304000_NS6detail27convert_result_type_wrapperIS8_S9_N2at6native12_GLOBAL__N_110CustomProdEEEEE10hipError_tPvRmT0_T1_jT2_SQ_T4_T3_P12ihipStream_tbEUlT_E_NS1_11comp_targetILNS1_3genE4ELNS1_11target_archE910ELNS1_3gpuE8ELNS1_3repE0EEENS1_30default_config_static_selectorELNS0_4arch9wavefront6targetE0EEEvSP_
; %bb.0:
	.section	.rodata,"a",@progbits
	.p2align	6, 0x0
	.amdhsa_kernel _ZN7rocprim17ROCPRIM_400000_NS6detail17trampoline_kernelINS0_14default_configENS1_32segmented_reduce_config_selectorIdEEZNS1_21segmented_reduce_implIS3_PKdPdPKidN6hipcub16HIPCUB_304000_NS6detail27convert_result_type_wrapperIS8_S9_N2at6native12_GLOBAL__N_110CustomProdEEEEE10hipError_tPvRmT0_T1_jT2_SQ_T4_T3_P12ihipStream_tbEUlT_E_NS1_11comp_targetILNS1_3genE4ELNS1_11target_archE910ELNS1_3gpuE8ELNS1_3repE0EEENS1_30default_config_static_selectorELNS0_4arch9wavefront6targetE0EEEvSP_
		.amdhsa_group_segment_fixed_size 0
		.amdhsa_private_segment_fixed_size 0
		.amdhsa_kernarg_size 56
		.amdhsa_user_sgpr_count 2
		.amdhsa_user_sgpr_dispatch_ptr 0
		.amdhsa_user_sgpr_queue_ptr 0
		.amdhsa_user_sgpr_kernarg_segment_ptr 1
		.amdhsa_user_sgpr_dispatch_id 0
		.amdhsa_user_sgpr_kernarg_preload_length 0
		.amdhsa_user_sgpr_kernarg_preload_offset 0
		.amdhsa_user_sgpr_private_segment_size 0
		.amdhsa_wavefront_size32 1
		.amdhsa_uses_dynamic_stack 0
		.amdhsa_enable_private_segment 0
		.amdhsa_system_sgpr_workgroup_id_x 1
		.amdhsa_system_sgpr_workgroup_id_y 0
		.amdhsa_system_sgpr_workgroup_id_z 0
		.amdhsa_system_sgpr_workgroup_info 0
		.amdhsa_system_vgpr_workitem_id 0
		.amdhsa_next_free_vgpr 1
		.amdhsa_next_free_sgpr 1
		.amdhsa_named_barrier_count 0
		.amdhsa_reserve_vcc 0
		.amdhsa_float_round_mode_32 0
		.amdhsa_float_round_mode_16_64 0
		.amdhsa_float_denorm_mode_32 3
		.amdhsa_float_denorm_mode_16_64 3
		.amdhsa_fp16_overflow 0
		.amdhsa_memory_ordered 1
		.amdhsa_forward_progress 1
		.amdhsa_inst_pref_size 0
		.amdhsa_round_robin_scheduling 0
		.amdhsa_exception_fp_ieee_invalid_op 0
		.amdhsa_exception_fp_denorm_src 0
		.amdhsa_exception_fp_ieee_div_zero 0
		.amdhsa_exception_fp_ieee_overflow 0
		.amdhsa_exception_fp_ieee_underflow 0
		.amdhsa_exception_fp_ieee_inexact 0
		.amdhsa_exception_int_div_zero 0
	.end_amdhsa_kernel
	.section	.text._ZN7rocprim17ROCPRIM_400000_NS6detail17trampoline_kernelINS0_14default_configENS1_32segmented_reduce_config_selectorIdEEZNS1_21segmented_reduce_implIS3_PKdPdPKidN6hipcub16HIPCUB_304000_NS6detail27convert_result_type_wrapperIS8_S9_N2at6native12_GLOBAL__N_110CustomProdEEEEE10hipError_tPvRmT0_T1_jT2_SQ_T4_T3_P12ihipStream_tbEUlT_E_NS1_11comp_targetILNS1_3genE4ELNS1_11target_archE910ELNS1_3gpuE8ELNS1_3repE0EEENS1_30default_config_static_selectorELNS0_4arch9wavefront6targetE0EEEvSP_,"axG",@progbits,_ZN7rocprim17ROCPRIM_400000_NS6detail17trampoline_kernelINS0_14default_configENS1_32segmented_reduce_config_selectorIdEEZNS1_21segmented_reduce_implIS3_PKdPdPKidN6hipcub16HIPCUB_304000_NS6detail27convert_result_type_wrapperIS8_S9_N2at6native12_GLOBAL__N_110CustomProdEEEEE10hipError_tPvRmT0_T1_jT2_SQ_T4_T3_P12ihipStream_tbEUlT_E_NS1_11comp_targetILNS1_3genE4ELNS1_11target_archE910ELNS1_3gpuE8ELNS1_3repE0EEENS1_30default_config_static_selectorELNS0_4arch9wavefront6targetE0EEEvSP_,comdat
.Lfunc_end37:
	.size	_ZN7rocprim17ROCPRIM_400000_NS6detail17trampoline_kernelINS0_14default_configENS1_32segmented_reduce_config_selectorIdEEZNS1_21segmented_reduce_implIS3_PKdPdPKidN6hipcub16HIPCUB_304000_NS6detail27convert_result_type_wrapperIS8_S9_N2at6native12_GLOBAL__N_110CustomProdEEEEE10hipError_tPvRmT0_T1_jT2_SQ_T4_T3_P12ihipStream_tbEUlT_E_NS1_11comp_targetILNS1_3genE4ELNS1_11target_archE910ELNS1_3gpuE8ELNS1_3repE0EEENS1_30default_config_static_selectorELNS0_4arch9wavefront6targetE0EEEvSP_, .Lfunc_end37-_ZN7rocprim17ROCPRIM_400000_NS6detail17trampoline_kernelINS0_14default_configENS1_32segmented_reduce_config_selectorIdEEZNS1_21segmented_reduce_implIS3_PKdPdPKidN6hipcub16HIPCUB_304000_NS6detail27convert_result_type_wrapperIS8_S9_N2at6native12_GLOBAL__N_110CustomProdEEEEE10hipError_tPvRmT0_T1_jT2_SQ_T4_T3_P12ihipStream_tbEUlT_E_NS1_11comp_targetILNS1_3genE4ELNS1_11target_archE910ELNS1_3gpuE8ELNS1_3repE0EEENS1_30default_config_static_selectorELNS0_4arch9wavefront6targetE0EEEvSP_
                                        ; -- End function
	.set _ZN7rocprim17ROCPRIM_400000_NS6detail17trampoline_kernelINS0_14default_configENS1_32segmented_reduce_config_selectorIdEEZNS1_21segmented_reduce_implIS3_PKdPdPKidN6hipcub16HIPCUB_304000_NS6detail27convert_result_type_wrapperIS8_S9_N2at6native12_GLOBAL__N_110CustomProdEEEEE10hipError_tPvRmT0_T1_jT2_SQ_T4_T3_P12ihipStream_tbEUlT_E_NS1_11comp_targetILNS1_3genE4ELNS1_11target_archE910ELNS1_3gpuE8ELNS1_3repE0EEENS1_30default_config_static_selectorELNS0_4arch9wavefront6targetE0EEEvSP_.num_vgpr, 0
	.set _ZN7rocprim17ROCPRIM_400000_NS6detail17trampoline_kernelINS0_14default_configENS1_32segmented_reduce_config_selectorIdEEZNS1_21segmented_reduce_implIS3_PKdPdPKidN6hipcub16HIPCUB_304000_NS6detail27convert_result_type_wrapperIS8_S9_N2at6native12_GLOBAL__N_110CustomProdEEEEE10hipError_tPvRmT0_T1_jT2_SQ_T4_T3_P12ihipStream_tbEUlT_E_NS1_11comp_targetILNS1_3genE4ELNS1_11target_archE910ELNS1_3gpuE8ELNS1_3repE0EEENS1_30default_config_static_selectorELNS0_4arch9wavefront6targetE0EEEvSP_.num_agpr, 0
	.set _ZN7rocprim17ROCPRIM_400000_NS6detail17trampoline_kernelINS0_14default_configENS1_32segmented_reduce_config_selectorIdEEZNS1_21segmented_reduce_implIS3_PKdPdPKidN6hipcub16HIPCUB_304000_NS6detail27convert_result_type_wrapperIS8_S9_N2at6native12_GLOBAL__N_110CustomProdEEEEE10hipError_tPvRmT0_T1_jT2_SQ_T4_T3_P12ihipStream_tbEUlT_E_NS1_11comp_targetILNS1_3genE4ELNS1_11target_archE910ELNS1_3gpuE8ELNS1_3repE0EEENS1_30default_config_static_selectorELNS0_4arch9wavefront6targetE0EEEvSP_.numbered_sgpr, 0
	.set _ZN7rocprim17ROCPRIM_400000_NS6detail17trampoline_kernelINS0_14default_configENS1_32segmented_reduce_config_selectorIdEEZNS1_21segmented_reduce_implIS3_PKdPdPKidN6hipcub16HIPCUB_304000_NS6detail27convert_result_type_wrapperIS8_S9_N2at6native12_GLOBAL__N_110CustomProdEEEEE10hipError_tPvRmT0_T1_jT2_SQ_T4_T3_P12ihipStream_tbEUlT_E_NS1_11comp_targetILNS1_3genE4ELNS1_11target_archE910ELNS1_3gpuE8ELNS1_3repE0EEENS1_30default_config_static_selectorELNS0_4arch9wavefront6targetE0EEEvSP_.num_named_barrier, 0
	.set _ZN7rocprim17ROCPRIM_400000_NS6detail17trampoline_kernelINS0_14default_configENS1_32segmented_reduce_config_selectorIdEEZNS1_21segmented_reduce_implIS3_PKdPdPKidN6hipcub16HIPCUB_304000_NS6detail27convert_result_type_wrapperIS8_S9_N2at6native12_GLOBAL__N_110CustomProdEEEEE10hipError_tPvRmT0_T1_jT2_SQ_T4_T3_P12ihipStream_tbEUlT_E_NS1_11comp_targetILNS1_3genE4ELNS1_11target_archE910ELNS1_3gpuE8ELNS1_3repE0EEENS1_30default_config_static_selectorELNS0_4arch9wavefront6targetE0EEEvSP_.private_seg_size, 0
	.set _ZN7rocprim17ROCPRIM_400000_NS6detail17trampoline_kernelINS0_14default_configENS1_32segmented_reduce_config_selectorIdEEZNS1_21segmented_reduce_implIS3_PKdPdPKidN6hipcub16HIPCUB_304000_NS6detail27convert_result_type_wrapperIS8_S9_N2at6native12_GLOBAL__N_110CustomProdEEEEE10hipError_tPvRmT0_T1_jT2_SQ_T4_T3_P12ihipStream_tbEUlT_E_NS1_11comp_targetILNS1_3genE4ELNS1_11target_archE910ELNS1_3gpuE8ELNS1_3repE0EEENS1_30default_config_static_selectorELNS0_4arch9wavefront6targetE0EEEvSP_.uses_vcc, 0
	.set _ZN7rocprim17ROCPRIM_400000_NS6detail17trampoline_kernelINS0_14default_configENS1_32segmented_reduce_config_selectorIdEEZNS1_21segmented_reduce_implIS3_PKdPdPKidN6hipcub16HIPCUB_304000_NS6detail27convert_result_type_wrapperIS8_S9_N2at6native12_GLOBAL__N_110CustomProdEEEEE10hipError_tPvRmT0_T1_jT2_SQ_T4_T3_P12ihipStream_tbEUlT_E_NS1_11comp_targetILNS1_3genE4ELNS1_11target_archE910ELNS1_3gpuE8ELNS1_3repE0EEENS1_30default_config_static_selectorELNS0_4arch9wavefront6targetE0EEEvSP_.uses_flat_scratch, 0
	.set _ZN7rocprim17ROCPRIM_400000_NS6detail17trampoline_kernelINS0_14default_configENS1_32segmented_reduce_config_selectorIdEEZNS1_21segmented_reduce_implIS3_PKdPdPKidN6hipcub16HIPCUB_304000_NS6detail27convert_result_type_wrapperIS8_S9_N2at6native12_GLOBAL__N_110CustomProdEEEEE10hipError_tPvRmT0_T1_jT2_SQ_T4_T3_P12ihipStream_tbEUlT_E_NS1_11comp_targetILNS1_3genE4ELNS1_11target_archE910ELNS1_3gpuE8ELNS1_3repE0EEENS1_30default_config_static_selectorELNS0_4arch9wavefront6targetE0EEEvSP_.has_dyn_sized_stack, 0
	.set _ZN7rocprim17ROCPRIM_400000_NS6detail17trampoline_kernelINS0_14default_configENS1_32segmented_reduce_config_selectorIdEEZNS1_21segmented_reduce_implIS3_PKdPdPKidN6hipcub16HIPCUB_304000_NS6detail27convert_result_type_wrapperIS8_S9_N2at6native12_GLOBAL__N_110CustomProdEEEEE10hipError_tPvRmT0_T1_jT2_SQ_T4_T3_P12ihipStream_tbEUlT_E_NS1_11comp_targetILNS1_3genE4ELNS1_11target_archE910ELNS1_3gpuE8ELNS1_3repE0EEENS1_30default_config_static_selectorELNS0_4arch9wavefront6targetE0EEEvSP_.has_recursion, 0
	.set _ZN7rocprim17ROCPRIM_400000_NS6detail17trampoline_kernelINS0_14default_configENS1_32segmented_reduce_config_selectorIdEEZNS1_21segmented_reduce_implIS3_PKdPdPKidN6hipcub16HIPCUB_304000_NS6detail27convert_result_type_wrapperIS8_S9_N2at6native12_GLOBAL__N_110CustomProdEEEEE10hipError_tPvRmT0_T1_jT2_SQ_T4_T3_P12ihipStream_tbEUlT_E_NS1_11comp_targetILNS1_3genE4ELNS1_11target_archE910ELNS1_3gpuE8ELNS1_3repE0EEENS1_30default_config_static_selectorELNS0_4arch9wavefront6targetE0EEEvSP_.has_indirect_call, 0
	.section	.AMDGPU.csdata,"",@progbits
; Kernel info:
; codeLenInByte = 0
; TotalNumSgprs: 0
; NumVgprs: 0
; ScratchSize: 0
; MemoryBound: 0
; FloatMode: 240
; IeeeMode: 1
; LDSByteSize: 0 bytes/workgroup (compile time only)
; SGPRBlocks: 0
; VGPRBlocks: 0
; NumSGPRsForWavesPerEU: 1
; NumVGPRsForWavesPerEU: 1
; NamedBarCnt: 0
; Occupancy: 16
; WaveLimiterHint : 0
; COMPUTE_PGM_RSRC2:SCRATCH_EN: 0
; COMPUTE_PGM_RSRC2:USER_SGPR: 2
; COMPUTE_PGM_RSRC2:TRAP_HANDLER: 0
; COMPUTE_PGM_RSRC2:TGID_X_EN: 1
; COMPUTE_PGM_RSRC2:TGID_Y_EN: 0
; COMPUTE_PGM_RSRC2:TGID_Z_EN: 0
; COMPUTE_PGM_RSRC2:TIDIG_COMP_CNT: 0
	.section	.text._ZN7rocprim17ROCPRIM_400000_NS6detail17trampoline_kernelINS0_14default_configENS1_32segmented_reduce_config_selectorIdEEZNS1_21segmented_reduce_implIS3_PKdPdPKidN6hipcub16HIPCUB_304000_NS6detail27convert_result_type_wrapperIS8_S9_N2at6native12_GLOBAL__N_110CustomProdEEEEE10hipError_tPvRmT0_T1_jT2_SQ_T4_T3_P12ihipStream_tbEUlT_E_NS1_11comp_targetILNS1_3genE3ELNS1_11target_archE908ELNS1_3gpuE7ELNS1_3repE0EEENS1_30default_config_static_selectorELNS0_4arch9wavefront6targetE0EEEvSP_,"axG",@progbits,_ZN7rocprim17ROCPRIM_400000_NS6detail17trampoline_kernelINS0_14default_configENS1_32segmented_reduce_config_selectorIdEEZNS1_21segmented_reduce_implIS3_PKdPdPKidN6hipcub16HIPCUB_304000_NS6detail27convert_result_type_wrapperIS8_S9_N2at6native12_GLOBAL__N_110CustomProdEEEEE10hipError_tPvRmT0_T1_jT2_SQ_T4_T3_P12ihipStream_tbEUlT_E_NS1_11comp_targetILNS1_3genE3ELNS1_11target_archE908ELNS1_3gpuE7ELNS1_3repE0EEENS1_30default_config_static_selectorELNS0_4arch9wavefront6targetE0EEEvSP_,comdat
	.globl	_ZN7rocprim17ROCPRIM_400000_NS6detail17trampoline_kernelINS0_14default_configENS1_32segmented_reduce_config_selectorIdEEZNS1_21segmented_reduce_implIS3_PKdPdPKidN6hipcub16HIPCUB_304000_NS6detail27convert_result_type_wrapperIS8_S9_N2at6native12_GLOBAL__N_110CustomProdEEEEE10hipError_tPvRmT0_T1_jT2_SQ_T4_T3_P12ihipStream_tbEUlT_E_NS1_11comp_targetILNS1_3genE3ELNS1_11target_archE908ELNS1_3gpuE7ELNS1_3repE0EEENS1_30default_config_static_selectorELNS0_4arch9wavefront6targetE0EEEvSP_ ; -- Begin function _ZN7rocprim17ROCPRIM_400000_NS6detail17trampoline_kernelINS0_14default_configENS1_32segmented_reduce_config_selectorIdEEZNS1_21segmented_reduce_implIS3_PKdPdPKidN6hipcub16HIPCUB_304000_NS6detail27convert_result_type_wrapperIS8_S9_N2at6native12_GLOBAL__N_110CustomProdEEEEE10hipError_tPvRmT0_T1_jT2_SQ_T4_T3_P12ihipStream_tbEUlT_E_NS1_11comp_targetILNS1_3genE3ELNS1_11target_archE908ELNS1_3gpuE7ELNS1_3repE0EEENS1_30default_config_static_selectorELNS0_4arch9wavefront6targetE0EEEvSP_
	.p2align	8
	.type	_ZN7rocprim17ROCPRIM_400000_NS6detail17trampoline_kernelINS0_14default_configENS1_32segmented_reduce_config_selectorIdEEZNS1_21segmented_reduce_implIS3_PKdPdPKidN6hipcub16HIPCUB_304000_NS6detail27convert_result_type_wrapperIS8_S9_N2at6native12_GLOBAL__N_110CustomProdEEEEE10hipError_tPvRmT0_T1_jT2_SQ_T4_T3_P12ihipStream_tbEUlT_E_NS1_11comp_targetILNS1_3genE3ELNS1_11target_archE908ELNS1_3gpuE7ELNS1_3repE0EEENS1_30default_config_static_selectorELNS0_4arch9wavefront6targetE0EEEvSP_,@function
_ZN7rocprim17ROCPRIM_400000_NS6detail17trampoline_kernelINS0_14default_configENS1_32segmented_reduce_config_selectorIdEEZNS1_21segmented_reduce_implIS3_PKdPdPKidN6hipcub16HIPCUB_304000_NS6detail27convert_result_type_wrapperIS8_S9_N2at6native12_GLOBAL__N_110CustomProdEEEEE10hipError_tPvRmT0_T1_jT2_SQ_T4_T3_P12ihipStream_tbEUlT_E_NS1_11comp_targetILNS1_3genE3ELNS1_11target_archE908ELNS1_3gpuE7ELNS1_3repE0EEENS1_30default_config_static_selectorELNS0_4arch9wavefront6targetE0EEEvSP_: ; @_ZN7rocprim17ROCPRIM_400000_NS6detail17trampoline_kernelINS0_14default_configENS1_32segmented_reduce_config_selectorIdEEZNS1_21segmented_reduce_implIS3_PKdPdPKidN6hipcub16HIPCUB_304000_NS6detail27convert_result_type_wrapperIS8_S9_N2at6native12_GLOBAL__N_110CustomProdEEEEE10hipError_tPvRmT0_T1_jT2_SQ_T4_T3_P12ihipStream_tbEUlT_E_NS1_11comp_targetILNS1_3genE3ELNS1_11target_archE908ELNS1_3gpuE7ELNS1_3repE0EEENS1_30default_config_static_selectorELNS0_4arch9wavefront6targetE0EEEvSP_
; %bb.0:
	.section	.rodata,"a",@progbits
	.p2align	6, 0x0
	.amdhsa_kernel _ZN7rocprim17ROCPRIM_400000_NS6detail17trampoline_kernelINS0_14default_configENS1_32segmented_reduce_config_selectorIdEEZNS1_21segmented_reduce_implIS3_PKdPdPKidN6hipcub16HIPCUB_304000_NS6detail27convert_result_type_wrapperIS8_S9_N2at6native12_GLOBAL__N_110CustomProdEEEEE10hipError_tPvRmT0_T1_jT2_SQ_T4_T3_P12ihipStream_tbEUlT_E_NS1_11comp_targetILNS1_3genE3ELNS1_11target_archE908ELNS1_3gpuE7ELNS1_3repE0EEENS1_30default_config_static_selectorELNS0_4arch9wavefront6targetE0EEEvSP_
		.amdhsa_group_segment_fixed_size 0
		.amdhsa_private_segment_fixed_size 0
		.amdhsa_kernarg_size 56
		.amdhsa_user_sgpr_count 2
		.amdhsa_user_sgpr_dispatch_ptr 0
		.amdhsa_user_sgpr_queue_ptr 0
		.amdhsa_user_sgpr_kernarg_segment_ptr 1
		.amdhsa_user_sgpr_dispatch_id 0
		.amdhsa_user_sgpr_kernarg_preload_length 0
		.amdhsa_user_sgpr_kernarg_preload_offset 0
		.amdhsa_user_sgpr_private_segment_size 0
		.amdhsa_wavefront_size32 1
		.amdhsa_uses_dynamic_stack 0
		.amdhsa_enable_private_segment 0
		.amdhsa_system_sgpr_workgroup_id_x 1
		.amdhsa_system_sgpr_workgroup_id_y 0
		.amdhsa_system_sgpr_workgroup_id_z 0
		.amdhsa_system_sgpr_workgroup_info 0
		.amdhsa_system_vgpr_workitem_id 0
		.amdhsa_next_free_vgpr 1
		.amdhsa_next_free_sgpr 1
		.amdhsa_named_barrier_count 0
		.amdhsa_reserve_vcc 0
		.amdhsa_float_round_mode_32 0
		.amdhsa_float_round_mode_16_64 0
		.amdhsa_float_denorm_mode_32 3
		.amdhsa_float_denorm_mode_16_64 3
		.amdhsa_fp16_overflow 0
		.amdhsa_memory_ordered 1
		.amdhsa_forward_progress 1
		.amdhsa_inst_pref_size 0
		.amdhsa_round_robin_scheduling 0
		.amdhsa_exception_fp_ieee_invalid_op 0
		.amdhsa_exception_fp_denorm_src 0
		.amdhsa_exception_fp_ieee_div_zero 0
		.amdhsa_exception_fp_ieee_overflow 0
		.amdhsa_exception_fp_ieee_underflow 0
		.amdhsa_exception_fp_ieee_inexact 0
		.amdhsa_exception_int_div_zero 0
	.end_amdhsa_kernel
	.section	.text._ZN7rocprim17ROCPRIM_400000_NS6detail17trampoline_kernelINS0_14default_configENS1_32segmented_reduce_config_selectorIdEEZNS1_21segmented_reduce_implIS3_PKdPdPKidN6hipcub16HIPCUB_304000_NS6detail27convert_result_type_wrapperIS8_S9_N2at6native12_GLOBAL__N_110CustomProdEEEEE10hipError_tPvRmT0_T1_jT2_SQ_T4_T3_P12ihipStream_tbEUlT_E_NS1_11comp_targetILNS1_3genE3ELNS1_11target_archE908ELNS1_3gpuE7ELNS1_3repE0EEENS1_30default_config_static_selectorELNS0_4arch9wavefront6targetE0EEEvSP_,"axG",@progbits,_ZN7rocprim17ROCPRIM_400000_NS6detail17trampoline_kernelINS0_14default_configENS1_32segmented_reduce_config_selectorIdEEZNS1_21segmented_reduce_implIS3_PKdPdPKidN6hipcub16HIPCUB_304000_NS6detail27convert_result_type_wrapperIS8_S9_N2at6native12_GLOBAL__N_110CustomProdEEEEE10hipError_tPvRmT0_T1_jT2_SQ_T4_T3_P12ihipStream_tbEUlT_E_NS1_11comp_targetILNS1_3genE3ELNS1_11target_archE908ELNS1_3gpuE7ELNS1_3repE0EEENS1_30default_config_static_selectorELNS0_4arch9wavefront6targetE0EEEvSP_,comdat
.Lfunc_end38:
	.size	_ZN7rocprim17ROCPRIM_400000_NS6detail17trampoline_kernelINS0_14default_configENS1_32segmented_reduce_config_selectorIdEEZNS1_21segmented_reduce_implIS3_PKdPdPKidN6hipcub16HIPCUB_304000_NS6detail27convert_result_type_wrapperIS8_S9_N2at6native12_GLOBAL__N_110CustomProdEEEEE10hipError_tPvRmT0_T1_jT2_SQ_T4_T3_P12ihipStream_tbEUlT_E_NS1_11comp_targetILNS1_3genE3ELNS1_11target_archE908ELNS1_3gpuE7ELNS1_3repE0EEENS1_30default_config_static_selectorELNS0_4arch9wavefront6targetE0EEEvSP_, .Lfunc_end38-_ZN7rocprim17ROCPRIM_400000_NS6detail17trampoline_kernelINS0_14default_configENS1_32segmented_reduce_config_selectorIdEEZNS1_21segmented_reduce_implIS3_PKdPdPKidN6hipcub16HIPCUB_304000_NS6detail27convert_result_type_wrapperIS8_S9_N2at6native12_GLOBAL__N_110CustomProdEEEEE10hipError_tPvRmT0_T1_jT2_SQ_T4_T3_P12ihipStream_tbEUlT_E_NS1_11comp_targetILNS1_3genE3ELNS1_11target_archE908ELNS1_3gpuE7ELNS1_3repE0EEENS1_30default_config_static_selectorELNS0_4arch9wavefront6targetE0EEEvSP_
                                        ; -- End function
	.set _ZN7rocprim17ROCPRIM_400000_NS6detail17trampoline_kernelINS0_14default_configENS1_32segmented_reduce_config_selectorIdEEZNS1_21segmented_reduce_implIS3_PKdPdPKidN6hipcub16HIPCUB_304000_NS6detail27convert_result_type_wrapperIS8_S9_N2at6native12_GLOBAL__N_110CustomProdEEEEE10hipError_tPvRmT0_T1_jT2_SQ_T4_T3_P12ihipStream_tbEUlT_E_NS1_11comp_targetILNS1_3genE3ELNS1_11target_archE908ELNS1_3gpuE7ELNS1_3repE0EEENS1_30default_config_static_selectorELNS0_4arch9wavefront6targetE0EEEvSP_.num_vgpr, 0
	.set _ZN7rocprim17ROCPRIM_400000_NS6detail17trampoline_kernelINS0_14default_configENS1_32segmented_reduce_config_selectorIdEEZNS1_21segmented_reduce_implIS3_PKdPdPKidN6hipcub16HIPCUB_304000_NS6detail27convert_result_type_wrapperIS8_S9_N2at6native12_GLOBAL__N_110CustomProdEEEEE10hipError_tPvRmT0_T1_jT2_SQ_T4_T3_P12ihipStream_tbEUlT_E_NS1_11comp_targetILNS1_3genE3ELNS1_11target_archE908ELNS1_3gpuE7ELNS1_3repE0EEENS1_30default_config_static_selectorELNS0_4arch9wavefront6targetE0EEEvSP_.num_agpr, 0
	.set _ZN7rocprim17ROCPRIM_400000_NS6detail17trampoline_kernelINS0_14default_configENS1_32segmented_reduce_config_selectorIdEEZNS1_21segmented_reduce_implIS3_PKdPdPKidN6hipcub16HIPCUB_304000_NS6detail27convert_result_type_wrapperIS8_S9_N2at6native12_GLOBAL__N_110CustomProdEEEEE10hipError_tPvRmT0_T1_jT2_SQ_T4_T3_P12ihipStream_tbEUlT_E_NS1_11comp_targetILNS1_3genE3ELNS1_11target_archE908ELNS1_3gpuE7ELNS1_3repE0EEENS1_30default_config_static_selectorELNS0_4arch9wavefront6targetE0EEEvSP_.numbered_sgpr, 0
	.set _ZN7rocprim17ROCPRIM_400000_NS6detail17trampoline_kernelINS0_14default_configENS1_32segmented_reduce_config_selectorIdEEZNS1_21segmented_reduce_implIS3_PKdPdPKidN6hipcub16HIPCUB_304000_NS6detail27convert_result_type_wrapperIS8_S9_N2at6native12_GLOBAL__N_110CustomProdEEEEE10hipError_tPvRmT0_T1_jT2_SQ_T4_T3_P12ihipStream_tbEUlT_E_NS1_11comp_targetILNS1_3genE3ELNS1_11target_archE908ELNS1_3gpuE7ELNS1_3repE0EEENS1_30default_config_static_selectorELNS0_4arch9wavefront6targetE0EEEvSP_.num_named_barrier, 0
	.set _ZN7rocprim17ROCPRIM_400000_NS6detail17trampoline_kernelINS0_14default_configENS1_32segmented_reduce_config_selectorIdEEZNS1_21segmented_reduce_implIS3_PKdPdPKidN6hipcub16HIPCUB_304000_NS6detail27convert_result_type_wrapperIS8_S9_N2at6native12_GLOBAL__N_110CustomProdEEEEE10hipError_tPvRmT0_T1_jT2_SQ_T4_T3_P12ihipStream_tbEUlT_E_NS1_11comp_targetILNS1_3genE3ELNS1_11target_archE908ELNS1_3gpuE7ELNS1_3repE0EEENS1_30default_config_static_selectorELNS0_4arch9wavefront6targetE0EEEvSP_.private_seg_size, 0
	.set _ZN7rocprim17ROCPRIM_400000_NS6detail17trampoline_kernelINS0_14default_configENS1_32segmented_reduce_config_selectorIdEEZNS1_21segmented_reduce_implIS3_PKdPdPKidN6hipcub16HIPCUB_304000_NS6detail27convert_result_type_wrapperIS8_S9_N2at6native12_GLOBAL__N_110CustomProdEEEEE10hipError_tPvRmT0_T1_jT2_SQ_T4_T3_P12ihipStream_tbEUlT_E_NS1_11comp_targetILNS1_3genE3ELNS1_11target_archE908ELNS1_3gpuE7ELNS1_3repE0EEENS1_30default_config_static_selectorELNS0_4arch9wavefront6targetE0EEEvSP_.uses_vcc, 0
	.set _ZN7rocprim17ROCPRIM_400000_NS6detail17trampoline_kernelINS0_14default_configENS1_32segmented_reduce_config_selectorIdEEZNS1_21segmented_reduce_implIS3_PKdPdPKidN6hipcub16HIPCUB_304000_NS6detail27convert_result_type_wrapperIS8_S9_N2at6native12_GLOBAL__N_110CustomProdEEEEE10hipError_tPvRmT0_T1_jT2_SQ_T4_T3_P12ihipStream_tbEUlT_E_NS1_11comp_targetILNS1_3genE3ELNS1_11target_archE908ELNS1_3gpuE7ELNS1_3repE0EEENS1_30default_config_static_selectorELNS0_4arch9wavefront6targetE0EEEvSP_.uses_flat_scratch, 0
	.set _ZN7rocprim17ROCPRIM_400000_NS6detail17trampoline_kernelINS0_14default_configENS1_32segmented_reduce_config_selectorIdEEZNS1_21segmented_reduce_implIS3_PKdPdPKidN6hipcub16HIPCUB_304000_NS6detail27convert_result_type_wrapperIS8_S9_N2at6native12_GLOBAL__N_110CustomProdEEEEE10hipError_tPvRmT0_T1_jT2_SQ_T4_T3_P12ihipStream_tbEUlT_E_NS1_11comp_targetILNS1_3genE3ELNS1_11target_archE908ELNS1_3gpuE7ELNS1_3repE0EEENS1_30default_config_static_selectorELNS0_4arch9wavefront6targetE0EEEvSP_.has_dyn_sized_stack, 0
	.set _ZN7rocprim17ROCPRIM_400000_NS6detail17trampoline_kernelINS0_14default_configENS1_32segmented_reduce_config_selectorIdEEZNS1_21segmented_reduce_implIS3_PKdPdPKidN6hipcub16HIPCUB_304000_NS6detail27convert_result_type_wrapperIS8_S9_N2at6native12_GLOBAL__N_110CustomProdEEEEE10hipError_tPvRmT0_T1_jT2_SQ_T4_T3_P12ihipStream_tbEUlT_E_NS1_11comp_targetILNS1_3genE3ELNS1_11target_archE908ELNS1_3gpuE7ELNS1_3repE0EEENS1_30default_config_static_selectorELNS0_4arch9wavefront6targetE0EEEvSP_.has_recursion, 0
	.set _ZN7rocprim17ROCPRIM_400000_NS6detail17trampoline_kernelINS0_14default_configENS1_32segmented_reduce_config_selectorIdEEZNS1_21segmented_reduce_implIS3_PKdPdPKidN6hipcub16HIPCUB_304000_NS6detail27convert_result_type_wrapperIS8_S9_N2at6native12_GLOBAL__N_110CustomProdEEEEE10hipError_tPvRmT0_T1_jT2_SQ_T4_T3_P12ihipStream_tbEUlT_E_NS1_11comp_targetILNS1_3genE3ELNS1_11target_archE908ELNS1_3gpuE7ELNS1_3repE0EEENS1_30default_config_static_selectorELNS0_4arch9wavefront6targetE0EEEvSP_.has_indirect_call, 0
	.section	.AMDGPU.csdata,"",@progbits
; Kernel info:
; codeLenInByte = 0
; TotalNumSgprs: 0
; NumVgprs: 0
; ScratchSize: 0
; MemoryBound: 0
; FloatMode: 240
; IeeeMode: 1
; LDSByteSize: 0 bytes/workgroup (compile time only)
; SGPRBlocks: 0
; VGPRBlocks: 0
; NumSGPRsForWavesPerEU: 1
; NumVGPRsForWavesPerEU: 1
; NamedBarCnt: 0
; Occupancy: 16
; WaveLimiterHint : 0
; COMPUTE_PGM_RSRC2:SCRATCH_EN: 0
; COMPUTE_PGM_RSRC2:USER_SGPR: 2
; COMPUTE_PGM_RSRC2:TRAP_HANDLER: 0
; COMPUTE_PGM_RSRC2:TGID_X_EN: 1
; COMPUTE_PGM_RSRC2:TGID_Y_EN: 0
; COMPUTE_PGM_RSRC2:TGID_Z_EN: 0
; COMPUTE_PGM_RSRC2:TIDIG_COMP_CNT: 0
	.section	.text._ZN7rocprim17ROCPRIM_400000_NS6detail17trampoline_kernelINS0_14default_configENS1_32segmented_reduce_config_selectorIdEEZNS1_21segmented_reduce_implIS3_PKdPdPKidN6hipcub16HIPCUB_304000_NS6detail27convert_result_type_wrapperIS8_S9_N2at6native12_GLOBAL__N_110CustomProdEEEEE10hipError_tPvRmT0_T1_jT2_SQ_T4_T3_P12ihipStream_tbEUlT_E_NS1_11comp_targetILNS1_3genE2ELNS1_11target_archE906ELNS1_3gpuE6ELNS1_3repE0EEENS1_30default_config_static_selectorELNS0_4arch9wavefront6targetE0EEEvSP_,"axG",@progbits,_ZN7rocprim17ROCPRIM_400000_NS6detail17trampoline_kernelINS0_14default_configENS1_32segmented_reduce_config_selectorIdEEZNS1_21segmented_reduce_implIS3_PKdPdPKidN6hipcub16HIPCUB_304000_NS6detail27convert_result_type_wrapperIS8_S9_N2at6native12_GLOBAL__N_110CustomProdEEEEE10hipError_tPvRmT0_T1_jT2_SQ_T4_T3_P12ihipStream_tbEUlT_E_NS1_11comp_targetILNS1_3genE2ELNS1_11target_archE906ELNS1_3gpuE6ELNS1_3repE0EEENS1_30default_config_static_selectorELNS0_4arch9wavefront6targetE0EEEvSP_,comdat
	.globl	_ZN7rocprim17ROCPRIM_400000_NS6detail17trampoline_kernelINS0_14default_configENS1_32segmented_reduce_config_selectorIdEEZNS1_21segmented_reduce_implIS3_PKdPdPKidN6hipcub16HIPCUB_304000_NS6detail27convert_result_type_wrapperIS8_S9_N2at6native12_GLOBAL__N_110CustomProdEEEEE10hipError_tPvRmT0_T1_jT2_SQ_T4_T3_P12ihipStream_tbEUlT_E_NS1_11comp_targetILNS1_3genE2ELNS1_11target_archE906ELNS1_3gpuE6ELNS1_3repE0EEENS1_30default_config_static_selectorELNS0_4arch9wavefront6targetE0EEEvSP_ ; -- Begin function _ZN7rocprim17ROCPRIM_400000_NS6detail17trampoline_kernelINS0_14default_configENS1_32segmented_reduce_config_selectorIdEEZNS1_21segmented_reduce_implIS3_PKdPdPKidN6hipcub16HIPCUB_304000_NS6detail27convert_result_type_wrapperIS8_S9_N2at6native12_GLOBAL__N_110CustomProdEEEEE10hipError_tPvRmT0_T1_jT2_SQ_T4_T3_P12ihipStream_tbEUlT_E_NS1_11comp_targetILNS1_3genE2ELNS1_11target_archE906ELNS1_3gpuE6ELNS1_3repE0EEENS1_30default_config_static_selectorELNS0_4arch9wavefront6targetE0EEEvSP_
	.p2align	8
	.type	_ZN7rocprim17ROCPRIM_400000_NS6detail17trampoline_kernelINS0_14default_configENS1_32segmented_reduce_config_selectorIdEEZNS1_21segmented_reduce_implIS3_PKdPdPKidN6hipcub16HIPCUB_304000_NS6detail27convert_result_type_wrapperIS8_S9_N2at6native12_GLOBAL__N_110CustomProdEEEEE10hipError_tPvRmT0_T1_jT2_SQ_T4_T3_P12ihipStream_tbEUlT_E_NS1_11comp_targetILNS1_3genE2ELNS1_11target_archE906ELNS1_3gpuE6ELNS1_3repE0EEENS1_30default_config_static_selectorELNS0_4arch9wavefront6targetE0EEEvSP_,@function
_ZN7rocprim17ROCPRIM_400000_NS6detail17trampoline_kernelINS0_14default_configENS1_32segmented_reduce_config_selectorIdEEZNS1_21segmented_reduce_implIS3_PKdPdPKidN6hipcub16HIPCUB_304000_NS6detail27convert_result_type_wrapperIS8_S9_N2at6native12_GLOBAL__N_110CustomProdEEEEE10hipError_tPvRmT0_T1_jT2_SQ_T4_T3_P12ihipStream_tbEUlT_E_NS1_11comp_targetILNS1_3genE2ELNS1_11target_archE906ELNS1_3gpuE6ELNS1_3repE0EEENS1_30default_config_static_selectorELNS0_4arch9wavefront6targetE0EEEvSP_: ; @_ZN7rocprim17ROCPRIM_400000_NS6detail17trampoline_kernelINS0_14default_configENS1_32segmented_reduce_config_selectorIdEEZNS1_21segmented_reduce_implIS3_PKdPdPKidN6hipcub16HIPCUB_304000_NS6detail27convert_result_type_wrapperIS8_S9_N2at6native12_GLOBAL__N_110CustomProdEEEEE10hipError_tPvRmT0_T1_jT2_SQ_T4_T3_P12ihipStream_tbEUlT_E_NS1_11comp_targetILNS1_3genE2ELNS1_11target_archE906ELNS1_3gpuE6ELNS1_3repE0EEENS1_30default_config_static_selectorELNS0_4arch9wavefront6targetE0EEEvSP_
; %bb.0:
	.section	.rodata,"a",@progbits
	.p2align	6, 0x0
	.amdhsa_kernel _ZN7rocprim17ROCPRIM_400000_NS6detail17trampoline_kernelINS0_14default_configENS1_32segmented_reduce_config_selectorIdEEZNS1_21segmented_reduce_implIS3_PKdPdPKidN6hipcub16HIPCUB_304000_NS6detail27convert_result_type_wrapperIS8_S9_N2at6native12_GLOBAL__N_110CustomProdEEEEE10hipError_tPvRmT0_T1_jT2_SQ_T4_T3_P12ihipStream_tbEUlT_E_NS1_11comp_targetILNS1_3genE2ELNS1_11target_archE906ELNS1_3gpuE6ELNS1_3repE0EEENS1_30default_config_static_selectorELNS0_4arch9wavefront6targetE0EEEvSP_
		.amdhsa_group_segment_fixed_size 0
		.amdhsa_private_segment_fixed_size 0
		.amdhsa_kernarg_size 56
		.amdhsa_user_sgpr_count 2
		.amdhsa_user_sgpr_dispatch_ptr 0
		.amdhsa_user_sgpr_queue_ptr 0
		.amdhsa_user_sgpr_kernarg_segment_ptr 1
		.amdhsa_user_sgpr_dispatch_id 0
		.amdhsa_user_sgpr_kernarg_preload_length 0
		.amdhsa_user_sgpr_kernarg_preload_offset 0
		.amdhsa_user_sgpr_private_segment_size 0
		.amdhsa_wavefront_size32 1
		.amdhsa_uses_dynamic_stack 0
		.amdhsa_enable_private_segment 0
		.amdhsa_system_sgpr_workgroup_id_x 1
		.amdhsa_system_sgpr_workgroup_id_y 0
		.amdhsa_system_sgpr_workgroup_id_z 0
		.amdhsa_system_sgpr_workgroup_info 0
		.amdhsa_system_vgpr_workitem_id 0
		.amdhsa_next_free_vgpr 1
		.amdhsa_next_free_sgpr 1
		.amdhsa_named_barrier_count 0
		.amdhsa_reserve_vcc 0
		.amdhsa_float_round_mode_32 0
		.amdhsa_float_round_mode_16_64 0
		.amdhsa_float_denorm_mode_32 3
		.amdhsa_float_denorm_mode_16_64 3
		.amdhsa_fp16_overflow 0
		.amdhsa_memory_ordered 1
		.amdhsa_forward_progress 1
		.amdhsa_inst_pref_size 0
		.amdhsa_round_robin_scheduling 0
		.amdhsa_exception_fp_ieee_invalid_op 0
		.amdhsa_exception_fp_denorm_src 0
		.amdhsa_exception_fp_ieee_div_zero 0
		.amdhsa_exception_fp_ieee_overflow 0
		.amdhsa_exception_fp_ieee_underflow 0
		.amdhsa_exception_fp_ieee_inexact 0
		.amdhsa_exception_int_div_zero 0
	.end_amdhsa_kernel
	.section	.text._ZN7rocprim17ROCPRIM_400000_NS6detail17trampoline_kernelINS0_14default_configENS1_32segmented_reduce_config_selectorIdEEZNS1_21segmented_reduce_implIS3_PKdPdPKidN6hipcub16HIPCUB_304000_NS6detail27convert_result_type_wrapperIS8_S9_N2at6native12_GLOBAL__N_110CustomProdEEEEE10hipError_tPvRmT0_T1_jT2_SQ_T4_T3_P12ihipStream_tbEUlT_E_NS1_11comp_targetILNS1_3genE2ELNS1_11target_archE906ELNS1_3gpuE6ELNS1_3repE0EEENS1_30default_config_static_selectorELNS0_4arch9wavefront6targetE0EEEvSP_,"axG",@progbits,_ZN7rocprim17ROCPRIM_400000_NS6detail17trampoline_kernelINS0_14default_configENS1_32segmented_reduce_config_selectorIdEEZNS1_21segmented_reduce_implIS3_PKdPdPKidN6hipcub16HIPCUB_304000_NS6detail27convert_result_type_wrapperIS8_S9_N2at6native12_GLOBAL__N_110CustomProdEEEEE10hipError_tPvRmT0_T1_jT2_SQ_T4_T3_P12ihipStream_tbEUlT_E_NS1_11comp_targetILNS1_3genE2ELNS1_11target_archE906ELNS1_3gpuE6ELNS1_3repE0EEENS1_30default_config_static_selectorELNS0_4arch9wavefront6targetE0EEEvSP_,comdat
.Lfunc_end39:
	.size	_ZN7rocprim17ROCPRIM_400000_NS6detail17trampoline_kernelINS0_14default_configENS1_32segmented_reduce_config_selectorIdEEZNS1_21segmented_reduce_implIS3_PKdPdPKidN6hipcub16HIPCUB_304000_NS6detail27convert_result_type_wrapperIS8_S9_N2at6native12_GLOBAL__N_110CustomProdEEEEE10hipError_tPvRmT0_T1_jT2_SQ_T4_T3_P12ihipStream_tbEUlT_E_NS1_11comp_targetILNS1_3genE2ELNS1_11target_archE906ELNS1_3gpuE6ELNS1_3repE0EEENS1_30default_config_static_selectorELNS0_4arch9wavefront6targetE0EEEvSP_, .Lfunc_end39-_ZN7rocprim17ROCPRIM_400000_NS6detail17trampoline_kernelINS0_14default_configENS1_32segmented_reduce_config_selectorIdEEZNS1_21segmented_reduce_implIS3_PKdPdPKidN6hipcub16HIPCUB_304000_NS6detail27convert_result_type_wrapperIS8_S9_N2at6native12_GLOBAL__N_110CustomProdEEEEE10hipError_tPvRmT0_T1_jT2_SQ_T4_T3_P12ihipStream_tbEUlT_E_NS1_11comp_targetILNS1_3genE2ELNS1_11target_archE906ELNS1_3gpuE6ELNS1_3repE0EEENS1_30default_config_static_selectorELNS0_4arch9wavefront6targetE0EEEvSP_
                                        ; -- End function
	.set _ZN7rocprim17ROCPRIM_400000_NS6detail17trampoline_kernelINS0_14default_configENS1_32segmented_reduce_config_selectorIdEEZNS1_21segmented_reduce_implIS3_PKdPdPKidN6hipcub16HIPCUB_304000_NS6detail27convert_result_type_wrapperIS8_S9_N2at6native12_GLOBAL__N_110CustomProdEEEEE10hipError_tPvRmT0_T1_jT2_SQ_T4_T3_P12ihipStream_tbEUlT_E_NS1_11comp_targetILNS1_3genE2ELNS1_11target_archE906ELNS1_3gpuE6ELNS1_3repE0EEENS1_30default_config_static_selectorELNS0_4arch9wavefront6targetE0EEEvSP_.num_vgpr, 0
	.set _ZN7rocprim17ROCPRIM_400000_NS6detail17trampoline_kernelINS0_14default_configENS1_32segmented_reduce_config_selectorIdEEZNS1_21segmented_reduce_implIS3_PKdPdPKidN6hipcub16HIPCUB_304000_NS6detail27convert_result_type_wrapperIS8_S9_N2at6native12_GLOBAL__N_110CustomProdEEEEE10hipError_tPvRmT0_T1_jT2_SQ_T4_T3_P12ihipStream_tbEUlT_E_NS1_11comp_targetILNS1_3genE2ELNS1_11target_archE906ELNS1_3gpuE6ELNS1_3repE0EEENS1_30default_config_static_selectorELNS0_4arch9wavefront6targetE0EEEvSP_.num_agpr, 0
	.set _ZN7rocprim17ROCPRIM_400000_NS6detail17trampoline_kernelINS0_14default_configENS1_32segmented_reduce_config_selectorIdEEZNS1_21segmented_reduce_implIS3_PKdPdPKidN6hipcub16HIPCUB_304000_NS6detail27convert_result_type_wrapperIS8_S9_N2at6native12_GLOBAL__N_110CustomProdEEEEE10hipError_tPvRmT0_T1_jT2_SQ_T4_T3_P12ihipStream_tbEUlT_E_NS1_11comp_targetILNS1_3genE2ELNS1_11target_archE906ELNS1_3gpuE6ELNS1_3repE0EEENS1_30default_config_static_selectorELNS0_4arch9wavefront6targetE0EEEvSP_.numbered_sgpr, 0
	.set _ZN7rocprim17ROCPRIM_400000_NS6detail17trampoline_kernelINS0_14default_configENS1_32segmented_reduce_config_selectorIdEEZNS1_21segmented_reduce_implIS3_PKdPdPKidN6hipcub16HIPCUB_304000_NS6detail27convert_result_type_wrapperIS8_S9_N2at6native12_GLOBAL__N_110CustomProdEEEEE10hipError_tPvRmT0_T1_jT2_SQ_T4_T3_P12ihipStream_tbEUlT_E_NS1_11comp_targetILNS1_3genE2ELNS1_11target_archE906ELNS1_3gpuE6ELNS1_3repE0EEENS1_30default_config_static_selectorELNS0_4arch9wavefront6targetE0EEEvSP_.num_named_barrier, 0
	.set _ZN7rocprim17ROCPRIM_400000_NS6detail17trampoline_kernelINS0_14default_configENS1_32segmented_reduce_config_selectorIdEEZNS1_21segmented_reduce_implIS3_PKdPdPKidN6hipcub16HIPCUB_304000_NS6detail27convert_result_type_wrapperIS8_S9_N2at6native12_GLOBAL__N_110CustomProdEEEEE10hipError_tPvRmT0_T1_jT2_SQ_T4_T3_P12ihipStream_tbEUlT_E_NS1_11comp_targetILNS1_3genE2ELNS1_11target_archE906ELNS1_3gpuE6ELNS1_3repE0EEENS1_30default_config_static_selectorELNS0_4arch9wavefront6targetE0EEEvSP_.private_seg_size, 0
	.set _ZN7rocprim17ROCPRIM_400000_NS6detail17trampoline_kernelINS0_14default_configENS1_32segmented_reduce_config_selectorIdEEZNS1_21segmented_reduce_implIS3_PKdPdPKidN6hipcub16HIPCUB_304000_NS6detail27convert_result_type_wrapperIS8_S9_N2at6native12_GLOBAL__N_110CustomProdEEEEE10hipError_tPvRmT0_T1_jT2_SQ_T4_T3_P12ihipStream_tbEUlT_E_NS1_11comp_targetILNS1_3genE2ELNS1_11target_archE906ELNS1_3gpuE6ELNS1_3repE0EEENS1_30default_config_static_selectorELNS0_4arch9wavefront6targetE0EEEvSP_.uses_vcc, 0
	.set _ZN7rocprim17ROCPRIM_400000_NS6detail17trampoline_kernelINS0_14default_configENS1_32segmented_reduce_config_selectorIdEEZNS1_21segmented_reduce_implIS3_PKdPdPKidN6hipcub16HIPCUB_304000_NS6detail27convert_result_type_wrapperIS8_S9_N2at6native12_GLOBAL__N_110CustomProdEEEEE10hipError_tPvRmT0_T1_jT2_SQ_T4_T3_P12ihipStream_tbEUlT_E_NS1_11comp_targetILNS1_3genE2ELNS1_11target_archE906ELNS1_3gpuE6ELNS1_3repE0EEENS1_30default_config_static_selectorELNS0_4arch9wavefront6targetE0EEEvSP_.uses_flat_scratch, 0
	.set _ZN7rocprim17ROCPRIM_400000_NS6detail17trampoline_kernelINS0_14default_configENS1_32segmented_reduce_config_selectorIdEEZNS1_21segmented_reduce_implIS3_PKdPdPKidN6hipcub16HIPCUB_304000_NS6detail27convert_result_type_wrapperIS8_S9_N2at6native12_GLOBAL__N_110CustomProdEEEEE10hipError_tPvRmT0_T1_jT2_SQ_T4_T3_P12ihipStream_tbEUlT_E_NS1_11comp_targetILNS1_3genE2ELNS1_11target_archE906ELNS1_3gpuE6ELNS1_3repE0EEENS1_30default_config_static_selectorELNS0_4arch9wavefront6targetE0EEEvSP_.has_dyn_sized_stack, 0
	.set _ZN7rocprim17ROCPRIM_400000_NS6detail17trampoline_kernelINS0_14default_configENS1_32segmented_reduce_config_selectorIdEEZNS1_21segmented_reduce_implIS3_PKdPdPKidN6hipcub16HIPCUB_304000_NS6detail27convert_result_type_wrapperIS8_S9_N2at6native12_GLOBAL__N_110CustomProdEEEEE10hipError_tPvRmT0_T1_jT2_SQ_T4_T3_P12ihipStream_tbEUlT_E_NS1_11comp_targetILNS1_3genE2ELNS1_11target_archE906ELNS1_3gpuE6ELNS1_3repE0EEENS1_30default_config_static_selectorELNS0_4arch9wavefront6targetE0EEEvSP_.has_recursion, 0
	.set _ZN7rocprim17ROCPRIM_400000_NS6detail17trampoline_kernelINS0_14default_configENS1_32segmented_reduce_config_selectorIdEEZNS1_21segmented_reduce_implIS3_PKdPdPKidN6hipcub16HIPCUB_304000_NS6detail27convert_result_type_wrapperIS8_S9_N2at6native12_GLOBAL__N_110CustomProdEEEEE10hipError_tPvRmT0_T1_jT2_SQ_T4_T3_P12ihipStream_tbEUlT_E_NS1_11comp_targetILNS1_3genE2ELNS1_11target_archE906ELNS1_3gpuE6ELNS1_3repE0EEENS1_30default_config_static_selectorELNS0_4arch9wavefront6targetE0EEEvSP_.has_indirect_call, 0
	.section	.AMDGPU.csdata,"",@progbits
; Kernel info:
; codeLenInByte = 0
; TotalNumSgprs: 0
; NumVgprs: 0
; ScratchSize: 0
; MemoryBound: 0
; FloatMode: 240
; IeeeMode: 1
; LDSByteSize: 0 bytes/workgroup (compile time only)
; SGPRBlocks: 0
; VGPRBlocks: 0
; NumSGPRsForWavesPerEU: 1
; NumVGPRsForWavesPerEU: 1
; NamedBarCnt: 0
; Occupancy: 16
; WaveLimiterHint : 0
; COMPUTE_PGM_RSRC2:SCRATCH_EN: 0
; COMPUTE_PGM_RSRC2:USER_SGPR: 2
; COMPUTE_PGM_RSRC2:TRAP_HANDLER: 0
; COMPUTE_PGM_RSRC2:TGID_X_EN: 1
; COMPUTE_PGM_RSRC2:TGID_Y_EN: 0
; COMPUTE_PGM_RSRC2:TGID_Z_EN: 0
; COMPUTE_PGM_RSRC2:TIDIG_COMP_CNT: 0
	.section	.text._ZN7rocprim17ROCPRIM_400000_NS6detail17trampoline_kernelINS0_14default_configENS1_32segmented_reduce_config_selectorIdEEZNS1_21segmented_reduce_implIS3_PKdPdPKidN6hipcub16HIPCUB_304000_NS6detail27convert_result_type_wrapperIS8_S9_N2at6native12_GLOBAL__N_110CustomProdEEEEE10hipError_tPvRmT0_T1_jT2_SQ_T4_T3_P12ihipStream_tbEUlT_E_NS1_11comp_targetILNS1_3genE9ELNS1_11target_archE1100ELNS1_3gpuE3ELNS1_3repE0EEENS1_30default_config_static_selectorELNS0_4arch9wavefront6targetE0EEEvSP_,"axG",@progbits,_ZN7rocprim17ROCPRIM_400000_NS6detail17trampoline_kernelINS0_14default_configENS1_32segmented_reduce_config_selectorIdEEZNS1_21segmented_reduce_implIS3_PKdPdPKidN6hipcub16HIPCUB_304000_NS6detail27convert_result_type_wrapperIS8_S9_N2at6native12_GLOBAL__N_110CustomProdEEEEE10hipError_tPvRmT0_T1_jT2_SQ_T4_T3_P12ihipStream_tbEUlT_E_NS1_11comp_targetILNS1_3genE9ELNS1_11target_archE1100ELNS1_3gpuE3ELNS1_3repE0EEENS1_30default_config_static_selectorELNS0_4arch9wavefront6targetE0EEEvSP_,comdat
	.globl	_ZN7rocprim17ROCPRIM_400000_NS6detail17trampoline_kernelINS0_14default_configENS1_32segmented_reduce_config_selectorIdEEZNS1_21segmented_reduce_implIS3_PKdPdPKidN6hipcub16HIPCUB_304000_NS6detail27convert_result_type_wrapperIS8_S9_N2at6native12_GLOBAL__N_110CustomProdEEEEE10hipError_tPvRmT0_T1_jT2_SQ_T4_T3_P12ihipStream_tbEUlT_E_NS1_11comp_targetILNS1_3genE9ELNS1_11target_archE1100ELNS1_3gpuE3ELNS1_3repE0EEENS1_30default_config_static_selectorELNS0_4arch9wavefront6targetE0EEEvSP_ ; -- Begin function _ZN7rocprim17ROCPRIM_400000_NS6detail17trampoline_kernelINS0_14default_configENS1_32segmented_reduce_config_selectorIdEEZNS1_21segmented_reduce_implIS3_PKdPdPKidN6hipcub16HIPCUB_304000_NS6detail27convert_result_type_wrapperIS8_S9_N2at6native12_GLOBAL__N_110CustomProdEEEEE10hipError_tPvRmT0_T1_jT2_SQ_T4_T3_P12ihipStream_tbEUlT_E_NS1_11comp_targetILNS1_3genE9ELNS1_11target_archE1100ELNS1_3gpuE3ELNS1_3repE0EEENS1_30default_config_static_selectorELNS0_4arch9wavefront6targetE0EEEvSP_
	.p2align	8
	.type	_ZN7rocprim17ROCPRIM_400000_NS6detail17trampoline_kernelINS0_14default_configENS1_32segmented_reduce_config_selectorIdEEZNS1_21segmented_reduce_implIS3_PKdPdPKidN6hipcub16HIPCUB_304000_NS6detail27convert_result_type_wrapperIS8_S9_N2at6native12_GLOBAL__N_110CustomProdEEEEE10hipError_tPvRmT0_T1_jT2_SQ_T4_T3_P12ihipStream_tbEUlT_E_NS1_11comp_targetILNS1_3genE9ELNS1_11target_archE1100ELNS1_3gpuE3ELNS1_3repE0EEENS1_30default_config_static_selectorELNS0_4arch9wavefront6targetE0EEEvSP_,@function
_ZN7rocprim17ROCPRIM_400000_NS6detail17trampoline_kernelINS0_14default_configENS1_32segmented_reduce_config_selectorIdEEZNS1_21segmented_reduce_implIS3_PKdPdPKidN6hipcub16HIPCUB_304000_NS6detail27convert_result_type_wrapperIS8_S9_N2at6native12_GLOBAL__N_110CustomProdEEEEE10hipError_tPvRmT0_T1_jT2_SQ_T4_T3_P12ihipStream_tbEUlT_E_NS1_11comp_targetILNS1_3genE9ELNS1_11target_archE1100ELNS1_3gpuE3ELNS1_3repE0EEENS1_30default_config_static_selectorELNS0_4arch9wavefront6targetE0EEEvSP_: ; @_ZN7rocprim17ROCPRIM_400000_NS6detail17trampoline_kernelINS0_14default_configENS1_32segmented_reduce_config_selectorIdEEZNS1_21segmented_reduce_implIS3_PKdPdPKidN6hipcub16HIPCUB_304000_NS6detail27convert_result_type_wrapperIS8_S9_N2at6native12_GLOBAL__N_110CustomProdEEEEE10hipError_tPvRmT0_T1_jT2_SQ_T4_T3_P12ihipStream_tbEUlT_E_NS1_11comp_targetILNS1_3genE9ELNS1_11target_archE1100ELNS1_3gpuE3ELNS1_3repE0EEENS1_30default_config_static_selectorELNS0_4arch9wavefront6targetE0EEEvSP_
; %bb.0:
	.section	.rodata,"a",@progbits
	.p2align	6, 0x0
	.amdhsa_kernel _ZN7rocprim17ROCPRIM_400000_NS6detail17trampoline_kernelINS0_14default_configENS1_32segmented_reduce_config_selectorIdEEZNS1_21segmented_reduce_implIS3_PKdPdPKidN6hipcub16HIPCUB_304000_NS6detail27convert_result_type_wrapperIS8_S9_N2at6native12_GLOBAL__N_110CustomProdEEEEE10hipError_tPvRmT0_T1_jT2_SQ_T4_T3_P12ihipStream_tbEUlT_E_NS1_11comp_targetILNS1_3genE9ELNS1_11target_archE1100ELNS1_3gpuE3ELNS1_3repE0EEENS1_30default_config_static_selectorELNS0_4arch9wavefront6targetE0EEEvSP_
		.amdhsa_group_segment_fixed_size 0
		.amdhsa_private_segment_fixed_size 0
		.amdhsa_kernarg_size 56
		.amdhsa_user_sgpr_count 2
		.amdhsa_user_sgpr_dispatch_ptr 0
		.amdhsa_user_sgpr_queue_ptr 0
		.amdhsa_user_sgpr_kernarg_segment_ptr 1
		.amdhsa_user_sgpr_dispatch_id 0
		.amdhsa_user_sgpr_kernarg_preload_length 0
		.amdhsa_user_sgpr_kernarg_preload_offset 0
		.amdhsa_user_sgpr_private_segment_size 0
		.amdhsa_wavefront_size32 1
		.amdhsa_uses_dynamic_stack 0
		.amdhsa_enable_private_segment 0
		.amdhsa_system_sgpr_workgroup_id_x 1
		.amdhsa_system_sgpr_workgroup_id_y 0
		.amdhsa_system_sgpr_workgroup_id_z 0
		.amdhsa_system_sgpr_workgroup_info 0
		.amdhsa_system_vgpr_workitem_id 0
		.amdhsa_next_free_vgpr 1
		.amdhsa_next_free_sgpr 1
		.amdhsa_named_barrier_count 0
		.amdhsa_reserve_vcc 0
		.amdhsa_float_round_mode_32 0
		.amdhsa_float_round_mode_16_64 0
		.amdhsa_float_denorm_mode_32 3
		.amdhsa_float_denorm_mode_16_64 3
		.amdhsa_fp16_overflow 0
		.amdhsa_memory_ordered 1
		.amdhsa_forward_progress 1
		.amdhsa_inst_pref_size 0
		.amdhsa_round_robin_scheduling 0
		.amdhsa_exception_fp_ieee_invalid_op 0
		.amdhsa_exception_fp_denorm_src 0
		.amdhsa_exception_fp_ieee_div_zero 0
		.amdhsa_exception_fp_ieee_overflow 0
		.amdhsa_exception_fp_ieee_underflow 0
		.amdhsa_exception_fp_ieee_inexact 0
		.amdhsa_exception_int_div_zero 0
	.end_amdhsa_kernel
	.section	.text._ZN7rocprim17ROCPRIM_400000_NS6detail17trampoline_kernelINS0_14default_configENS1_32segmented_reduce_config_selectorIdEEZNS1_21segmented_reduce_implIS3_PKdPdPKidN6hipcub16HIPCUB_304000_NS6detail27convert_result_type_wrapperIS8_S9_N2at6native12_GLOBAL__N_110CustomProdEEEEE10hipError_tPvRmT0_T1_jT2_SQ_T4_T3_P12ihipStream_tbEUlT_E_NS1_11comp_targetILNS1_3genE9ELNS1_11target_archE1100ELNS1_3gpuE3ELNS1_3repE0EEENS1_30default_config_static_selectorELNS0_4arch9wavefront6targetE0EEEvSP_,"axG",@progbits,_ZN7rocprim17ROCPRIM_400000_NS6detail17trampoline_kernelINS0_14default_configENS1_32segmented_reduce_config_selectorIdEEZNS1_21segmented_reduce_implIS3_PKdPdPKidN6hipcub16HIPCUB_304000_NS6detail27convert_result_type_wrapperIS8_S9_N2at6native12_GLOBAL__N_110CustomProdEEEEE10hipError_tPvRmT0_T1_jT2_SQ_T4_T3_P12ihipStream_tbEUlT_E_NS1_11comp_targetILNS1_3genE9ELNS1_11target_archE1100ELNS1_3gpuE3ELNS1_3repE0EEENS1_30default_config_static_selectorELNS0_4arch9wavefront6targetE0EEEvSP_,comdat
.Lfunc_end40:
	.size	_ZN7rocprim17ROCPRIM_400000_NS6detail17trampoline_kernelINS0_14default_configENS1_32segmented_reduce_config_selectorIdEEZNS1_21segmented_reduce_implIS3_PKdPdPKidN6hipcub16HIPCUB_304000_NS6detail27convert_result_type_wrapperIS8_S9_N2at6native12_GLOBAL__N_110CustomProdEEEEE10hipError_tPvRmT0_T1_jT2_SQ_T4_T3_P12ihipStream_tbEUlT_E_NS1_11comp_targetILNS1_3genE9ELNS1_11target_archE1100ELNS1_3gpuE3ELNS1_3repE0EEENS1_30default_config_static_selectorELNS0_4arch9wavefront6targetE0EEEvSP_, .Lfunc_end40-_ZN7rocprim17ROCPRIM_400000_NS6detail17trampoline_kernelINS0_14default_configENS1_32segmented_reduce_config_selectorIdEEZNS1_21segmented_reduce_implIS3_PKdPdPKidN6hipcub16HIPCUB_304000_NS6detail27convert_result_type_wrapperIS8_S9_N2at6native12_GLOBAL__N_110CustomProdEEEEE10hipError_tPvRmT0_T1_jT2_SQ_T4_T3_P12ihipStream_tbEUlT_E_NS1_11comp_targetILNS1_3genE9ELNS1_11target_archE1100ELNS1_3gpuE3ELNS1_3repE0EEENS1_30default_config_static_selectorELNS0_4arch9wavefront6targetE0EEEvSP_
                                        ; -- End function
	.set _ZN7rocprim17ROCPRIM_400000_NS6detail17trampoline_kernelINS0_14default_configENS1_32segmented_reduce_config_selectorIdEEZNS1_21segmented_reduce_implIS3_PKdPdPKidN6hipcub16HIPCUB_304000_NS6detail27convert_result_type_wrapperIS8_S9_N2at6native12_GLOBAL__N_110CustomProdEEEEE10hipError_tPvRmT0_T1_jT2_SQ_T4_T3_P12ihipStream_tbEUlT_E_NS1_11comp_targetILNS1_3genE9ELNS1_11target_archE1100ELNS1_3gpuE3ELNS1_3repE0EEENS1_30default_config_static_selectorELNS0_4arch9wavefront6targetE0EEEvSP_.num_vgpr, 0
	.set _ZN7rocprim17ROCPRIM_400000_NS6detail17trampoline_kernelINS0_14default_configENS1_32segmented_reduce_config_selectorIdEEZNS1_21segmented_reduce_implIS3_PKdPdPKidN6hipcub16HIPCUB_304000_NS6detail27convert_result_type_wrapperIS8_S9_N2at6native12_GLOBAL__N_110CustomProdEEEEE10hipError_tPvRmT0_T1_jT2_SQ_T4_T3_P12ihipStream_tbEUlT_E_NS1_11comp_targetILNS1_3genE9ELNS1_11target_archE1100ELNS1_3gpuE3ELNS1_3repE0EEENS1_30default_config_static_selectorELNS0_4arch9wavefront6targetE0EEEvSP_.num_agpr, 0
	.set _ZN7rocprim17ROCPRIM_400000_NS6detail17trampoline_kernelINS0_14default_configENS1_32segmented_reduce_config_selectorIdEEZNS1_21segmented_reduce_implIS3_PKdPdPKidN6hipcub16HIPCUB_304000_NS6detail27convert_result_type_wrapperIS8_S9_N2at6native12_GLOBAL__N_110CustomProdEEEEE10hipError_tPvRmT0_T1_jT2_SQ_T4_T3_P12ihipStream_tbEUlT_E_NS1_11comp_targetILNS1_3genE9ELNS1_11target_archE1100ELNS1_3gpuE3ELNS1_3repE0EEENS1_30default_config_static_selectorELNS0_4arch9wavefront6targetE0EEEvSP_.numbered_sgpr, 0
	.set _ZN7rocprim17ROCPRIM_400000_NS6detail17trampoline_kernelINS0_14default_configENS1_32segmented_reduce_config_selectorIdEEZNS1_21segmented_reduce_implIS3_PKdPdPKidN6hipcub16HIPCUB_304000_NS6detail27convert_result_type_wrapperIS8_S9_N2at6native12_GLOBAL__N_110CustomProdEEEEE10hipError_tPvRmT0_T1_jT2_SQ_T4_T3_P12ihipStream_tbEUlT_E_NS1_11comp_targetILNS1_3genE9ELNS1_11target_archE1100ELNS1_3gpuE3ELNS1_3repE0EEENS1_30default_config_static_selectorELNS0_4arch9wavefront6targetE0EEEvSP_.num_named_barrier, 0
	.set _ZN7rocprim17ROCPRIM_400000_NS6detail17trampoline_kernelINS0_14default_configENS1_32segmented_reduce_config_selectorIdEEZNS1_21segmented_reduce_implIS3_PKdPdPKidN6hipcub16HIPCUB_304000_NS6detail27convert_result_type_wrapperIS8_S9_N2at6native12_GLOBAL__N_110CustomProdEEEEE10hipError_tPvRmT0_T1_jT2_SQ_T4_T3_P12ihipStream_tbEUlT_E_NS1_11comp_targetILNS1_3genE9ELNS1_11target_archE1100ELNS1_3gpuE3ELNS1_3repE0EEENS1_30default_config_static_selectorELNS0_4arch9wavefront6targetE0EEEvSP_.private_seg_size, 0
	.set _ZN7rocprim17ROCPRIM_400000_NS6detail17trampoline_kernelINS0_14default_configENS1_32segmented_reduce_config_selectorIdEEZNS1_21segmented_reduce_implIS3_PKdPdPKidN6hipcub16HIPCUB_304000_NS6detail27convert_result_type_wrapperIS8_S9_N2at6native12_GLOBAL__N_110CustomProdEEEEE10hipError_tPvRmT0_T1_jT2_SQ_T4_T3_P12ihipStream_tbEUlT_E_NS1_11comp_targetILNS1_3genE9ELNS1_11target_archE1100ELNS1_3gpuE3ELNS1_3repE0EEENS1_30default_config_static_selectorELNS0_4arch9wavefront6targetE0EEEvSP_.uses_vcc, 0
	.set _ZN7rocprim17ROCPRIM_400000_NS6detail17trampoline_kernelINS0_14default_configENS1_32segmented_reduce_config_selectorIdEEZNS1_21segmented_reduce_implIS3_PKdPdPKidN6hipcub16HIPCUB_304000_NS6detail27convert_result_type_wrapperIS8_S9_N2at6native12_GLOBAL__N_110CustomProdEEEEE10hipError_tPvRmT0_T1_jT2_SQ_T4_T3_P12ihipStream_tbEUlT_E_NS1_11comp_targetILNS1_3genE9ELNS1_11target_archE1100ELNS1_3gpuE3ELNS1_3repE0EEENS1_30default_config_static_selectorELNS0_4arch9wavefront6targetE0EEEvSP_.uses_flat_scratch, 0
	.set _ZN7rocprim17ROCPRIM_400000_NS6detail17trampoline_kernelINS0_14default_configENS1_32segmented_reduce_config_selectorIdEEZNS1_21segmented_reduce_implIS3_PKdPdPKidN6hipcub16HIPCUB_304000_NS6detail27convert_result_type_wrapperIS8_S9_N2at6native12_GLOBAL__N_110CustomProdEEEEE10hipError_tPvRmT0_T1_jT2_SQ_T4_T3_P12ihipStream_tbEUlT_E_NS1_11comp_targetILNS1_3genE9ELNS1_11target_archE1100ELNS1_3gpuE3ELNS1_3repE0EEENS1_30default_config_static_selectorELNS0_4arch9wavefront6targetE0EEEvSP_.has_dyn_sized_stack, 0
	.set _ZN7rocprim17ROCPRIM_400000_NS6detail17trampoline_kernelINS0_14default_configENS1_32segmented_reduce_config_selectorIdEEZNS1_21segmented_reduce_implIS3_PKdPdPKidN6hipcub16HIPCUB_304000_NS6detail27convert_result_type_wrapperIS8_S9_N2at6native12_GLOBAL__N_110CustomProdEEEEE10hipError_tPvRmT0_T1_jT2_SQ_T4_T3_P12ihipStream_tbEUlT_E_NS1_11comp_targetILNS1_3genE9ELNS1_11target_archE1100ELNS1_3gpuE3ELNS1_3repE0EEENS1_30default_config_static_selectorELNS0_4arch9wavefront6targetE0EEEvSP_.has_recursion, 0
	.set _ZN7rocprim17ROCPRIM_400000_NS6detail17trampoline_kernelINS0_14default_configENS1_32segmented_reduce_config_selectorIdEEZNS1_21segmented_reduce_implIS3_PKdPdPKidN6hipcub16HIPCUB_304000_NS6detail27convert_result_type_wrapperIS8_S9_N2at6native12_GLOBAL__N_110CustomProdEEEEE10hipError_tPvRmT0_T1_jT2_SQ_T4_T3_P12ihipStream_tbEUlT_E_NS1_11comp_targetILNS1_3genE9ELNS1_11target_archE1100ELNS1_3gpuE3ELNS1_3repE0EEENS1_30default_config_static_selectorELNS0_4arch9wavefront6targetE0EEEvSP_.has_indirect_call, 0
	.section	.AMDGPU.csdata,"",@progbits
; Kernel info:
; codeLenInByte = 0
; TotalNumSgprs: 0
; NumVgprs: 0
; ScratchSize: 0
; MemoryBound: 0
; FloatMode: 240
; IeeeMode: 1
; LDSByteSize: 0 bytes/workgroup (compile time only)
; SGPRBlocks: 0
; VGPRBlocks: 0
; NumSGPRsForWavesPerEU: 1
; NumVGPRsForWavesPerEU: 1
; NamedBarCnt: 0
; Occupancy: 16
; WaveLimiterHint : 0
; COMPUTE_PGM_RSRC2:SCRATCH_EN: 0
; COMPUTE_PGM_RSRC2:USER_SGPR: 2
; COMPUTE_PGM_RSRC2:TRAP_HANDLER: 0
; COMPUTE_PGM_RSRC2:TGID_X_EN: 1
; COMPUTE_PGM_RSRC2:TGID_Y_EN: 0
; COMPUTE_PGM_RSRC2:TGID_Z_EN: 0
; COMPUTE_PGM_RSRC2:TIDIG_COMP_CNT: 0
	.section	.text._ZN7rocprim17ROCPRIM_400000_NS6detail17trampoline_kernelINS0_14default_configENS1_32segmented_reduce_config_selectorIdEEZNS1_21segmented_reduce_implIS3_PKdPdPKidN6hipcub16HIPCUB_304000_NS6detail27convert_result_type_wrapperIS8_S9_N2at6native12_GLOBAL__N_110CustomProdEEEEE10hipError_tPvRmT0_T1_jT2_SQ_T4_T3_P12ihipStream_tbEUlT_E_NS1_11comp_targetILNS1_3genE8ELNS1_11target_archE1030ELNS1_3gpuE2ELNS1_3repE0EEENS1_30default_config_static_selectorELNS0_4arch9wavefront6targetE0EEEvSP_,"axG",@progbits,_ZN7rocprim17ROCPRIM_400000_NS6detail17trampoline_kernelINS0_14default_configENS1_32segmented_reduce_config_selectorIdEEZNS1_21segmented_reduce_implIS3_PKdPdPKidN6hipcub16HIPCUB_304000_NS6detail27convert_result_type_wrapperIS8_S9_N2at6native12_GLOBAL__N_110CustomProdEEEEE10hipError_tPvRmT0_T1_jT2_SQ_T4_T3_P12ihipStream_tbEUlT_E_NS1_11comp_targetILNS1_3genE8ELNS1_11target_archE1030ELNS1_3gpuE2ELNS1_3repE0EEENS1_30default_config_static_selectorELNS0_4arch9wavefront6targetE0EEEvSP_,comdat
	.globl	_ZN7rocprim17ROCPRIM_400000_NS6detail17trampoline_kernelINS0_14default_configENS1_32segmented_reduce_config_selectorIdEEZNS1_21segmented_reduce_implIS3_PKdPdPKidN6hipcub16HIPCUB_304000_NS6detail27convert_result_type_wrapperIS8_S9_N2at6native12_GLOBAL__N_110CustomProdEEEEE10hipError_tPvRmT0_T1_jT2_SQ_T4_T3_P12ihipStream_tbEUlT_E_NS1_11comp_targetILNS1_3genE8ELNS1_11target_archE1030ELNS1_3gpuE2ELNS1_3repE0EEENS1_30default_config_static_selectorELNS0_4arch9wavefront6targetE0EEEvSP_ ; -- Begin function _ZN7rocprim17ROCPRIM_400000_NS6detail17trampoline_kernelINS0_14default_configENS1_32segmented_reduce_config_selectorIdEEZNS1_21segmented_reduce_implIS3_PKdPdPKidN6hipcub16HIPCUB_304000_NS6detail27convert_result_type_wrapperIS8_S9_N2at6native12_GLOBAL__N_110CustomProdEEEEE10hipError_tPvRmT0_T1_jT2_SQ_T4_T3_P12ihipStream_tbEUlT_E_NS1_11comp_targetILNS1_3genE8ELNS1_11target_archE1030ELNS1_3gpuE2ELNS1_3repE0EEENS1_30default_config_static_selectorELNS0_4arch9wavefront6targetE0EEEvSP_
	.p2align	8
	.type	_ZN7rocprim17ROCPRIM_400000_NS6detail17trampoline_kernelINS0_14default_configENS1_32segmented_reduce_config_selectorIdEEZNS1_21segmented_reduce_implIS3_PKdPdPKidN6hipcub16HIPCUB_304000_NS6detail27convert_result_type_wrapperIS8_S9_N2at6native12_GLOBAL__N_110CustomProdEEEEE10hipError_tPvRmT0_T1_jT2_SQ_T4_T3_P12ihipStream_tbEUlT_E_NS1_11comp_targetILNS1_3genE8ELNS1_11target_archE1030ELNS1_3gpuE2ELNS1_3repE0EEENS1_30default_config_static_selectorELNS0_4arch9wavefront6targetE0EEEvSP_,@function
_ZN7rocprim17ROCPRIM_400000_NS6detail17trampoline_kernelINS0_14default_configENS1_32segmented_reduce_config_selectorIdEEZNS1_21segmented_reduce_implIS3_PKdPdPKidN6hipcub16HIPCUB_304000_NS6detail27convert_result_type_wrapperIS8_S9_N2at6native12_GLOBAL__N_110CustomProdEEEEE10hipError_tPvRmT0_T1_jT2_SQ_T4_T3_P12ihipStream_tbEUlT_E_NS1_11comp_targetILNS1_3genE8ELNS1_11target_archE1030ELNS1_3gpuE2ELNS1_3repE0EEENS1_30default_config_static_selectorELNS0_4arch9wavefront6targetE0EEEvSP_: ; @_ZN7rocprim17ROCPRIM_400000_NS6detail17trampoline_kernelINS0_14default_configENS1_32segmented_reduce_config_selectorIdEEZNS1_21segmented_reduce_implIS3_PKdPdPKidN6hipcub16HIPCUB_304000_NS6detail27convert_result_type_wrapperIS8_S9_N2at6native12_GLOBAL__N_110CustomProdEEEEE10hipError_tPvRmT0_T1_jT2_SQ_T4_T3_P12ihipStream_tbEUlT_E_NS1_11comp_targetILNS1_3genE8ELNS1_11target_archE1030ELNS1_3gpuE2ELNS1_3repE0EEENS1_30default_config_static_selectorELNS0_4arch9wavefront6targetE0EEEvSP_
; %bb.0:
	.section	.rodata,"a",@progbits
	.p2align	6, 0x0
	.amdhsa_kernel _ZN7rocprim17ROCPRIM_400000_NS6detail17trampoline_kernelINS0_14default_configENS1_32segmented_reduce_config_selectorIdEEZNS1_21segmented_reduce_implIS3_PKdPdPKidN6hipcub16HIPCUB_304000_NS6detail27convert_result_type_wrapperIS8_S9_N2at6native12_GLOBAL__N_110CustomProdEEEEE10hipError_tPvRmT0_T1_jT2_SQ_T4_T3_P12ihipStream_tbEUlT_E_NS1_11comp_targetILNS1_3genE8ELNS1_11target_archE1030ELNS1_3gpuE2ELNS1_3repE0EEENS1_30default_config_static_selectorELNS0_4arch9wavefront6targetE0EEEvSP_
		.amdhsa_group_segment_fixed_size 0
		.amdhsa_private_segment_fixed_size 0
		.amdhsa_kernarg_size 56
		.amdhsa_user_sgpr_count 2
		.amdhsa_user_sgpr_dispatch_ptr 0
		.amdhsa_user_sgpr_queue_ptr 0
		.amdhsa_user_sgpr_kernarg_segment_ptr 1
		.amdhsa_user_sgpr_dispatch_id 0
		.amdhsa_user_sgpr_kernarg_preload_length 0
		.amdhsa_user_sgpr_kernarg_preload_offset 0
		.amdhsa_user_sgpr_private_segment_size 0
		.amdhsa_wavefront_size32 1
		.amdhsa_uses_dynamic_stack 0
		.amdhsa_enable_private_segment 0
		.amdhsa_system_sgpr_workgroup_id_x 1
		.amdhsa_system_sgpr_workgroup_id_y 0
		.amdhsa_system_sgpr_workgroup_id_z 0
		.amdhsa_system_sgpr_workgroup_info 0
		.amdhsa_system_vgpr_workitem_id 0
		.amdhsa_next_free_vgpr 1
		.amdhsa_next_free_sgpr 1
		.amdhsa_named_barrier_count 0
		.amdhsa_reserve_vcc 0
		.amdhsa_float_round_mode_32 0
		.amdhsa_float_round_mode_16_64 0
		.amdhsa_float_denorm_mode_32 3
		.amdhsa_float_denorm_mode_16_64 3
		.amdhsa_fp16_overflow 0
		.amdhsa_memory_ordered 1
		.amdhsa_forward_progress 1
		.amdhsa_inst_pref_size 0
		.amdhsa_round_robin_scheduling 0
		.amdhsa_exception_fp_ieee_invalid_op 0
		.amdhsa_exception_fp_denorm_src 0
		.amdhsa_exception_fp_ieee_div_zero 0
		.amdhsa_exception_fp_ieee_overflow 0
		.amdhsa_exception_fp_ieee_underflow 0
		.amdhsa_exception_fp_ieee_inexact 0
		.amdhsa_exception_int_div_zero 0
	.end_amdhsa_kernel
	.section	.text._ZN7rocprim17ROCPRIM_400000_NS6detail17trampoline_kernelINS0_14default_configENS1_32segmented_reduce_config_selectorIdEEZNS1_21segmented_reduce_implIS3_PKdPdPKidN6hipcub16HIPCUB_304000_NS6detail27convert_result_type_wrapperIS8_S9_N2at6native12_GLOBAL__N_110CustomProdEEEEE10hipError_tPvRmT0_T1_jT2_SQ_T4_T3_P12ihipStream_tbEUlT_E_NS1_11comp_targetILNS1_3genE8ELNS1_11target_archE1030ELNS1_3gpuE2ELNS1_3repE0EEENS1_30default_config_static_selectorELNS0_4arch9wavefront6targetE0EEEvSP_,"axG",@progbits,_ZN7rocprim17ROCPRIM_400000_NS6detail17trampoline_kernelINS0_14default_configENS1_32segmented_reduce_config_selectorIdEEZNS1_21segmented_reduce_implIS3_PKdPdPKidN6hipcub16HIPCUB_304000_NS6detail27convert_result_type_wrapperIS8_S9_N2at6native12_GLOBAL__N_110CustomProdEEEEE10hipError_tPvRmT0_T1_jT2_SQ_T4_T3_P12ihipStream_tbEUlT_E_NS1_11comp_targetILNS1_3genE8ELNS1_11target_archE1030ELNS1_3gpuE2ELNS1_3repE0EEENS1_30default_config_static_selectorELNS0_4arch9wavefront6targetE0EEEvSP_,comdat
.Lfunc_end41:
	.size	_ZN7rocprim17ROCPRIM_400000_NS6detail17trampoline_kernelINS0_14default_configENS1_32segmented_reduce_config_selectorIdEEZNS1_21segmented_reduce_implIS3_PKdPdPKidN6hipcub16HIPCUB_304000_NS6detail27convert_result_type_wrapperIS8_S9_N2at6native12_GLOBAL__N_110CustomProdEEEEE10hipError_tPvRmT0_T1_jT2_SQ_T4_T3_P12ihipStream_tbEUlT_E_NS1_11comp_targetILNS1_3genE8ELNS1_11target_archE1030ELNS1_3gpuE2ELNS1_3repE0EEENS1_30default_config_static_selectorELNS0_4arch9wavefront6targetE0EEEvSP_, .Lfunc_end41-_ZN7rocprim17ROCPRIM_400000_NS6detail17trampoline_kernelINS0_14default_configENS1_32segmented_reduce_config_selectorIdEEZNS1_21segmented_reduce_implIS3_PKdPdPKidN6hipcub16HIPCUB_304000_NS6detail27convert_result_type_wrapperIS8_S9_N2at6native12_GLOBAL__N_110CustomProdEEEEE10hipError_tPvRmT0_T1_jT2_SQ_T4_T3_P12ihipStream_tbEUlT_E_NS1_11comp_targetILNS1_3genE8ELNS1_11target_archE1030ELNS1_3gpuE2ELNS1_3repE0EEENS1_30default_config_static_selectorELNS0_4arch9wavefront6targetE0EEEvSP_
                                        ; -- End function
	.set _ZN7rocprim17ROCPRIM_400000_NS6detail17trampoline_kernelINS0_14default_configENS1_32segmented_reduce_config_selectorIdEEZNS1_21segmented_reduce_implIS3_PKdPdPKidN6hipcub16HIPCUB_304000_NS6detail27convert_result_type_wrapperIS8_S9_N2at6native12_GLOBAL__N_110CustomProdEEEEE10hipError_tPvRmT0_T1_jT2_SQ_T4_T3_P12ihipStream_tbEUlT_E_NS1_11comp_targetILNS1_3genE8ELNS1_11target_archE1030ELNS1_3gpuE2ELNS1_3repE0EEENS1_30default_config_static_selectorELNS0_4arch9wavefront6targetE0EEEvSP_.num_vgpr, 0
	.set _ZN7rocprim17ROCPRIM_400000_NS6detail17trampoline_kernelINS0_14default_configENS1_32segmented_reduce_config_selectorIdEEZNS1_21segmented_reduce_implIS3_PKdPdPKidN6hipcub16HIPCUB_304000_NS6detail27convert_result_type_wrapperIS8_S9_N2at6native12_GLOBAL__N_110CustomProdEEEEE10hipError_tPvRmT0_T1_jT2_SQ_T4_T3_P12ihipStream_tbEUlT_E_NS1_11comp_targetILNS1_3genE8ELNS1_11target_archE1030ELNS1_3gpuE2ELNS1_3repE0EEENS1_30default_config_static_selectorELNS0_4arch9wavefront6targetE0EEEvSP_.num_agpr, 0
	.set _ZN7rocprim17ROCPRIM_400000_NS6detail17trampoline_kernelINS0_14default_configENS1_32segmented_reduce_config_selectorIdEEZNS1_21segmented_reduce_implIS3_PKdPdPKidN6hipcub16HIPCUB_304000_NS6detail27convert_result_type_wrapperIS8_S9_N2at6native12_GLOBAL__N_110CustomProdEEEEE10hipError_tPvRmT0_T1_jT2_SQ_T4_T3_P12ihipStream_tbEUlT_E_NS1_11comp_targetILNS1_3genE8ELNS1_11target_archE1030ELNS1_3gpuE2ELNS1_3repE0EEENS1_30default_config_static_selectorELNS0_4arch9wavefront6targetE0EEEvSP_.numbered_sgpr, 0
	.set _ZN7rocprim17ROCPRIM_400000_NS6detail17trampoline_kernelINS0_14default_configENS1_32segmented_reduce_config_selectorIdEEZNS1_21segmented_reduce_implIS3_PKdPdPKidN6hipcub16HIPCUB_304000_NS6detail27convert_result_type_wrapperIS8_S9_N2at6native12_GLOBAL__N_110CustomProdEEEEE10hipError_tPvRmT0_T1_jT2_SQ_T4_T3_P12ihipStream_tbEUlT_E_NS1_11comp_targetILNS1_3genE8ELNS1_11target_archE1030ELNS1_3gpuE2ELNS1_3repE0EEENS1_30default_config_static_selectorELNS0_4arch9wavefront6targetE0EEEvSP_.num_named_barrier, 0
	.set _ZN7rocprim17ROCPRIM_400000_NS6detail17trampoline_kernelINS0_14default_configENS1_32segmented_reduce_config_selectorIdEEZNS1_21segmented_reduce_implIS3_PKdPdPKidN6hipcub16HIPCUB_304000_NS6detail27convert_result_type_wrapperIS8_S9_N2at6native12_GLOBAL__N_110CustomProdEEEEE10hipError_tPvRmT0_T1_jT2_SQ_T4_T3_P12ihipStream_tbEUlT_E_NS1_11comp_targetILNS1_3genE8ELNS1_11target_archE1030ELNS1_3gpuE2ELNS1_3repE0EEENS1_30default_config_static_selectorELNS0_4arch9wavefront6targetE0EEEvSP_.private_seg_size, 0
	.set _ZN7rocprim17ROCPRIM_400000_NS6detail17trampoline_kernelINS0_14default_configENS1_32segmented_reduce_config_selectorIdEEZNS1_21segmented_reduce_implIS3_PKdPdPKidN6hipcub16HIPCUB_304000_NS6detail27convert_result_type_wrapperIS8_S9_N2at6native12_GLOBAL__N_110CustomProdEEEEE10hipError_tPvRmT0_T1_jT2_SQ_T4_T3_P12ihipStream_tbEUlT_E_NS1_11comp_targetILNS1_3genE8ELNS1_11target_archE1030ELNS1_3gpuE2ELNS1_3repE0EEENS1_30default_config_static_selectorELNS0_4arch9wavefront6targetE0EEEvSP_.uses_vcc, 0
	.set _ZN7rocprim17ROCPRIM_400000_NS6detail17trampoline_kernelINS0_14default_configENS1_32segmented_reduce_config_selectorIdEEZNS1_21segmented_reduce_implIS3_PKdPdPKidN6hipcub16HIPCUB_304000_NS6detail27convert_result_type_wrapperIS8_S9_N2at6native12_GLOBAL__N_110CustomProdEEEEE10hipError_tPvRmT0_T1_jT2_SQ_T4_T3_P12ihipStream_tbEUlT_E_NS1_11comp_targetILNS1_3genE8ELNS1_11target_archE1030ELNS1_3gpuE2ELNS1_3repE0EEENS1_30default_config_static_selectorELNS0_4arch9wavefront6targetE0EEEvSP_.uses_flat_scratch, 0
	.set _ZN7rocprim17ROCPRIM_400000_NS6detail17trampoline_kernelINS0_14default_configENS1_32segmented_reduce_config_selectorIdEEZNS1_21segmented_reduce_implIS3_PKdPdPKidN6hipcub16HIPCUB_304000_NS6detail27convert_result_type_wrapperIS8_S9_N2at6native12_GLOBAL__N_110CustomProdEEEEE10hipError_tPvRmT0_T1_jT2_SQ_T4_T3_P12ihipStream_tbEUlT_E_NS1_11comp_targetILNS1_3genE8ELNS1_11target_archE1030ELNS1_3gpuE2ELNS1_3repE0EEENS1_30default_config_static_selectorELNS0_4arch9wavefront6targetE0EEEvSP_.has_dyn_sized_stack, 0
	.set _ZN7rocprim17ROCPRIM_400000_NS6detail17trampoline_kernelINS0_14default_configENS1_32segmented_reduce_config_selectorIdEEZNS1_21segmented_reduce_implIS3_PKdPdPKidN6hipcub16HIPCUB_304000_NS6detail27convert_result_type_wrapperIS8_S9_N2at6native12_GLOBAL__N_110CustomProdEEEEE10hipError_tPvRmT0_T1_jT2_SQ_T4_T3_P12ihipStream_tbEUlT_E_NS1_11comp_targetILNS1_3genE8ELNS1_11target_archE1030ELNS1_3gpuE2ELNS1_3repE0EEENS1_30default_config_static_selectorELNS0_4arch9wavefront6targetE0EEEvSP_.has_recursion, 0
	.set _ZN7rocprim17ROCPRIM_400000_NS6detail17trampoline_kernelINS0_14default_configENS1_32segmented_reduce_config_selectorIdEEZNS1_21segmented_reduce_implIS3_PKdPdPKidN6hipcub16HIPCUB_304000_NS6detail27convert_result_type_wrapperIS8_S9_N2at6native12_GLOBAL__N_110CustomProdEEEEE10hipError_tPvRmT0_T1_jT2_SQ_T4_T3_P12ihipStream_tbEUlT_E_NS1_11comp_targetILNS1_3genE8ELNS1_11target_archE1030ELNS1_3gpuE2ELNS1_3repE0EEENS1_30default_config_static_selectorELNS0_4arch9wavefront6targetE0EEEvSP_.has_indirect_call, 0
	.section	.AMDGPU.csdata,"",@progbits
; Kernel info:
; codeLenInByte = 0
; TotalNumSgprs: 0
; NumVgprs: 0
; ScratchSize: 0
; MemoryBound: 0
; FloatMode: 240
; IeeeMode: 1
; LDSByteSize: 0 bytes/workgroup (compile time only)
; SGPRBlocks: 0
; VGPRBlocks: 0
; NumSGPRsForWavesPerEU: 1
; NumVGPRsForWavesPerEU: 1
; NamedBarCnt: 0
; Occupancy: 16
; WaveLimiterHint : 0
; COMPUTE_PGM_RSRC2:SCRATCH_EN: 0
; COMPUTE_PGM_RSRC2:USER_SGPR: 2
; COMPUTE_PGM_RSRC2:TRAP_HANDLER: 0
; COMPUTE_PGM_RSRC2:TGID_X_EN: 1
; COMPUTE_PGM_RSRC2:TGID_Y_EN: 0
; COMPUTE_PGM_RSRC2:TGID_Z_EN: 0
; COMPUTE_PGM_RSRC2:TIDIG_COMP_CNT: 0
	.section	.text._ZN2at6native12_GLOBAL__N_129segment_reduce_forward_kernelIfiEEvNS0_13ReductionTypeEPT_PKS4_PKT0_SA_llbS4_lllllll,"axG",@progbits,_ZN2at6native12_GLOBAL__N_129segment_reduce_forward_kernelIfiEEvNS0_13ReductionTypeEPT_PKS4_PKT0_SA_llbS4_lllllll,comdat
	.globl	_ZN2at6native12_GLOBAL__N_129segment_reduce_forward_kernelIfiEEvNS0_13ReductionTypeEPT_PKS4_PKT0_SA_llbS4_lllllll ; -- Begin function _ZN2at6native12_GLOBAL__N_129segment_reduce_forward_kernelIfiEEvNS0_13ReductionTypeEPT_PKS4_PKT0_SA_llbS4_lllllll
	.p2align	8
	.type	_ZN2at6native12_GLOBAL__N_129segment_reduce_forward_kernelIfiEEvNS0_13ReductionTypeEPT_PKS4_PKT0_SA_llbS4_lllllll,@function
_ZN2at6native12_GLOBAL__N_129segment_reduce_forward_kernelIfiEEvNS0_13ReductionTypeEPT_PKS4_PKT0_SA_llbS4_lllllll: ; @_ZN2at6native12_GLOBAL__N_129segment_reduce_forward_kernelIfiEEvNS0_13ReductionTypeEPT_PKS4_PKT0_SA_llbS4_lllllll
; %bb.0:
	s_clause 0x2
	s_load_b32 s2, s[0:1], 0x84
	s_load_b128 s[28:31], s[0:1], 0x28
	s_load_b256 s[4:11], s[0:1], 0x40
	s_bfe_u32 s3, ttmp6, 0x4000c
	v_mov_b32_e32 v2, 0
	s_add_co_i32 s3, s3, 1
	s_and_b32 s12, ttmp6, 15
	s_mul_i32 s3, ttmp9, s3
	s_getreg_b32 s13, hwreg(HW_REG_IB_STS2, 6, 4)
	v_mov_b32_e32 v1, v2
	s_add_co_i32 s12, s12, s3
	s_wait_kmcnt 0x0
	s_and_b32 s2, s2, 0xffff
	s_cmp_eq_u32 s13, 0
	s_cselect_b32 s3, ttmp9, s12
	s_delay_alu instid0(SALU_CYCLE_1) | instskip(SKIP_1) | instid1(SALU_CYCLE_1)
	v_mad_nc_u64_u32 v[0:1], s2, s3, v[0:1]
	s_mul_u64 s[2:3], s[4:5], s[28:29]
	s_mul_u64 s[2:3], s[2:3], s[6:7]
	s_delay_alu instid0(VALU_DEP_1) | instid1(SALU_CYCLE_1)
	v_cmp_gt_i64_e32 vcc_lo, s[2:3], v[0:1]
	s_and_saveexec_b32 s2, vcc_lo
	s_cbranch_execz .LBB42_35
; %bb.1:
	v_or_b32_e32 v3, s7, v1
                                        ; implicit-def: $vgpr4_vgpr5
	s_mov_b32 s2, exec_lo
	s_delay_alu instid0(VALU_DEP_1)
	v_cmpx_ne_u64_e32 0, v[2:3]
	s_xor_b32 s3, exec_lo, s2
	s_cbranch_execz .LBB42_3
; %bb.2:
	s_ashr_i32 s4, s7, 31
	s_mov_b32 s21, 0
	s_mov_b32 s5, s4
	v_dual_mov_b32 v7, 0 :: v_dual_ashrrev_i32 v2, 31, v1
	s_add_nc_u64 s[12:13], s[6:7], s[4:5]
	s_delay_alu instid0(SALU_CYCLE_1) | instskip(NEXT) | instid1(VALU_DEP_1)
	s_xor_b64 s[12:13], s[12:13], s[4:5]
	v_mov_b32_e32 v3, v2
	s_cvt_f32_u32 s2, s12
	s_cvt_f32_u32 s5, s13
	s_sub_nc_u64 s[16:17], 0, s[12:13]
	s_delay_alu instid0(VALU_DEP_1) | instskip(NEXT) | instid1(SALU_CYCLE_1)
	v_add_nc_u64_e32 v[4:5], v[0:1], v[2:3]
	s_fmamk_f32 s2, s5, 0x4f800000, s2
	v_mov_b32_e32 v9, v7
	s_delay_alu instid0(SALU_CYCLE_2) | instskip(NEXT) | instid1(VALU_DEP_2)
	v_s_rcp_f32 s2, s2
	v_xor_b32_e32 v6, v4, v2
	s_delay_alu instid0(VALU_DEP_3) | instskip(SKIP_1) | instid1(TRANS32_DEP_1)
	v_dual_mov_b32 v15, v7 :: v_dual_bitop2_b32 v8, v5, v2 bitop3:0x14
	v_xor_b32_e32 v2, s4, v2
	s_mul_f32 s2, s2, 0x5f7ffffc
	s_delay_alu instid0(SALU_CYCLE_3) | instskip(NEXT) | instid1(SALU_CYCLE_3)
	s_mul_f32 s5, s2, 0x2f800000
	s_trunc_f32 s5, s5
	s_delay_alu instid0(SALU_CYCLE_3) | instskip(SKIP_1) | instid1(SALU_CYCLE_2)
	s_fmamk_f32 s2, s5, 0xcf800000, s2
	s_cvt_u32_f32 s15, s5
	s_cvt_u32_f32 s14, s2
	s_delay_alu instid0(SALU_CYCLE_3) | instskip(NEXT) | instid1(SALU_CYCLE_1)
	s_mul_u64 s[18:19], s[16:17], s[14:15]
	s_mul_hi_u32 s23, s14, s19
	s_mul_i32 s22, s14, s19
	s_mul_hi_u32 s20, s14, s18
	s_mul_i32 s5, s15, s18
	s_add_nc_u64 s[22:23], s[20:21], s[22:23]
	s_mul_hi_u32 s2, s15, s18
	s_mul_hi_u32 s24, s15, s19
	s_add_co_u32 s5, s22, s5
	s_add_co_ci_u32 s20, s23, s2
	s_mul_i32 s18, s15, s19
	s_add_co_ci_u32 s19, s24, 0
	s_delay_alu instid0(SALU_CYCLE_1) | instskip(NEXT) | instid1(SALU_CYCLE_1)
	s_add_nc_u64 s[18:19], s[20:21], s[18:19]
	s_add_co_u32 s14, s14, s18
	s_cselect_b32 s2, -1, 0
	s_delay_alu instid0(SALU_CYCLE_1) | instskip(SKIP_1) | instid1(SALU_CYCLE_1)
	s_cmp_lg_u32 s2, 0
	s_add_co_ci_u32 s15, s15, s19
	s_mul_u64 s[16:17], s[16:17], s[14:15]
	s_delay_alu instid0(SALU_CYCLE_1)
	s_mul_hi_u32 s19, s14, s17
	s_mul_i32 s18, s14, s17
	s_mul_hi_u32 s20, s14, s16
	s_mul_i32 s5, s15, s16
	s_add_nc_u64 s[18:19], s[20:21], s[18:19]
	s_mul_hi_u32 s2, s15, s16
	s_mul_hi_u32 s22, s15, s17
	s_add_co_u32 s5, s18, s5
	s_add_co_ci_u32 s20, s19, s2
	s_mul_i32 s16, s15, s17
	s_add_co_ci_u32 s17, s22, 0
	s_delay_alu instid0(SALU_CYCLE_1) | instskip(NEXT) | instid1(SALU_CYCLE_1)
	s_add_nc_u64 s[16:17], s[20:21], s[16:17]
	s_add_co_u32 s2, s14, s16
	s_cselect_b32 s5, -1, 0
	v_mul_hi_u32 v14, v6, s2
	s_cmp_lg_u32 s5, 0
	s_add_co_ci_u32 s20, s15, s17
	s_mov_b64 s[14:15], 0xffffffff
	v_mul_u64_e32 v[10:11], s[20:21], v[6:7]
	s_and_b64 s[14:15], s[2:3], s[14:15]
	v_mul_u64_e32 v[12:13], s[20:21], v[8:9]
	v_mul_u64_e32 v[4:5], s[14:15], v[8:9]
	s_delay_alu instid0(VALU_DEP_3) | instskip(NEXT) | instid1(VALU_DEP_1)
	v_add_nc_u64_e32 v[10:11], v[14:15], v[10:11]
	v_add_co_u32 v3, vcc_lo, v10, v4
	s_delay_alu instid0(VALU_DEP_2) | instskip(SKIP_1) | instid1(VALU_DEP_1)
	v_add_co_ci_u32_e32 v14, vcc_lo, v11, v5, vcc_lo
	v_add_co_ci_u32_e32 v13, vcc_lo, 0, v13, vcc_lo
	v_add_nc_u64_e32 v[4:5], v[14:15], v[12:13]
	s_delay_alu instid0(VALU_DEP_1) | instskip(NEXT) | instid1(VALU_DEP_1)
	v_mul_u64_e32 v[10:11], s[12:13], v[4:5]
	v_sub_nc_u32_e32 v3, v8, v11
	s_delay_alu instid0(VALU_DEP_2) | instskip(NEXT) | instid1(VALU_DEP_1)
	v_sub_co_u32 v6, vcc_lo, v6, v10
	v_sub_co_ci_u32_e64 v10, null, v8, v11, vcc_lo
	s_delay_alu instid0(VALU_DEP_3) | instskip(NEXT) | instid1(VALU_DEP_3)
	v_subrev_co_ci_u32_e64 v3, null, s13, v3, vcc_lo
	v_sub_co_u32 v7, s2, v6, s12
	s_delay_alu instid0(VALU_DEP_1) | instskip(NEXT) | instid1(VALU_DEP_2)
	v_subrev_co_ci_u32_e64 v3, null, 0, v3, s2
	v_cmp_le_u32_e32 vcc_lo, s12, v7
	v_cndmask_b32_e64 v7, 0, -1, vcc_lo
	s_delay_alu instid0(VALU_DEP_3)
	v_cmp_le_u32_e32 vcc_lo, s13, v3
	v_cndmask_b32_e64 v8, 0, -1, vcc_lo
	v_cmp_le_u32_e32 vcc_lo, s12, v6
	v_cndmask_b32_e64 v11, 0, -1, vcc_lo
	;; [unrolled: 2-line block ×3, first 2 shown]
	v_cmp_eq_u32_e32 vcc_lo, s13, v3
	v_cndmask_b32_e32 v3, v8, v7, vcc_lo
	v_cmp_eq_u32_e32 vcc_lo, s13, v10
	v_add_nc_u64_e32 v[6:7], 2, v[4:5]
	v_add_nc_u64_e32 v[8:9], 1, v[4:5]
	v_cndmask_b32_e32 v10, v12, v11, vcc_lo
	v_cmp_ne_u32_e32 vcc_lo, 0, v3
	s_delay_alu instid0(VALU_DEP_2) | instskip(NEXT) | instid1(VALU_DEP_4)
	v_cmp_ne_u32_e64 s2, 0, v10
	v_dual_cndmask_b32 v6, v8, v6 :: v_dual_cndmask_b32 v3, v9, v7
	s_delay_alu instid0(VALU_DEP_1) | instskip(NEXT) | instid1(VALU_DEP_1)
	v_dual_cndmask_b32 v4, v4, v6, s2 :: v_dual_cndmask_b32 v5, v5, v3, s2
	v_dual_mov_b32 v3, v2 :: v_dual_bitop2_b32 v4, v4, v2 bitop3:0x14
	s_delay_alu instid0(VALU_DEP_2) | instskip(NEXT) | instid1(VALU_DEP_1)
	v_xor_b32_e32 v5, v5, v2
	v_sub_nc_u64_e32 v[4:5], v[4:5], v[2:3]
.LBB42_3:
	s_or_saveexec_b32 s2, s3
	s_clause 0x1
	s_load_b256 s[12:19], s[0:1], 0x8
	s_load_b256 s[20:27], s[0:1], 0x60
	s_xor_b32 exec_lo, exec_lo, s2
	s_cbranch_execz .LBB42_5
; %bb.4:
	v_cvt_f32_u32_e32 v2, s6
	s_sub_co_i32 s3, 0, s6
	s_delay_alu instid0(VALU_DEP_1) | instskip(SKIP_1) | instid1(TRANS32_DEP_1)
	v_rcp_iflag_f32_e32 v2, v2
	v_nop
	v_mul_f32_e32 v2, 0x4f7ffffe, v2
	s_delay_alu instid0(VALU_DEP_1) | instskip(NEXT) | instid1(VALU_DEP_1)
	v_cvt_u32_f32_e32 v2, v2
	v_mul_lo_u32 v3, s3, v2
	s_delay_alu instid0(VALU_DEP_1) | instskip(NEXT) | instid1(VALU_DEP_1)
	v_mul_hi_u32 v3, v2, v3
	v_add_nc_u32_e32 v2, v2, v3
	s_delay_alu instid0(VALU_DEP_1) | instskip(NEXT) | instid1(VALU_DEP_1)
	v_mul_hi_u32 v2, v0, v2
	v_mul_lo_u32 v3, v2, s6
	s_delay_alu instid0(VALU_DEP_1) | instskip(NEXT) | instid1(VALU_DEP_1)
	v_dual_add_nc_u32 v4, 1, v2 :: v_dual_sub_nc_u32 v3, v0, v3
	v_subrev_nc_u32_e32 v5, s6, v3
	v_cmp_le_u32_e32 vcc_lo, s6, v3
	s_delay_alu instid0(VALU_DEP_2) | instskip(NEXT) | instid1(VALU_DEP_4)
	v_dual_cndmask_b32 v3, v3, v5, vcc_lo :: v_dual_mov_b32 v5, 0
	v_cndmask_b32_e32 v2, v2, v4, vcc_lo
	s_delay_alu instid0(VALU_DEP_2) | instskip(NEXT) | instid1(VALU_DEP_2)
	v_cmp_le_u32_e32 vcc_lo, s6, v3
	v_add_nc_u32_e32 v4, 1, v2
	s_delay_alu instid0(VALU_DEP_1)
	v_cndmask_b32_e32 v4, v2, v4, vcc_lo
.LBB42_5:
	s_or_b32 exec_lo, exec_lo, s2
	v_dual_mov_b32 v6, 0 :: v_dual_bitop2_b32 v7, s29, v5 bitop3:0x54
                                        ; implicit-def: $vgpr2_vgpr3
	s_mov_b32 s2, exec_lo
	s_delay_alu instid0(VALU_DEP_1)
	v_cmpx_ne_u64_e32 0, v[6:7]
	s_xor_b32 s3, exec_lo, s2
	s_cbranch_execz .LBB42_7
; %bb.6:
	s_ashr_i32 s4, s29, 31
	s_mov_b32 s41, 0
	s_mov_b32 s5, s4
	v_dual_mov_b32 v11, v6 :: v_dual_ashrrev_i32 v2, 31, v5
	s_wait_kmcnt 0x0
	s_add_nc_u64 s[26:27], s[28:29], s[4:5]
	v_dual_mov_b32 v19, v6 :: v_dual_mov_b32 v7, v6
	s_xor_b64 s[26:27], s[26:27], s[4:5]
	v_mov_b32_e32 v3, v2
	s_cvt_f32_u32 s2, s26
	s_cvt_f32_u32 s5, s27
	s_sub_nc_u64 s[36:37], 0, s[26:27]
	s_delay_alu instid0(VALU_DEP_1) | instskip(NEXT) | instid1(SALU_CYCLE_1)
	v_add_nc_u64_e32 v[8:9], v[4:5], v[2:3]
	s_fmamk_f32 s2, s5, 0x4f800000, s2
	v_mov_b32_e32 v13, v6
	s_delay_alu instid0(SALU_CYCLE_2) | instskip(NEXT) | instid1(VALU_DEP_2)
	v_s_rcp_f32 s2, s2
	v_xor_b32_e32 v10, v8, v2
	s_delay_alu instid0(VALU_DEP_3) | instskip(SKIP_1) | instid1(TRANS32_DEP_1)
	v_xor_b32_e32 v12, v9, v2
	v_xor_b32_e32 v2, s4, v2
	s_mul_f32 s2, s2, 0x5f7ffffc
	s_delay_alu instid0(SALU_CYCLE_3) | instskip(NEXT) | instid1(SALU_CYCLE_3)
	s_mul_f32 s5, s2, 0x2f800000
	s_trunc_f32 s5, s5
	s_delay_alu instid0(SALU_CYCLE_3) | instskip(SKIP_1) | instid1(SALU_CYCLE_2)
	s_fmamk_f32 s2, s5, 0xcf800000, s2
	s_cvt_u32_f32 s35, s5
	s_cvt_u32_f32 s34, s2
	s_delay_alu instid0(SALU_CYCLE_3) | instskip(NEXT) | instid1(SALU_CYCLE_1)
	s_mul_u64 s[38:39], s[36:37], s[34:35]
	s_mul_hi_u32 s43, s34, s39
	s_mul_i32 s42, s34, s39
	s_mul_hi_u32 s40, s34, s38
	s_mul_i32 s5, s35, s38
	s_add_nc_u64 s[42:43], s[40:41], s[42:43]
	s_mul_hi_u32 s2, s35, s38
	s_mul_hi_u32 s33, s35, s39
	s_add_co_u32 s5, s42, s5
	s_add_co_ci_u32 s40, s43, s2
	s_mul_i32 s38, s35, s39
	s_add_co_ci_u32 s39, s33, 0
	s_delay_alu instid0(SALU_CYCLE_1) | instskip(NEXT) | instid1(SALU_CYCLE_1)
	s_add_nc_u64 s[38:39], s[40:41], s[38:39]
	s_add_co_u32 s34, s34, s38
	s_cselect_b32 s2, -1, 0
	s_delay_alu instid0(SALU_CYCLE_1) | instskip(SKIP_1) | instid1(SALU_CYCLE_1)
	s_cmp_lg_u32 s2, 0
	s_add_co_ci_u32 s35, s35, s39
	s_mul_u64 s[36:37], s[36:37], s[34:35]
	s_delay_alu instid0(SALU_CYCLE_1)
	s_mul_hi_u32 s39, s34, s37
	s_mul_i32 s38, s34, s37
	s_mul_hi_u32 s40, s34, s36
	s_mul_i32 s5, s35, s36
	s_add_nc_u64 s[38:39], s[40:41], s[38:39]
	s_mul_hi_u32 s2, s35, s36
	s_mul_hi_u32 s33, s35, s37
	s_add_co_u32 s5, s38, s5
	s_add_co_ci_u32 s40, s39, s2
	s_mul_i32 s36, s35, s37
	s_add_co_ci_u32 s37, s33, 0
	s_delay_alu instid0(SALU_CYCLE_1) | instskip(NEXT) | instid1(SALU_CYCLE_1)
	s_add_nc_u64 s[36:37], s[40:41], s[36:37]
	s_add_co_u32 s2, s34, s36
	s_cselect_b32 s5, -1, 0
	v_mul_hi_u32 v18, v10, s2
	s_cmp_lg_u32 s5, 0
	s_add_co_ci_u32 s40, s35, s37
	s_mov_b64 s[34:35], 0xffffffff
	v_mul_u64_e32 v[14:15], s[40:41], v[10:11]
	s_and_b64 s[34:35], s[2:3], s[34:35]
	v_mul_u64_e32 v[16:17], s[40:41], v[12:13]
	v_mul_u64_e32 v[8:9], s[34:35], v[12:13]
	s_delay_alu instid0(VALU_DEP_3) | instskip(NEXT) | instid1(VALU_DEP_1)
	v_add_nc_u64_e32 v[14:15], v[18:19], v[14:15]
	v_add_co_u32 v3, vcc_lo, v14, v8
	s_delay_alu instid0(VALU_DEP_2) | instskip(SKIP_1) | instid1(VALU_DEP_1)
	v_add_co_ci_u32_e32 v6, vcc_lo, v15, v9, vcc_lo
	v_add_co_ci_u32_e32 v17, vcc_lo, 0, v17, vcc_lo
	v_add_nc_u64_e32 v[6:7], v[6:7], v[16:17]
	s_delay_alu instid0(VALU_DEP_1) | instskip(NEXT) | instid1(VALU_DEP_1)
	v_mul_u64_e32 v[8:9], s[26:27], v[6:7]
	v_sub_nc_u32_e32 v3, v12, v9
	s_delay_alu instid0(VALU_DEP_2) | instskip(NEXT) | instid1(VALU_DEP_1)
	v_sub_co_u32 v8, vcc_lo, v10, v8
	v_sub_co_ci_u32_e64 v12, null, v12, v9, vcc_lo
	s_delay_alu instid0(VALU_DEP_3) | instskip(NEXT) | instid1(VALU_DEP_3)
	v_subrev_co_ci_u32_e64 v3, null, s27, v3, vcc_lo
	v_sub_co_u32 v10, s2, v8, s26
	s_delay_alu instid0(VALU_DEP_1) | instskip(NEXT) | instid1(VALU_DEP_2)
	v_subrev_co_ci_u32_e64 v3, null, 0, v3, s2
	v_cmp_le_u32_e32 vcc_lo, s26, v10
	v_cndmask_b32_e64 v9, 0, -1, vcc_lo
	s_delay_alu instid0(VALU_DEP_3)
	v_cmp_le_u32_e32 vcc_lo, s27, v3
	v_cndmask_b32_e64 v10, 0, -1, vcc_lo
	v_cmp_le_u32_e32 vcc_lo, s26, v8
	v_cndmask_b32_e64 v13, 0, -1, vcc_lo
	;; [unrolled: 2-line block ×3, first 2 shown]
	v_cmp_eq_u32_e32 vcc_lo, s27, v3
	v_cndmask_b32_e32 v3, v10, v9, vcc_lo
	v_cmp_eq_u32_e32 vcc_lo, s27, v12
	v_add_nc_u64_e32 v[8:9], 2, v[6:7]
	v_add_nc_u64_e32 v[10:11], 1, v[6:7]
	v_cndmask_b32_e32 v12, v14, v13, vcc_lo
	v_cmp_ne_u32_e32 vcc_lo, 0, v3
	s_delay_alu instid0(VALU_DEP_2) | instskip(NEXT) | instid1(VALU_DEP_4)
	v_cmp_ne_u32_e64 s2, 0, v12
	v_dual_cndmask_b32 v8, v10, v8 :: v_dual_cndmask_b32 v3, v11, v9
	s_delay_alu instid0(VALU_DEP_1) | instskip(SKIP_1) | instid1(VALU_DEP_2)
	v_dual_cndmask_b32 v6, v6, v8, s2 :: v_dual_cndmask_b32 v7, v7, v3, s2
	v_mov_b32_e32 v3, v2
	v_xor_b32_e32 v6, v6, v2
	s_delay_alu instid0(VALU_DEP_3) | instskip(NEXT) | instid1(VALU_DEP_1)
	v_xor_b32_e32 v7, v7, v2
	v_sub_nc_u64_e32 v[2:3], v[6:7], v[2:3]
.LBB42_7:
	s_and_not1_saveexec_b32 s2, s3
	s_cbranch_execz .LBB42_9
; %bb.8:
	v_cvt_f32_u32_e32 v2, s28
	s_sub_co_i32 s3, 0, s28
	s_delay_alu instid0(VALU_DEP_1) | instskip(SKIP_1) | instid1(TRANS32_DEP_1)
	v_rcp_iflag_f32_e32 v2, v2
	v_nop
	v_mul_f32_e32 v2, 0x4f7ffffe, v2
	s_delay_alu instid0(VALU_DEP_1) | instskip(NEXT) | instid1(VALU_DEP_1)
	v_cvt_u32_f32_e32 v2, v2
	v_mul_lo_u32 v3, s3, v2
	s_delay_alu instid0(VALU_DEP_1) | instskip(NEXT) | instid1(VALU_DEP_1)
	v_mul_hi_u32 v3, v2, v3
	v_add_nc_u32_e32 v2, v2, v3
	s_delay_alu instid0(VALU_DEP_1) | instskip(NEXT) | instid1(VALU_DEP_1)
	v_mul_hi_u32 v2, v4, v2
	v_mul_lo_u32 v3, v2, s28
	s_delay_alu instid0(VALU_DEP_1) | instskip(NEXT) | instid1(VALU_DEP_1)
	v_sub_nc_u32_e32 v3, v4, v3
	v_subrev_nc_u32_e32 v7, s28, v3
	v_cmp_le_u32_e32 vcc_lo, s28, v3
	s_delay_alu instid0(VALU_DEP_2) | instskip(NEXT) | instid1(VALU_DEP_1)
	v_dual_cndmask_b32 v3, v3, v7 :: v_dual_add_nc_u32 v6, 1, v2
	v_cndmask_b32_e32 v2, v2, v6, vcc_lo
	s_delay_alu instid0(VALU_DEP_2) | instskip(NEXT) | instid1(VALU_DEP_2)
	v_cmp_le_u32_e32 vcc_lo, s28, v3
	v_dual_mov_b32 v3, 0 :: v_dual_add_nc_u32 v6, 1, v2
	s_delay_alu instid0(VALU_DEP_1)
	v_cndmask_b32_e32 v2, v2, v6, vcc_lo
.LBB42_9:
	s_or_b32 exec_lo, exec_lo, s2
	s_add_nc_u64 s[2:3], s[28:29], 1
	s_delay_alu instid0(VALU_DEP_1) | instskip(SKIP_2) | instid1(SALU_CYCLE_1)
	v_mul_u64_e32 v[8:9], s[28:29], v[2:3]
	s_wait_kmcnt 0x0
	s_mul_u64 s[2:3], s[24:25], s[2:3]
	v_mul_u64_e32 v[10:11], s[2:3], v[2:3]
	s_delay_alu instid0(VALU_DEP_2) | instskip(SKIP_1) | instid1(VALU_DEP_3)
	v_sub_nc_u64_e32 v[6:7], v[4:5], v[8:9]
	v_mul_u64_e32 v[4:5], s[6:7], v[4:5]
	v_lshl_add_u64 v[10:11], v[10:11], 2, s[18:19]
	s_delay_alu instid0(VALU_DEP_1)
	v_lshl_add_u64 v[10:11], v[6:7], 2, v[10:11]
	global_load_b64 v[10:11], v[10:11], off
	s_clause 0x1
	s_load_b64 s[2:3], s[0:1], 0x38
	s_load_b32 s6, s[0:1], 0x0
	s_wait_xcnt 0x0
	s_mov_b32 s1, exec_lo
	s_wait_kmcnt 0x0
	v_mov_b32_e32 v14, s3
	s_wait_loadcnt 0x0
	v_cmpx_lt_i32_e64 v10, v11
	s_cbranch_execz .LBB42_28
; %bb.10:
	v_mul_u64_e32 v[12:13], s[10:11], v[2:3]
	v_dual_mov_b32 v14, v10 :: v_dual_ashrrev_i32 v15, 31, v10
	v_lshlrev_b64_e32 v[16:17], 2, v[0:1]
	s_cmp_lg_u32 s6, 0
	s_cselect_b32 s7, -1, 0
	s_delay_alu instid0(VALU_DEP_2) | instskip(SKIP_1) | instid1(SALU_CYCLE_1)
	v_lshlrev_b64_e32 v[14:15], 2, v[14:15]
	s_and_b32 s0, s6, -3
	s_cmp_lg_u32 s0, 1
	s_cselect_b32 s10, -1, 0
	s_lshl_b64 s[4:5], s[8:9], 2
	s_delay_alu instid0(VALU_DEP_1) | instskip(NEXT) | instid1(VALU_DEP_1)
	v_lshl_add_u64 v[12:13], v[12:13], 2, v[14:15]
	v_mad_nc_u64_u32 v[14:15], s8, v12, v[16:17]
	s_delay_alu instid0(VALU_DEP_1) | instskip(NEXT) | instid1(VALU_DEP_1)
	v_mad_u32 v12, s9, v12, v15
	v_mad_u32 v15, s8, v13, v12
	v_lshlrev_b64_e32 v[12:13], 2, v[4:5]
	s_delay_alu instid0(VALU_DEP_1) | instskip(SKIP_2) | instid1(VALU_DEP_2)
	v_sub_nc_u64_e32 v[12:13], v[14:15], v[12:13]
	v_mov_b32_e32 v15, s3
	s_mov_b32 s3, 0
	v_add_nc_u64_e32 v[12:13], s[14:15], v[12:13]
	s_branch .LBB42_12
.LBB42_11:                              ;   in Loop: Header=BB42_12 Depth=1
	s_delay_alu instid0(VALU_DEP_1) | instskip(SKIP_2) | instid1(VALU_DEP_2)
	v_dual_mov_b32 v15, v14 :: v_dual_add_nc_u32 v10, 1, v10
	s_wait_xcnt 0x0
	v_add_nc_u64_e32 v[12:13], s[4:5], v[12:13]
	v_cmp_ge_i32_e32 vcc_lo, v10, v11
	s_or_b32 s3, vcc_lo, s3
	s_delay_alu instid0(SALU_CYCLE_1)
	s_and_not1_b32 exec_lo, exec_lo, s3
	s_cbranch_execz .LBB42_27
.LBB42_12:                              ; =>This Inner Loop Header: Depth=1
	s_wait_loadcnt 0x0
	global_load_b32 v16, v[12:13], off
	s_and_b32 vcc_lo, exec_lo, s7
	s_cbranch_vccz .LBB42_25
; %bb.13:                               ;   in Loop: Header=BB42_12 Depth=1
	s_and_b32 vcc_lo, exec_lo, s10
	s_mov_b32 s0, -1
                                        ; implicit-def: $vgpr14
	s_cbranch_vccz .LBB42_22
; %bb.14:                               ;   in Loop: Header=BB42_12 Depth=1
	s_cmp_lt_i32 s6, 4
                                        ; implicit-def: $vgpr14
	s_cbranch_scc1 .LBB42_18
; %bb.15:                               ;   in Loop: Header=BB42_12 Depth=1
	v_mov_b32_e32 v14, v15
	s_cmp_eq_u32 s6, 4
	s_cbranch_scc0 .LBB42_17
; %bb.16:                               ;   in Loop: Header=BB42_12 Depth=1
	s_wait_loadcnt 0x0
	v_mul_f32_e32 v14, v16, v15
.LBB42_17:                              ;   in Loop: Header=BB42_12 Depth=1
	s_mov_b32 s0, 0
.LBB42_18:                              ;   in Loop: Header=BB42_12 Depth=1
	s_delay_alu instid0(SALU_CYCLE_1)
	s_and_not1_b32 vcc_lo, exec_lo, s0
	s_cbranch_vccnz .LBB42_21
; %bb.19:                               ;   in Loop: Header=BB42_12 Depth=1
	v_mov_b32_e32 v14, v15
	s_cmp_lg_u32 s6, 2
	s_cbranch_scc1 .LBB42_21
; %bb.20:                               ;   in Loop: Header=BB42_12 Depth=1
	s_wait_loadcnt 0x0
	v_cmp_u_f32_e32 vcc_lo, v16, v16
	v_cmp_lt_f32_e64 s0, v16, v15
	s_or_b32 vcc_lo, vcc_lo, s0
	v_cndmask_b32_e32 v14, v15, v16, vcc_lo
.LBB42_21:                              ;   in Loop: Header=BB42_12 Depth=1
	s_mov_b32 s0, 0
.LBB42_22:                              ;   in Loop: Header=BB42_12 Depth=1
	s_delay_alu instid0(SALU_CYCLE_1)
	s_and_b32 vcc_lo, exec_lo, s0
	s_cbranch_vccz .LBB42_24
; %bb.23:                               ;   in Loop: Header=BB42_12 Depth=1
	s_wait_loadcnt 0x0
	v_add_f32_e32 v14, v16, v15
.LBB42_24:                              ;   in Loop: Header=BB42_12 Depth=1
	s_cbranch_execnz .LBB42_11
	s_branch .LBB42_26
.LBB42_25:                              ;   in Loop: Header=BB42_12 Depth=1
                                        ; implicit-def: $vgpr14
.LBB42_26:                              ;   in Loop: Header=BB42_12 Depth=1
	s_wait_loadcnt 0x0
	v_cmp_u_f32_e32 vcc_lo, v16, v16
	v_cmp_lt_f32_e64 s0, v15, v16
	s_or_b32 vcc_lo, vcc_lo, s0
	v_cndmask_b32_e32 v14, v15, v16, vcc_lo
	s_branch .LBB42_11
.LBB42_27:
	s_or_b32 exec_lo, exec_lo, s3
.LBB42_28:
	s_delay_alu instid0(SALU_CYCLE_1) | instskip(SKIP_2) | instid1(VALU_DEP_1)
	s_or_b32 exec_lo, exec_lo, s1
	v_mul_u64_e32 v[8:9], s[30:31], v[8:9]
	s_mov_b32 s0, exec_lo
	v_lshl_add_u64 v[8:9], v[8:9], 2, s[16:17]
	s_delay_alu instid0(VALU_DEP_1)
	v_lshl_add_u64 v[8:9], v[6:7], 2, v[8:9]
	global_load_b32 v8, v[8:9], off
	s_wait_loadcnt 0x0
	v_cmpx_lt_i32_e32 -1, v8
	s_xor_b32 s1, exec_lo, s0
	s_cbranch_execz .LBB42_34
; %bb.29:
	v_cmp_ne_u32_e32 vcc_lo, 0, v8
	s_bitcmp1_b32 s2, 0
	v_mov_b32_e32 v9, 0x7fc00000
	s_cselect_b32 s0, -1, 0
	s_delay_alu instid0(SALU_CYCLE_1) | instskip(SKIP_2) | instid1(SALU_CYCLE_1)
	s_or_b32 s0, s0, vcc_lo
	s_cmp_lg_u32 s6, 1
	s_cselect_b32 s3, -1, 0
	s_or_b32 s0, s3, s0
	s_delay_alu instid0(SALU_CYCLE_1)
	s_and_saveexec_b32 s2, s0
	s_cbranch_execz .LBB42_33
; %bb.30:
	v_cmp_ne_u32_e32 vcc_lo, 0, v8
	v_cmp_o_f32_e64 s0, v14, v14
	s_xor_b32 s3, s3, -1
	s_delay_alu instid0(SALU_CYCLE_1) | instskip(NEXT) | instid1(SALU_CYCLE_1)
	s_and_b32 s3, s3, vcc_lo
	s_and_b32 s3, s3, s0
	s_delay_alu instid0(SALU_CYCLE_1)
	s_and_saveexec_b32 s0, s3
	s_cbranch_execz .LBB42_32
; %bb.31:
	v_cvt_f32_u32_e32 v8, v8
	s_delay_alu instid0(VALU_DEP_1) | instskip(NEXT) | instid1(VALU_DEP_1)
	v_div_scale_f32 v9, null, v8, v8, v14
	v_rcp_f32_e32 v10, v9
	v_nop
	s_delay_alu instid0(TRANS32_DEP_1) | instskip(NEXT) | instid1(VALU_DEP_1)
	v_fma_f32 v11, -v9, v10, 1.0
	v_fmac_f32_e32 v10, v11, v10
	v_div_scale_f32 v11, vcc_lo, v14, v8, v14
	s_delay_alu instid0(VALU_DEP_1) | instskip(NEXT) | instid1(VALU_DEP_1)
	v_mul_f32_e32 v12, v11, v10
	v_fma_f32 v13, -v9, v12, v11
	s_delay_alu instid0(VALU_DEP_1) | instskip(NEXT) | instid1(VALU_DEP_1)
	v_fmac_f32_e32 v12, v13, v10
	v_fma_f32 v9, -v9, v12, v11
	s_delay_alu instid0(VALU_DEP_1) | instskip(NEXT) | instid1(VALU_DEP_1)
	v_div_fmas_f32 v9, v9, v10, v12
	v_div_fixup_f32 v14, v9, v8, v14
.LBB42_32:
	s_or_b32 exec_lo, exec_lo, s0
	s_delay_alu instid0(VALU_DEP_1)
	v_mov_b32_e32 v9, v14
.LBB42_33:
	s_or_b32 exec_lo, exec_lo, s2
	s_mul_u64 s[2:3], s[22:23], s[20:21]
	v_mul_u64_e32 v[6:7], s[20:21], v[6:7]
	v_mul_u64_e32 v[2:3], s[2:3], v[2:3]
	v_sub_nc_u64_e32 v[0:1], v[0:1], v[4:5]
	s_delay_alu instid0(VALU_DEP_2) | instskip(NEXT) | instid1(VALU_DEP_1)
	v_lshl_add_u64 v[2:3], v[2:3], 2, s[12:13]
	v_lshl_add_u64 v[2:3], v[6:7], 2, v[2:3]
	s_delay_alu instid0(VALU_DEP_1)
	v_lshl_add_u64 v[0:1], v[0:1], 2, v[2:3]
	global_store_b32 v[0:1], v9, off
.LBB42_34:
	s_wait_xcnt 0x0
	s_and_not1_saveexec_b32 s0, s1
	s_cbranch_execnz .LBB42_36
.LBB42_35:
	s_endpgm
.LBB42_36:
	s_trap 2
	; divergent unreachable
	s_endpgm
	.section	.rodata,"a",@progbits
	.p2align	6, 0x0
	.amdhsa_kernel _ZN2at6native12_GLOBAL__N_129segment_reduce_forward_kernelIfiEEvNS0_13ReductionTypeEPT_PKS4_PKT0_SA_llbS4_lllllll
		.amdhsa_group_segment_fixed_size 0
		.amdhsa_private_segment_fixed_size 0
		.amdhsa_kernarg_size 376
		.amdhsa_user_sgpr_count 2
		.amdhsa_user_sgpr_dispatch_ptr 0
		.amdhsa_user_sgpr_queue_ptr 0
		.amdhsa_user_sgpr_kernarg_segment_ptr 1
		.amdhsa_user_sgpr_dispatch_id 0
		.amdhsa_user_sgpr_kernarg_preload_length 0
		.amdhsa_user_sgpr_kernarg_preload_offset 0
		.amdhsa_user_sgpr_private_segment_size 0
		.amdhsa_wavefront_size32 1
		.amdhsa_uses_dynamic_stack 0
		.amdhsa_enable_private_segment 0
		.amdhsa_system_sgpr_workgroup_id_x 1
		.amdhsa_system_sgpr_workgroup_id_y 0
		.amdhsa_system_sgpr_workgroup_id_z 0
		.amdhsa_system_sgpr_workgroup_info 0
		.amdhsa_system_vgpr_workitem_id 0
		.amdhsa_next_free_vgpr 20
		.amdhsa_next_free_sgpr 44
		.amdhsa_named_barrier_count 0
		.amdhsa_reserve_vcc 1
		.amdhsa_float_round_mode_32 0
		.amdhsa_float_round_mode_16_64 0
		.amdhsa_float_denorm_mode_32 3
		.amdhsa_float_denorm_mode_16_64 3
		.amdhsa_fp16_overflow 0
		.amdhsa_memory_ordered 1
		.amdhsa_forward_progress 1
		.amdhsa_inst_pref_size 20
		.amdhsa_round_robin_scheduling 0
		.amdhsa_exception_fp_ieee_invalid_op 0
		.amdhsa_exception_fp_denorm_src 0
		.amdhsa_exception_fp_ieee_div_zero 0
		.amdhsa_exception_fp_ieee_overflow 0
		.amdhsa_exception_fp_ieee_underflow 0
		.amdhsa_exception_fp_ieee_inexact 0
		.amdhsa_exception_int_div_zero 0
	.end_amdhsa_kernel
	.section	.text._ZN2at6native12_GLOBAL__N_129segment_reduce_forward_kernelIfiEEvNS0_13ReductionTypeEPT_PKS4_PKT0_SA_llbS4_lllllll,"axG",@progbits,_ZN2at6native12_GLOBAL__N_129segment_reduce_forward_kernelIfiEEvNS0_13ReductionTypeEPT_PKS4_PKT0_SA_llbS4_lllllll,comdat
.Lfunc_end42:
	.size	_ZN2at6native12_GLOBAL__N_129segment_reduce_forward_kernelIfiEEvNS0_13ReductionTypeEPT_PKS4_PKT0_SA_llbS4_lllllll, .Lfunc_end42-_ZN2at6native12_GLOBAL__N_129segment_reduce_forward_kernelIfiEEvNS0_13ReductionTypeEPT_PKS4_PKT0_SA_llbS4_lllllll
                                        ; -- End function
	.set _ZN2at6native12_GLOBAL__N_129segment_reduce_forward_kernelIfiEEvNS0_13ReductionTypeEPT_PKS4_PKT0_SA_llbS4_lllllll.num_vgpr, 20
	.set _ZN2at6native12_GLOBAL__N_129segment_reduce_forward_kernelIfiEEvNS0_13ReductionTypeEPT_PKS4_PKT0_SA_llbS4_lllllll.num_agpr, 0
	.set _ZN2at6native12_GLOBAL__N_129segment_reduce_forward_kernelIfiEEvNS0_13ReductionTypeEPT_PKS4_PKT0_SA_llbS4_lllllll.numbered_sgpr, 44
	.set _ZN2at6native12_GLOBAL__N_129segment_reduce_forward_kernelIfiEEvNS0_13ReductionTypeEPT_PKS4_PKT0_SA_llbS4_lllllll.num_named_barrier, 0
	.set _ZN2at6native12_GLOBAL__N_129segment_reduce_forward_kernelIfiEEvNS0_13ReductionTypeEPT_PKS4_PKT0_SA_llbS4_lllllll.private_seg_size, 0
	.set _ZN2at6native12_GLOBAL__N_129segment_reduce_forward_kernelIfiEEvNS0_13ReductionTypeEPT_PKS4_PKT0_SA_llbS4_lllllll.uses_vcc, 1
	.set _ZN2at6native12_GLOBAL__N_129segment_reduce_forward_kernelIfiEEvNS0_13ReductionTypeEPT_PKS4_PKT0_SA_llbS4_lllllll.uses_flat_scratch, 0
	.set _ZN2at6native12_GLOBAL__N_129segment_reduce_forward_kernelIfiEEvNS0_13ReductionTypeEPT_PKS4_PKT0_SA_llbS4_lllllll.has_dyn_sized_stack, 0
	.set _ZN2at6native12_GLOBAL__N_129segment_reduce_forward_kernelIfiEEvNS0_13ReductionTypeEPT_PKS4_PKT0_SA_llbS4_lllllll.has_recursion, 0
	.set _ZN2at6native12_GLOBAL__N_129segment_reduce_forward_kernelIfiEEvNS0_13ReductionTypeEPT_PKS4_PKT0_SA_llbS4_lllllll.has_indirect_call, 0
	.section	.AMDGPU.csdata,"",@progbits
; Kernel info:
; codeLenInByte = 2460
; TotalNumSgprs: 46
; NumVgprs: 20
; ScratchSize: 0
; MemoryBound: 0
; FloatMode: 240
; IeeeMode: 1
; LDSByteSize: 0 bytes/workgroup (compile time only)
; SGPRBlocks: 0
; VGPRBlocks: 1
; NumSGPRsForWavesPerEU: 46
; NumVGPRsForWavesPerEU: 20
; NamedBarCnt: 0
; Occupancy: 16
; WaveLimiterHint : 0
; COMPUTE_PGM_RSRC2:SCRATCH_EN: 0
; COMPUTE_PGM_RSRC2:USER_SGPR: 2
; COMPUTE_PGM_RSRC2:TRAP_HANDLER: 0
; COMPUTE_PGM_RSRC2:TGID_X_EN: 1
; COMPUTE_PGM_RSRC2:TGID_Y_EN: 0
; COMPUTE_PGM_RSRC2:TGID_Z_EN: 0
; COMPUTE_PGM_RSRC2:TIDIG_COMP_CNT: 0
	.section	.text._ZN7rocprim17ROCPRIM_400000_NS6detail17trampoline_kernelINS0_14default_configENS1_32segmented_reduce_config_selectorIfEEZNS1_21segmented_reduce_implIS3_PKfPfPKifN6hipcub16HIPCUB_304000_NS6detail27convert_result_type_wrapperIS8_S9_N2at6native12_GLOBAL__N_19CustomMaxEEEEE10hipError_tPvRmT0_T1_jT2_SQ_T4_T3_P12ihipStream_tbEUlT_E_NS1_11comp_targetILNS1_3genE0ELNS1_11target_archE4294967295ELNS1_3gpuE0ELNS1_3repE0EEENS1_30default_config_static_selectorELNS0_4arch9wavefront6targetE0EEEvSP_,"axG",@progbits,_ZN7rocprim17ROCPRIM_400000_NS6detail17trampoline_kernelINS0_14default_configENS1_32segmented_reduce_config_selectorIfEEZNS1_21segmented_reduce_implIS3_PKfPfPKifN6hipcub16HIPCUB_304000_NS6detail27convert_result_type_wrapperIS8_S9_N2at6native12_GLOBAL__N_19CustomMaxEEEEE10hipError_tPvRmT0_T1_jT2_SQ_T4_T3_P12ihipStream_tbEUlT_E_NS1_11comp_targetILNS1_3genE0ELNS1_11target_archE4294967295ELNS1_3gpuE0ELNS1_3repE0EEENS1_30default_config_static_selectorELNS0_4arch9wavefront6targetE0EEEvSP_,comdat
	.globl	_ZN7rocprim17ROCPRIM_400000_NS6detail17trampoline_kernelINS0_14default_configENS1_32segmented_reduce_config_selectorIfEEZNS1_21segmented_reduce_implIS3_PKfPfPKifN6hipcub16HIPCUB_304000_NS6detail27convert_result_type_wrapperIS8_S9_N2at6native12_GLOBAL__N_19CustomMaxEEEEE10hipError_tPvRmT0_T1_jT2_SQ_T4_T3_P12ihipStream_tbEUlT_E_NS1_11comp_targetILNS1_3genE0ELNS1_11target_archE4294967295ELNS1_3gpuE0ELNS1_3repE0EEENS1_30default_config_static_selectorELNS0_4arch9wavefront6targetE0EEEvSP_ ; -- Begin function _ZN7rocprim17ROCPRIM_400000_NS6detail17trampoline_kernelINS0_14default_configENS1_32segmented_reduce_config_selectorIfEEZNS1_21segmented_reduce_implIS3_PKfPfPKifN6hipcub16HIPCUB_304000_NS6detail27convert_result_type_wrapperIS8_S9_N2at6native12_GLOBAL__N_19CustomMaxEEEEE10hipError_tPvRmT0_T1_jT2_SQ_T4_T3_P12ihipStream_tbEUlT_E_NS1_11comp_targetILNS1_3genE0ELNS1_11target_archE4294967295ELNS1_3gpuE0ELNS1_3repE0EEENS1_30default_config_static_selectorELNS0_4arch9wavefront6targetE0EEEvSP_
	.p2align	8
	.type	_ZN7rocprim17ROCPRIM_400000_NS6detail17trampoline_kernelINS0_14default_configENS1_32segmented_reduce_config_selectorIfEEZNS1_21segmented_reduce_implIS3_PKfPfPKifN6hipcub16HIPCUB_304000_NS6detail27convert_result_type_wrapperIS8_S9_N2at6native12_GLOBAL__N_19CustomMaxEEEEE10hipError_tPvRmT0_T1_jT2_SQ_T4_T3_P12ihipStream_tbEUlT_E_NS1_11comp_targetILNS1_3genE0ELNS1_11target_archE4294967295ELNS1_3gpuE0ELNS1_3repE0EEENS1_30default_config_static_selectorELNS0_4arch9wavefront6targetE0EEEvSP_,@function
_ZN7rocprim17ROCPRIM_400000_NS6detail17trampoline_kernelINS0_14default_configENS1_32segmented_reduce_config_selectorIfEEZNS1_21segmented_reduce_implIS3_PKfPfPKifN6hipcub16HIPCUB_304000_NS6detail27convert_result_type_wrapperIS8_S9_N2at6native12_GLOBAL__N_19CustomMaxEEEEE10hipError_tPvRmT0_T1_jT2_SQ_T4_T3_P12ihipStream_tbEUlT_E_NS1_11comp_targetILNS1_3genE0ELNS1_11target_archE4294967295ELNS1_3gpuE0ELNS1_3repE0EEENS1_30default_config_static_selectorELNS0_4arch9wavefront6targetE0EEEvSP_: ; @_ZN7rocprim17ROCPRIM_400000_NS6detail17trampoline_kernelINS0_14default_configENS1_32segmented_reduce_config_selectorIfEEZNS1_21segmented_reduce_implIS3_PKfPfPKifN6hipcub16HIPCUB_304000_NS6detail27convert_result_type_wrapperIS8_S9_N2at6native12_GLOBAL__N_19CustomMaxEEEEE10hipError_tPvRmT0_T1_jT2_SQ_T4_T3_P12ihipStream_tbEUlT_E_NS1_11comp_targetILNS1_3genE0ELNS1_11target_archE4294967295ELNS1_3gpuE0ELNS1_3repE0EEENS1_30default_config_static_selectorELNS0_4arch9wavefront6targetE0EEEvSP_
; %bb.0:
	s_clause 0x1
	s_load_b256 s[4:11], s[0:1], 0x0
	s_load_b64 s[14:15], s[0:1], 0x20
	s_bfe_u32 s2, ttmp6, 0x4000c
	s_and_b32 s3, ttmp6, 15
	s_add_co_i32 s2, s2, 1
	s_getreg_b32 s12, hwreg(HW_REG_IB_STS2, 6, 4)
	s_mul_i32 s2, ttmp9, s2
	s_load_b32 s13, s[0:1], 0x2c
	s_add_co_i32 s3, s3, s2
	v_cmp_eq_u32_e32 vcc_lo, 0, v0
	s_wait_kmcnt 0x0
	s_lshl_b64 s[8:9], s[8:9], 2
	s_cmp_eq_u32 s12, 0
	s_add_nc_u64 s[0:1], s[10:11], s[8:9]
	s_cselect_b32 s2, ttmp9, s3
	s_add_nc_u64 s[16:17], s[14:15], s[8:9]
	s_load_b32 s10, s[0:1], s2 offset:0x0 scale_offset
	s_load_b32 s14, s[16:17], s2 offset:0x0 scale_offset
	s_mov_b32 s3, 0
	s_wait_xcnt 0x0
	s_mov_b32 s0, -1
	s_mov_b32 s12, 0
	s_wait_kmcnt 0x0
	s_cmp_gt_i32 s14, s10
	s_cbranch_scc1 .LBB43_2
; %bb.1:
	s_mov_b32 s0, 0
	s_and_b32 s12, vcc_lo, exec_lo
.LBB43_2:
	s_and_not1_b32 vcc_lo, exec_lo, s0
	s_cbranch_vccnz .LBB43_131
; %bb.3:
	s_add_co_i32 s0, s10, 0x1000
	s_delay_alu instid0(SALU_CYCLE_1)
	s_cmp_le_i32 s0, s14
	s_cbranch_scc0 .LBB43_132
; %bb.4:
	s_ashr_i32 s11, s10, 31
	s_mov_b32 s1, exec_lo
	s_lshl_b64 s[16:17], s[10:11], 2
	s_delay_alu instid0(SALU_CYCLE_1)
	s_add_nc_u64 s[16:17], s[4:5], s[16:17]
	s_clause 0xf
	global_load_b32 v16, v0, s[16:17] scale_offset
	global_load_b32 v1, v0, s[16:17] offset:1024 scale_offset
	global_load_b32 v2, v0, s[16:17] offset:2048 scale_offset
	;; [unrolled: 1-line block ×15, first 2 shown]
	s_wait_loadcnt 0xf
	v_mov_b32_e32 v17, v16
	s_wait_xcnt 0x0
	v_cmpx_o_f32_e32 v16, v16
	s_cbranch_execz .LBB43_8
; %bb.5:
	s_wait_loadcnt 0xe
	v_mov_b32_e32 v17, v1
	s_mov_b32 s11, exec_lo
	v_cmpx_o_f32_e32 v1, v1
; %bb.6:
	v_cmp_lt_f32_e32 vcc_lo, v16, v1
	v_cndmask_b32_e32 v17, v16, v1, vcc_lo
; %bb.7:
	s_or_b32 exec_lo, exec_lo, s11
.LBB43_8:
	s_delay_alu instid0(SALU_CYCLE_1) | instskip(NEXT) | instid1(SALU_CYCLE_1)
	s_or_b32 exec_lo, exec_lo, s1
	s_mov_b32 s1, exec_lo
	s_delay_alu instid0(VALU_DEP_1)
	v_cmpx_o_f32_e32 v17, v17
	s_cbranch_execz .LBB43_12
; %bb.9:
	s_wait_loadcnt 0xd
	v_mov_b32_e32 v18, v2
	s_mov_b32 s11, exec_lo
	v_cmpx_o_f32_e32 v2, v2
; %bb.10:
	v_cmp_lt_f32_e32 vcc_lo, v17, v2
	v_cndmask_b32_e32 v18, v17, v2, vcc_lo
; %bb.11:
	s_or_b32 exec_lo, exec_lo, s11
	s_delay_alu instid0(VALU_DEP_1)
	v_mov_b32_e32 v17, v18
.LBB43_12:
	s_or_b32 exec_lo, exec_lo, s1
	s_delay_alu instid0(SALU_CYCLE_1) | instskip(NEXT) | instid1(VALU_DEP_1)
	s_mov_b32 s1, exec_lo
	v_cmpx_o_f32_e32 v17, v17
	s_cbranch_execz .LBB43_16
; %bb.13:
	s_wait_loadcnt 0xc
	v_mov_b32_e32 v18, v3
	s_mov_b32 s11, exec_lo
	v_cmpx_o_f32_e32 v3, v3
; %bb.14:
	v_cmp_lt_f32_e32 vcc_lo, v17, v3
	v_cndmask_b32_e32 v18, v17, v3, vcc_lo
; %bb.15:
	s_or_b32 exec_lo, exec_lo, s11
	s_delay_alu instid0(VALU_DEP_1)
	v_mov_b32_e32 v17, v18
.LBB43_16:
	s_or_b32 exec_lo, exec_lo, s1
	s_delay_alu instid0(SALU_CYCLE_1) | instskip(NEXT) | instid1(VALU_DEP_1)
	s_mov_b32 s1, exec_lo
	;; [unrolled: 18-line block ×13, first 2 shown]
	v_cmpx_o_f32_e32 v17, v17
	s_cbranch_execz .LBB43_64
; %bb.61:
	s_wait_loadcnt 0x0
	v_mov_b32_e32 v18, v15
	s_mov_b32 s11, exec_lo
	v_cmpx_o_f32_e32 v15, v15
; %bb.62:
	v_cmp_lt_f32_e32 vcc_lo, v17, v15
	v_cndmask_b32_e32 v18, v17, v15, vcc_lo
; %bb.63:
	s_or_b32 exec_lo, exec_lo, s11
	s_delay_alu instid0(VALU_DEP_1)
	v_mov_b32_e32 v17, v18
.LBB43_64:
	s_or_b32 exec_lo, exec_lo, s1
	s_add_co_i32 s1, s10, 0x2000
	s_delay_alu instid0(SALU_CYCLE_1)
	s_cmp_ge_i32 s1, s14
	s_cbranch_scc1 .LBB43_133
; %bb.65:
	s_wait_loadcnt 0xc
	v_dual_mov_b32 v3, 0 :: v_dual_lshlrev_b32 v2, 2, v0
	s_delay_alu instid0(VALU_DEP_1)
	v_add_nc_u64_e32 v[18:19], s[4:5], v[2:3]
	s_branch .LBB43_68
.LBB43_66:                              ;   in Loop: Header=BB43_68 Depth=1
	s_or_b32 exec_lo, exec_lo, s11
	s_delay_alu instid0(VALU_DEP_1)
	v_mov_b32_e32 v17, v20
.LBB43_67:                              ;   in Loop: Header=BB43_68 Depth=1
	s_or_b32 exec_lo, exec_lo, s1
	s_add_co_i32 s1, s0, 0x2000
	s_addk_co_i32 s0, 0x1000
	s_cmp_lt_i32 s1, s14
	s_cbranch_scc0 .LBB43_133
.LBB43_68:                              ; =>This Inner Loop Header: Depth=1
	s_ashr_i32 s1, s0, 31
	s_delay_alu instid0(VALU_DEP_1) | instid1(SALU_CYCLE_1)
	v_lshl_add_u64 v[20:21], s[0:1], 2, v[18:19]
	s_mov_b32 s1, exec_lo
	s_wait_loadcnt 0xf
	global_load_b32 v16, v[20:21], off
	s_wait_loadcnt 0xf
	global_load_b32 v1, v[20:21], off offset:1024
	s_wait_loadcnt 0xf
	global_load_b32 v2, v[20:21], off offset:2048
	;; [unrolled: 2-line block ×15, first 2 shown]
	s_wait_xcnt 0x0
	v_cmpx_o_f32_e32 v17, v17
	s_cbranch_execz .LBB43_72
; %bb.69:                               ;   in Loop: Header=BB43_68 Depth=1
	s_wait_loadcnt 0xf
	v_mov_b32_e32 v20, v16
	s_mov_b32 s11, exec_lo
	v_cmpx_o_f32_e32 v16, v16
; %bb.70:                               ;   in Loop: Header=BB43_68 Depth=1
	v_cmp_lt_f32_e32 vcc_lo, v17, v16
	v_cndmask_b32_e32 v20, v17, v16, vcc_lo
; %bb.71:                               ;   in Loop: Header=BB43_68 Depth=1
	s_or_b32 exec_lo, exec_lo, s11
	s_delay_alu instid0(VALU_DEP_1)
	v_mov_b32_e32 v17, v20
.LBB43_72:                              ;   in Loop: Header=BB43_68 Depth=1
	s_or_b32 exec_lo, exec_lo, s1
	s_delay_alu instid0(SALU_CYCLE_1) | instskip(NEXT) | instid1(VALU_DEP_1)
	s_mov_b32 s1, exec_lo
	v_cmpx_o_f32_e32 v17, v17
	s_cbranch_execz .LBB43_76
; %bb.73:                               ;   in Loop: Header=BB43_68 Depth=1
	s_wait_loadcnt 0xe
	v_mov_b32_e32 v20, v1
	s_mov_b32 s11, exec_lo
	v_cmpx_o_f32_e32 v1, v1
; %bb.74:                               ;   in Loop: Header=BB43_68 Depth=1
	v_cmp_lt_f32_e32 vcc_lo, v17, v1
	v_cndmask_b32_e32 v20, v17, v1, vcc_lo
; %bb.75:                               ;   in Loop: Header=BB43_68 Depth=1
	s_or_b32 exec_lo, exec_lo, s11
	s_delay_alu instid0(VALU_DEP_1)
	v_mov_b32_e32 v17, v20
.LBB43_76:                              ;   in Loop: Header=BB43_68 Depth=1
	s_or_b32 exec_lo, exec_lo, s1
	s_delay_alu instid0(SALU_CYCLE_1) | instskip(NEXT) | instid1(VALU_DEP_1)
	s_mov_b32 s1, exec_lo
	;; [unrolled: 18-line block ×7, first 2 shown]
	v_cmpx_o_f32_e32 v17, v17
	s_cbranch_execz .LBB43_100
; %bb.97:                               ;   in Loop: Header=BB43_68 Depth=1
	s_wait_loadcnt 0x8
	v_mov_b32_e32 v20, v7
	s_mov_b32 s11, exec_lo
	v_cmpx_o_f32_e32 v7, v7
; %bb.98:                               ;   in Loop: Header=BB43_68 Depth=1
	v_cmp_lt_f32_e32 vcc_lo, v17, v7
	v_cndmask_b32_e32 v20, v17, v7, vcc_lo
; %bb.99:                               ;   in Loop: Header=BB43_68 Depth=1
	s_or_b32 exec_lo, exec_lo, s11
	s_delay_alu instid0(VALU_DEP_1)
	v_mov_b32_e32 v17, v20
.LBB43_100:                             ;   in Loop: Header=BB43_68 Depth=1
	s_or_b32 exec_lo, exec_lo, s1
	s_delay_alu instid0(SALU_CYCLE_1) | instskip(NEXT) | instid1(VALU_DEP_1)
	s_mov_b32 s1, exec_lo
	v_cmpx_o_f32_e32 v17, v17
	s_cbranch_execz .LBB43_104
; %bb.101:                              ;   in Loop: Header=BB43_68 Depth=1
	s_wait_loadcnt 0x7
	v_mov_b32_e32 v20, v8
	s_mov_b32 s11, exec_lo
	v_cmpx_o_f32_e32 v8, v8
; %bb.102:                              ;   in Loop: Header=BB43_68 Depth=1
	v_cmp_lt_f32_e32 vcc_lo, v17, v8
	v_cndmask_b32_e32 v20, v17, v8, vcc_lo
; %bb.103:                              ;   in Loop: Header=BB43_68 Depth=1
	s_or_b32 exec_lo, exec_lo, s11
	s_delay_alu instid0(VALU_DEP_1)
	v_mov_b32_e32 v17, v20
.LBB43_104:                             ;   in Loop: Header=BB43_68 Depth=1
	s_or_b32 exec_lo, exec_lo, s1
	s_delay_alu instid0(SALU_CYCLE_1) | instskip(NEXT) | instid1(VALU_DEP_1)
	s_mov_b32 s1, exec_lo
	v_cmpx_o_f32_e32 v17, v17
	s_cbranch_execz .LBB43_108
; %bb.105:                              ;   in Loop: Header=BB43_68 Depth=1
	s_wait_loadcnt 0x6
	v_mov_b32_e32 v20, v9
	s_mov_b32 s11, exec_lo
	v_cmpx_o_f32_e32 v9, v9
; %bb.106:                              ;   in Loop: Header=BB43_68 Depth=1
	v_cmp_lt_f32_e32 vcc_lo, v17, v9
	v_cndmask_b32_e32 v20, v17, v9, vcc_lo
; %bb.107:                              ;   in Loop: Header=BB43_68 Depth=1
	s_or_b32 exec_lo, exec_lo, s11
	s_delay_alu instid0(VALU_DEP_1)
	v_mov_b32_e32 v17, v20
.LBB43_108:                             ;   in Loop: Header=BB43_68 Depth=1
	;; [unrolled: 18-line block ×7, first 2 shown]
	s_or_b32 exec_lo, exec_lo, s1
	s_delay_alu instid0(SALU_CYCLE_1) | instskip(NEXT) | instid1(VALU_DEP_1)
	s_mov_b32 s1, exec_lo
	v_cmpx_o_f32_e32 v17, v17
	s_cbranch_execz .LBB43_67
; %bb.129:                              ;   in Loop: Header=BB43_68 Depth=1
	s_wait_loadcnt 0x0
	v_mov_b32_e32 v20, v15
	s_mov_b32 s11, exec_lo
	v_cmpx_o_f32_e32 v15, v15
	s_cbranch_execz .LBB43_66
; %bb.130:                              ;   in Loop: Header=BB43_68 Depth=1
	v_cmp_lt_f32_e32 vcc_lo, v17, v15
	v_cndmask_b32_e32 v20, v17, v15, vcc_lo
	s_branch .LBB43_66
.LBB43_131:
	v_mov_b32_e32 v2, s13
	s_and_saveexec_b32 s0, s12
	s_cbranch_execnz .LBB43_371
	s_branch .LBB43_372
.LBB43_132:
                                        ; implicit-def: $vgpr1
	s_cbranch_execnz .LBB43_266
	s_branch .LBB43_364
.LBB43_133:
	s_ashr_i32 s1, s0, 31
	s_sub_co_i32 s11, s14, s0
	s_lshl_b64 s[0:1], s[0:1], 2
	s_mov_b32 s15, exec_lo
	s_add_nc_u64 s[0:1], s[4:5], s[0:1]
	v_cmpx_gt_u32_e64 s11, v0
	s_cbranch_execz .LBB43_135
; %bb.134:
	s_wait_loadcnt 0xf
	global_load_b32 v16, v0, s[0:1] scale_offset
.LBB43_135:
	s_wait_xcnt 0x0
	s_or_b32 exec_lo, exec_lo, s15
	v_or_b32_e32 v32, 0x100, v0
	s_mov_b32 s15, exec_lo
	s_delay_alu instid0(VALU_DEP_1)
	v_cmpx_gt_u32_e64 s11, v32
	s_cbranch_execz .LBB43_137
; %bb.136:
	s_wait_loadcnt 0xe
	global_load_b32 v1, v0, s[0:1] offset:1024 scale_offset
.LBB43_137:
	s_wait_xcnt 0x0
	s_or_b32 exec_lo, exec_lo, s15
	v_or_b32_e32 v31, 0x200, v0
	s_mov_b32 s15, exec_lo
	s_delay_alu instid0(VALU_DEP_1)
	v_cmpx_gt_u32_e64 s11, v31
	s_cbranch_execz .LBB43_139
; %bb.138:
	s_wait_loadcnt 0xd
	global_load_b32 v2, v0, s[0:1] offset:2048 scale_offset
.LBB43_139:
	;; [unrolled: 11-line block ×15, first 2 shown]
	s_wait_xcnt 0x0
	s_or_b32 exec_lo, exec_lo, s15
	v_cmp_gt_u32_e32 vcc_lo, s11, v0
	v_cmp_o_f32_e64 s0, v17, v17
	s_and_b32 s1, vcc_lo, s0
	s_delay_alu instid0(SALU_CYCLE_1)
	s_and_saveexec_b32 s0, s1
	s_cbranch_execz .LBB43_169
; %bb.166:
	s_mov_b32 s1, exec_lo
	s_wait_loadcnt 0x0
	v_cmpx_o_f32_e32 v16, v16
; %bb.167:
	v_cmp_lt_f32_e32 vcc_lo, v17, v16
	v_cndmask_b32_e32 v16, v17, v16, vcc_lo
; %bb.168:
	s_or_b32 exec_lo, exec_lo, s1
	s_delay_alu instid0(VALU_DEP_1)
	v_mov_b32_e32 v17, v16
.LBB43_169:
	s_or_b32 exec_lo, exec_lo, s0
	v_cmp_gt_u32_e32 vcc_lo, s11, v32
	s_delay_alu instid0(VALU_DEP_2) | instskip(SKIP_1) | instid1(SALU_CYCLE_1)
	v_cmp_o_f32_e64 s0, v17, v17
	s_and_b32 s1, vcc_lo, s0
	s_and_saveexec_b32 s0, s1
	s_cbranch_execz .LBB43_173
; %bb.170:
	s_mov_b32 s1, exec_lo
	s_wait_loadcnt 0x0
	v_cmpx_o_f32_e32 v1, v1
; %bb.171:
	v_cmp_lt_f32_e32 vcc_lo, v17, v1
	v_cndmask_b32_e32 v1, v17, v1, vcc_lo
; %bb.172:
	s_or_b32 exec_lo, exec_lo, s1
	s_delay_alu instid0(VALU_DEP_1)
	v_mov_b32_e32 v17, v1
.LBB43_173:
	s_or_b32 exec_lo, exec_lo, s0
	v_cmp_gt_u32_e32 vcc_lo, s11, v31
	s_delay_alu instid0(VALU_DEP_2) | instskip(SKIP_1) | instid1(SALU_CYCLE_1)
	v_cmp_o_f32_e64 s0, v17, v17
	s_and_b32 s1, vcc_lo, s0
	;; [unrolled: 19-line block ×15, first 2 shown]
	s_and_saveexec_b32 s0, s1
	s_cbranch_execz .LBB43_229
; %bb.226:
	s_mov_b32 s1, exec_lo
	s_wait_loadcnt 0x0
	v_cmpx_o_f32_e32 v15, v15
; %bb.227:
	v_cmp_lt_f32_e32 vcc_lo, v17, v15
	v_cndmask_b32_e32 v15, v17, v15, vcc_lo
; %bb.228:
	s_or_b32 exec_lo, exec_lo, s1
	s_delay_alu instid0(VALU_DEP_1)
	v_mov_b32_e32 v17, v15
.LBB43_229:
	s_or_b32 exec_lo, exec_lo, s0
	s_wait_loadcnt 0x0
	s_delay_alu instid0(VALU_DEP_1) | instskip(SKIP_1) | instid1(VALU_DEP_1)
	v_mov_b32_dpp v1, v17 quad_perm:[1,0,3,2] row_mask:0xf bank_mask:0xf
	s_mov_b32 s0, exec_lo
	v_cmpx_o_f32_e32 v1, v1
	s_xor_b32 s0, exec_lo, s0
	s_cbranch_execz .LBB43_233
; %bb.230:
	s_mov_b32 s1, exec_lo
	v_cmpx_o_f32_e32 v17, v17
; %bb.231:
	v_cmp_gt_f32_e32 vcc_lo, v17, v1
	v_cndmask_b32_e32 v17, v1, v17, vcc_lo
; %bb.232:
	s_or_b32 exec_lo, exec_lo, s1
	s_delay_alu instid0(VALU_DEP_1)
	v_mov_b32_e32 v1, v17
.LBB43_233:
	s_or_b32 exec_lo, exec_lo, s0
	s_delay_alu instid0(VALU_DEP_1) | instskip(SKIP_1) | instid1(VALU_DEP_1)
	v_mov_b32_dpp v2, v1 quad_perm:[2,3,0,1] row_mask:0xf bank_mask:0xf
	s_mov_b32 s0, exec_lo
	v_cmpx_o_f32_e32 v2, v2
	s_cbranch_execz .LBB43_237
; %bb.234:
	s_mov_b32 s1, exec_lo
	v_cmpx_o_f32_e32 v1, v1
; %bb.235:
	v_cmp_gt_f32_e32 vcc_lo, v1, v2
	v_cndmask_b32_e32 v1, v2, v1, vcc_lo
; %bb.236:
	s_or_b32 exec_lo, exec_lo, s1
	s_delay_alu instid0(VALU_DEP_1)
	v_mov_b32_e32 v2, v1
.LBB43_237:
	s_or_b32 exec_lo, exec_lo, s0
	s_delay_alu instid0(VALU_DEP_1) | instskip(SKIP_1) | instid1(VALU_DEP_1)
	v_mov_b32_dpp v1, v2 row_ror:4 row_mask:0xf bank_mask:0xf
	s_mov_b32 s0, exec_lo
	v_cmpx_o_f32_e32 v1, v1
	s_cbranch_execz .LBB43_241
; %bb.238:
	s_mov_b32 s1, exec_lo
	v_cmpx_o_f32_e32 v2, v2
; %bb.239:
	v_cmp_gt_f32_e32 vcc_lo, v2, v1
	v_cndmask_b32_e32 v2, v1, v2, vcc_lo
; %bb.240:
	s_or_b32 exec_lo, exec_lo, s1
	s_delay_alu instid0(VALU_DEP_1)
	v_mov_b32_e32 v1, v2
.LBB43_241:
	s_or_b32 exec_lo, exec_lo, s0
	s_delay_alu instid0(VALU_DEP_1) | instskip(SKIP_1) | instid1(VALU_DEP_1)
	v_mov_b32_dpp v2, v1 row_ror:8 row_mask:0xf bank_mask:0xf
	s_mov_b32 s0, exec_lo
	v_cmpx_o_f32_e32 v2, v2
	s_cbranch_execz .LBB43_245
; %bb.242:
	s_mov_b32 s1, exec_lo
	v_cmpx_o_f32_e32 v1, v1
; %bb.243:
	v_cmp_gt_f32_e32 vcc_lo, v1, v2
	v_cndmask_b32_e32 v1, v2, v1, vcc_lo
; %bb.244:
	s_or_b32 exec_lo, exec_lo, s1
	s_delay_alu instid0(VALU_DEP_1)
	v_mov_b32_e32 v2, v1
.LBB43_245:
	s_or_b32 exec_lo, exec_lo, s0
	ds_swizzle_b32 v1, v2 offset:swizzle(BROADCAST,32,15)
	s_mov_b32 s0, exec_lo
	s_wait_dscnt 0x0
	v_cmpx_o_f32_e32 v1, v1
	s_cbranch_execz .LBB43_249
; %bb.246:
	s_mov_b32 s1, exec_lo
	v_cmpx_o_f32_e32 v2, v2
; %bb.247:
	v_cmp_gt_f32_e32 vcc_lo, v2, v1
	v_cndmask_b32_e32 v2, v1, v2, vcc_lo
; %bb.248:
	s_or_b32 exec_lo, exec_lo, s1
	s_delay_alu instid0(VALU_DEP_1)
	v_mov_b32_e32 v1, v2
.LBB43_249:
	s_or_b32 exec_lo, exec_lo, s0
	v_mov_b32_e32 v2, 0
	s_mov_b32 s0, exec_lo
	ds_bpermute_b32 v1, v2, v1 offset:124
	v_mbcnt_lo_u32_b32 v2, -1, 0
	s_delay_alu instid0(VALU_DEP_1)
	v_cmpx_eq_u32_e32 0, v2
	s_cbranch_execz .LBB43_251
; %bb.250:
	v_lshrrev_b32_e32 v3, 3, v0
	s_delay_alu instid0(VALU_DEP_1)
	v_and_b32_e32 v3, 28, v3
	s_wait_dscnt 0x0
	ds_store_b32 v3, v1
.LBB43_251:
	s_or_b32 exec_lo, exec_lo, s0
	s_delay_alu instid0(SALU_CYCLE_1)
	s_mov_b32 s0, exec_lo
	s_wait_dscnt 0x0
	s_barrier_signal -1
	s_barrier_wait -1
	v_cmpx_gt_u32_e32 32, v0
	s_cbranch_execz .LBB43_265
; %bb.252:
	v_and_b32_e32 v3, 7, v2
	s_mov_b32 s1, exec_lo
	s_delay_alu instid0(VALU_DEP_1) | instskip(SKIP_1) | instid1(VALU_DEP_1)
	v_cmp_ne_u32_e32 vcc_lo, 7, v3
	v_add_co_ci_u32_e64 v4, null, 0, v2, vcc_lo
	v_dual_lshlrev_b32 v4, 2, v4 :: v_dual_lshlrev_b32 v1, 2, v3
	ds_load_b32 v1, v1
	s_wait_dscnt 0x0
	ds_bpermute_b32 v4, v4, v1
	v_cmpx_o_f32_e32 v1, v1
	s_cbranch_execz .LBB43_256
; %bb.253:
	s_mov_b32 s11, exec_lo
	s_wait_dscnt 0x0
	v_cmpx_o_f32_e32 v4, v4
; %bb.254:
	v_cmp_lt_f32_e32 vcc_lo, v1, v4
	v_cndmask_b32_e32 v4, v1, v4, vcc_lo
; %bb.255:
	s_or_b32 exec_lo, exec_lo, s11
	s_delay_alu instid0(VALU_DEP_1)
	v_mov_b32_e32 v1, v4
.LBB43_256:
	s_or_b32 exec_lo, exec_lo, s1
	v_cmp_gt_u32_e32 vcc_lo, 6, v3
	s_mov_b32 s1, exec_lo
	v_cndmask_b32_e64 v3, 0, 2, vcc_lo
	s_delay_alu instid0(VALU_DEP_1)
	v_add_lshl_u32 v3, v3, v2, 2
	v_lshlrev_b32_e32 v2, 2, v2
	ds_bpermute_b32 v3, v3, v1
	v_cmpx_o_f32_e32 v1, v1
	s_cbranch_execz .LBB43_260
; %bb.257:
	s_mov_b32 s11, exec_lo
	s_wait_dscnt 0x0
	v_cmpx_o_f32_e32 v3, v3
; %bb.258:
	v_cmp_lt_f32_e32 vcc_lo, v1, v3
	v_cndmask_b32_e32 v3, v1, v3, vcc_lo
; %bb.259:
	s_or_b32 exec_lo, exec_lo, s11
	s_delay_alu instid0(VALU_DEP_1)
	v_mov_b32_e32 v1, v3
.LBB43_260:
	s_or_b32 exec_lo, exec_lo, s1
	v_or_b32_e32 v2, 16, v2
	s_mov_b32 s1, exec_lo
	ds_bpermute_b32 v2, v2, v1
	v_cmpx_o_f32_e32 v1, v1
	s_cbranch_execz .LBB43_264
; %bb.261:
	s_mov_b32 s11, exec_lo
	s_wait_dscnt 0x0
	v_cmpx_o_f32_e32 v2, v2
; %bb.262:
	v_cmp_lt_f32_e32 vcc_lo, v1, v2
	v_cndmask_b32_e32 v2, v1, v2, vcc_lo
; %bb.263:
	s_or_b32 exec_lo, exec_lo, s11
	s_delay_alu instid0(VALU_DEP_1)
	v_mov_b32_e32 v1, v2
.LBB43_264:
	s_or_b32 exec_lo, exec_lo, s1
.LBB43_265:
	s_delay_alu instid0(SALU_CYCLE_1)
	s_or_b32 exec_lo, exec_lo, s0
	s_branch .LBB43_364
.LBB43_266:
	s_sub_co_i32 s1, s14, s10
	s_mov_b32 s0, exec_lo
                                        ; implicit-def: $vgpr4
	v_cmpx_gt_u32_e64 s1, v0
	s_cbranch_execz .LBB43_276
; %bb.267:
	v_add_nc_u32_e32 v1, s10, v0
	s_mov_b32 s10, exec_lo
	s_wait_dscnt 0x2
	global_load_b32 v4, v1, s[4:5] scale_offset
	s_wait_xcnt 0x0
	v_add_nc_u32_e32 v1, 0x100, v1
	s_delay_alu instid0(VALU_DEP_1)
	v_cmpx_gt_i32_e64 s14, v1
	s_cbranch_execz .LBB43_275
; %bb.268:
	s_mov_b32 s11, 0
	s_branch .LBB43_271
.LBB43_269:                             ;   in Loop: Header=BB43_271 Depth=1
	s_or_b32 exec_lo, exec_lo, s16
	s_delay_alu instid0(VALU_DEP_1)
	v_mov_b32_e32 v4, v2
.LBB43_270:                             ;   in Loop: Header=BB43_271 Depth=1
	s_or_b32 exec_lo, exec_lo, s15
	v_add_nc_u32_e32 v1, 0x100, v1
	s_delay_alu instid0(VALU_DEP_1) | instskip(SKIP_1) | instid1(SALU_CYCLE_1)
	v_cmp_le_i32_e32 vcc_lo, s14, v1
	s_or_b32 s11, vcc_lo, s11
	s_and_not1_b32 exec_lo, exec_lo, s11
	s_cbranch_execz .LBB43_274
.LBB43_271:                             ; =>This Inner Loop Header: Depth=1
	s_mov_b32 s15, exec_lo
	s_wait_loadcnt 0x0
	v_cmpx_o_f32_e32 v4, v4
	s_cbranch_execz .LBB43_270
; %bb.272:                              ;   in Loop: Header=BB43_271 Depth=1
	s_wait_dscnt 0x0
	global_load_b32 v2, v1, s[4:5] scale_offset
	s_mov_b32 s16, exec_lo
	s_wait_loadcnt 0x0
	v_cmpx_o_f32_e32 v2, v2
	s_cbranch_execz .LBB43_269
; %bb.273:                              ;   in Loop: Header=BB43_271 Depth=1
	v_cmp_lt_f32_e32 vcc_lo, v4, v2
	v_cndmask_b32_e32 v2, v4, v2, vcc_lo
	s_branch .LBB43_269
.LBB43_274:
	s_or_b32 exec_lo, exec_lo, s11
.LBB43_275:
	s_delay_alu instid0(SALU_CYCLE_1)
	s_or_b32 exec_lo, exec_lo, s10
.LBB43_276:
	s_delay_alu instid0(SALU_CYCLE_1)
	s_or_b32 exec_lo, exec_lo, s0
	s_wait_dscnt 0x1
	v_lshrrev_b32_e32 v3, 5, v0
	s_wait_dscnt 0x0
	v_mbcnt_lo_u32_b32 v2, -1, 0
	s_cmp_lt_u32 s1, 0x100
	s_mov_b32 s0, -1
                                        ; implicit-def: $vgpr1
	s_cbranch_scc0 .LBB43_326
; %bb.277:
	s_delay_alu instid0(VALU_DEP_1) | instskip(SKIP_1) | instid1(VALU_DEP_1)
	v_cmp_ne_u32_e32 vcc_lo, 31, v2
	v_add_co_ci_u32_e64 v1, null, 0, v2, vcc_lo
	v_lshlrev_b32_e32 v1, 2, v1
	s_wait_loadcnt 0x0
	ds_bpermute_b32 v6, v1, v4
	v_and_b32_e32 v1, 0xe0, v0
	s_delay_alu instid0(VALU_DEP_1) | instskip(SKIP_1) | instid1(VALU_DEP_1)
	v_sub_nc_u32_e64 v5, s1, v1 clamp
	v_add_nc_u32_e32 v1, 1, v2
	v_cmp_lt_u32_e32 vcc_lo, v1, v5
	v_mov_b32_e32 v1, v4
	s_and_saveexec_b32 s0, vcc_lo
	s_cbranch_execz .LBB43_283
; %bb.278:
	v_mov_b32_e32 v1, v4
	s_mov_b32 s4, exec_lo
	v_cmpx_o_f32_e32 v4, v4
	s_cbranch_execz .LBB43_282
; %bb.279:
	s_mov_b32 s5, exec_lo
	s_wait_dscnt 0x0
	v_cmpx_o_f32_e32 v6, v6
; %bb.280:
	v_cmp_lt_f32_e32 vcc_lo, v4, v6
	v_cndmask_b32_e32 v6, v4, v6, vcc_lo
; %bb.281:
	s_or_b32 exec_lo, exec_lo, s5
	s_delay_alu instid0(VALU_DEP_1)
	v_mov_b32_e32 v1, v6
.LBB43_282:
	s_or_b32 exec_lo, exec_lo, s4
.LBB43_283:
	s_delay_alu instid0(SALU_CYCLE_1)
	s_or_b32 exec_lo, exec_lo, s0
	v_cmp_gt_u32_e32 vcc_lo, 30, v2
	v_add_nc_u32_e32 v7, 2, v2
	s_mov_b32 s0, exec_lo
	s_wait_dscnt 0x0
	v_cndmask_b32_e64 v6, 0, 2, vcc_lo
	s_delay_alu instid0(VALU_DEP_1)
	v_add_lshl_u32 v6, v6, v2, 2
	ds_bpermute_b32 v6, v6, v1
	v_cmpx_lt_u32_e64 v7, v5
	s_cbranch_execz .LBB43_289
; %bb.284:
	s_mov_b32 s4, exec_lo
	v_cmpx_o_f32_e32 v1, v1
	s_cbranch_execz .LBB43_288
; %bb.285:
	s_mov_b32 s5, exec_lo
	s_wait_dscnt 0x0
	v_cmpx_o_f32_e32 v6, v6
; %bb.286:
	v_cmp_lt_f32_e32 vcc_lo, v1, v6
	v_cndmask_b32_e32 v6, v1, v6, vcc_lo
; %bb.287:
	s_or_b32 exec_lo, exec_lo, s5
	s_delay_alu instid0(VALU_DEP_1)
	v_mov_b32_e32 v1, v6
.LBB43_288:
	s_or_b32 exec_lo, exec_lo, s4
.LBB43_289:
	s_delay_alu instid0(SALU_CYCLE_1)
	s_or_b32 exec_lo, exec_lo, s0
	v_cmp_gt_u32_e32 vcc_lo, 28, v2
	v_add_nc_u32_e32 v7, 4, v2
	s_mov_b32 s0, exec_lo
	s_wait_dscnt 0x0
	v_cndmask_b32_e64 v6, 0, 4, vcc_lo
	s_delay_alu instid0(VALU_DEP_1)
	v_add_lshl_u32 v6, v6, v2, 2
	ds_bpermute_b32 v6, v6, v1
	v_cmpx_lt_u32_e64 v7, v5
	s_cbranch_execz .LBB43_295
; %bb.290:
	s_mov_b32 s4, exec_lo
	v_cmpx_o_f32_e32 v1, v1
	s_cbranch_execz .LBB43_294
; %bb.291:
	s_mov_b32 s5, exec_lo
	s_wait_dscnt 0x0
	v_cmpx_o_f32_e32 v6, v6
; %bb.292:
	v_cmp_lt_f32_e32 vcc_lo, v1, v6
	v_cndmask_b32_e32 v6, v1, v6, vcc_lo
; %bb.293:
	s_or_b32 exec_lo, exec_lo, s5
	s_delay_alu instid0(VALU_DEP_1)
	v_mov_b32_e32 v1, v6
.LBB43_294:
	s_or_b32 exec_lo, exec_lo, s4
.LBB43_295:
	;; [unrolled: 30-line block ×3, first 2 shown]
	s_delay_alu instid0(SALU_CYCLE_1) | instskip(SKIP_3) | instid1(VALU_DEP_2)
	s_or_b32 exec_lo, exec_lo, s0
	s_wait_dscnt 0x0
	v_dual_lshlrev_b32 v6, 2, v2 :: v_dual_add_nc_u32 v8, 16, v2
	v_cmp_o_f32_e64 s0, v1, v1
	v_or_b32_e32 v7, 64, v6
	s_delay_alu instid0(VALU_DEP_3) | instskip(SKIP_2) | instid1(SALU_CYCLE_1)
	v_cmp_lt_u32_e32 vcc_lo, v8, v5
	ds_bpermute_b32 v7, v7, v1
	s_and_b32 s4, vcc_lo, s0
	s_and_saveexec_b32 s0, s4
	s_cbranch_execz .LBB43_305
; %bb.302:
	s_mov_b32 s4, exec_lo
	s_wait_dscnt 0x0
	v_cmpx_o_f32_e32 v7, v7
; %bb.303:
	v_cmp_lt_f32_e32 vcc_lo, v1, v7
	v_cndmask_b32_e32 v7, v1, v7, vcc_lo
; %bb.304:
	s_or_b32 exec_lo, exec_lo, s4
	s_delay_alu instid0(VALU_DEP_1)
	v_mov_b32_e32 v1, v7
.LBB43_305:
	s_or_b32 exec_lo, exec_lo, s0
	s_delay_alu instid0(SALU_CYCLE_1)
	s_mov_b32 s0, exec_lo
	v_cmpx_eq_u32_e32 0, v2
; %bb.306:
	v_lshlrev_b32_e32 v5, 2, v3
	ds_store_b32 v5, v1
; %bb.307:
	s_or_b32 exec_lo, exec_lo, s0
	s_delay_alu instid0(SALU_CYCLE_1)
	s_mov_b32 s4, exec_lo
	s_wait_dscnt 0x0
	s_barrier_signal -1
	s_barrier_wait -1
	v_cmpx_gt_u32_e32 8, v0
	s_cbranch_execz .LBB43_325
; %bb.308:
	ds_load_b32 v1, v6
	v_and_b32_e32 v5, 7, v2
	s_add_co_i32 s1, s1, 31
	s_delay_alu instid0(SALU_CYCLE_1) | instskip(SKIP_1) | instid1(VALU_DEP_1)
	s_lshr_b32 s0, s1, 5
	s_mov_b32 s1, exec_lo
	v_cmp_ne_u32_e32 vcc_lo, 7, v5
	v_add_co_ci_u32_e64 v7, null, 0, v2, vcc_lo
	s_delay_alu instid0(VALU_DEP_1)
	v_dual_lshlrev_b32 v7, 2, v7 :: v_dual_add_nc_u32 v8, 1, v5
	s_wait_dscnt 0x0
	ds_bpermute_b32 v7, v7, v1
	v_cmpx_gt_u32_e64 s0, v8
	s_cbranch_execz .LBB43_314
; %bb.309:
	s_mov_b32 s5, exec_lo
	v_cmpx_o_f32_e32 v1, v1
	s_cbranch_execz .LBB43_313
; %bb.310:
	s_mov_b32 s10, exec_lo
	s_wait_dscnt 0x0
	v_cmpx_o_f32_e32 v7, v7
; %bb.311:
	v_cmp_lt_f32_e32 vcc_lo, v1, v7
	v_cndmask_b32_e32 v7, v1, v7, vcc_lo
; %bb.312:
	s_or_b32 exec_lo, exec_lo, s10
	s_delay_alu instid0(VALU_DEP_1)
	v_mov_b32_e32 v1, v7
.LBB43_313:
	s_or_b32 exec_lo, exec_lo, s5
.LBB43_314:
	s_delay_alu instid0(SALU_CYCLE_1)
	s_or_b32 exec_lo, exec_lo, s1
	v_cmp_gt_u32_e32 vcc_lo, 6, v5
	v_add_nc_u32_e32 v8, 2, v5
	s_mov_b32 s1, exec_lo
	s_wait_dscnt 0x0
	v_cndmask_b32_e64 v7, 0, 2, vcc_lo
	s_delay_alu instid0(VALU_DEP_1)
	v_add_lshl_u32 v7, v7, v2, 2
	ds_bpermute_b32 v7, v7, v1
	v_cmpx_gt_u32_e64 s0, v8
	s_cbranch_execz .LBB43_320
; %bb.315:
	s_mov_b32 s5, exec_lo
	v_cmpx_o_f32_e32 v1, v1
	s_cbranch_execz .LBB43_319
; %bb.316:
	s_mov_b32 s10, exec_lo
	s_wait_dscnt 0x0
	v_cmpx_o_f32_e32 v7, v7
; %bb.317:
	v_cmp_lt_f32_e32 vcc_lo, v1, v7
	v_cndmask_b32_e32 v7, v1, v7, vcc_lo
; %bb.318:
	s_or_b32 exec_lo, exec_lo, s10
	s_delay_alu instid0(VALU_DEP_1)
	v_mov_b32_e32 v1, v7
.LBB43_319:
	s_or_b32 exec_lo, exec_lo, s5
.LBB43_320:
	s_delay_alu instid0(SALU_CYCLE_1)
	s_or_b32 exec_lo, exec_lo, s1
	v_dual_add_nc_u32 v5, 4, v5 :: v_dual_bitop2_b32 v6, 16, v6 bitop3:0x54
	ds_bpermute_b32 v6, v6, v1
	v_cmp_gt_u32_e32 vcc_lo, s0, v5
	v_cmp_o_f32_e64 s0, v1, v1
	s_and_b32 s1, vcc_lo, s0
	s_delay_alu instid0(SALU_CYCLE_1)
	s_and_saveexec_b32 s0, s1
	s_cbranch_execz .LBB43_324
; %bb.321:
	s_mov_b32 s1, exec_lo
	s_wait_dscnt 0x0
	v_cmpx_o_f32_e32 v6, v6
; %bb.322:
	v_cmp_lt_f32_e32 vcc_lo, v1, v6
	v_cndmask_b32_e32 v6, v1, v6, vcc_lo
; %bb.323:
	s_or_b32 exec_lo, exec_lo, s1
	s_delay_alu instid0(VALU_DEP_1)
	v_mov_b32_e32 v1, v6
.LBB43_324:
	s_or_b32 exec_lo, exec_lo, s0
.LBB43_325:
	s_delay_alu instid0(SALU_CYCLE_1)
	s_or_b32 exec_lo, exec_lo, s4
	s_mov_b32 s0, 0
.LBB43_326:
	s_delay_alu instid0(SALU_CYCLE_1)
	s_and_b32 vcc_lo, exec_lo, s0
	s_cbranch_vccz .LBB43_364
; %bb.327:
	s_wait_loadcnt 0x0
	v_mov_b32_dpp v1, v4 quad_perm:[1,0,3,2] row_mask:0xf bank_mask:0xf
	s_mov_b32 s0, exec_lo
	s_delay_alu instid0(VALU_DEP_1)
	v_cmpx_o_f32_e32 v1, v1
	s_cbranch_execz .LBB43_331
; %bb.328:
	s_mov_b32 s1, exec_lo
	v_cmpx_o_f32_e32 v4, v4
; %bb.329:
	v_cmp_gt_f32_e32 vcc_lo, v4, v1
	v_cndmask_b32_e32 v4, v1, v4, vcc_lo
; %bb.330:
	s_or_b32 exec_lo, exec_lo, s1
	s_delay_alu instid0(VALU_DEP_1)
	v_mov_b32_e32 v1, v4
.LBB43_331:
	s_or_b32 exec_lo, exec_lo, s0
	s_delay_alu instid0(VALU_DEP_1) | instskip(SKIP_1) | instid1(VALU_DEP_1)
	v_mov_b32_dpp v4, v1 quad_perm:[2,3,0,1] row_mask:0xf bank_mask:0xf
	s_mov_b32 s0, exec_lo
	v_cmpx_o_f32_e32 v4, v4
	s_cbranch_execz .LBB43_335
; %bb.332:
	s_mov_b32 s1, exec_lo
	v_cmpx_o_f32_e32 v1, v1
; %bb.333:
	v_cmp_gt_f32_e32 vcc_lo, v1, v4
	v_cndmask_b32_e32 v1, v4, v1, vcc_lo
; %bb.334:
	s_or_b32 exec_lo, exec_lo, s1
	s_delay_alu instid0(VALU_DEP_1)
	v_mov_b32_e32 v4, v1
.LBB43_335:
	s_or_b32 exec_lo, exec_lo, s0
	s_delay_alu instid0(VALU_DEP_1) | instskip(SKIP_1) | instid1(VALU_DEP_1)
	v_mov_b32_dpp v1, v4 row_ror:4 row_mask:0xf bank_mask:0xf
	s_mov_b32 s0, exec_lo
	v_cmpx_o_f32_e32 v1, v1
	s_cbranch_execz .LBB43_339
; %bb.336:
	s_mov_b32 s1, exec_lo
	v_cmpx_o_f32_e32 v4, v4
; %bb.337:
	v_cmp_gt_f32_e32 vcc_lo, v4, v1
	v_cndmask_b32_e32 v4, v1, v4, vcc_lo
; %bb.338:
	s_or_b32 exec_lo, exec_lo, s1
	s_delay_alu instid0(VALU_DEP_1)
	v_mov_b32_e32 v1, v4
.LBB43_339:
	s_or_b32 exec_lo, exec_lo, s0
	s_delay_alu instid0(VALU_DEP_1) | instskip(SKIP_1) | instid1(VALU_DEP_1)
	v_mov_b32_dpp v4, v1 row_ror:8 row_mask:0xf bank_mask:0xf
	s_mov_b32 s0, exec_lo
	v_cmpx_o_f32_e32 v4, v4
	s_cbranch_execz .LBB43_343
; %bb.340:
	s_mov_b32 s1, exec_lo
	v_cmpx_o_f32_e32 v1, v1
; %bb.341:
	v_cmp_gt_f32_e32 vcc_lo, v1, v4
	v_cndmask_b32_e32 v1, v4, v1, vcc_lo
; %bb.342:
	s_or_b32 exec_lo, exec_lo, s1
	s_delay_alu instid0(VALU_DEP_1)
	v_mov_b32_e32 v4, v1
.LBB43_343:
	s_or_b32 exec_lo, exec_lo, s0
	ds_swizzle_b32 v1, v4 offset:swizzle(BROADCAST,32,15)
	s_mov_b32 s0, exec_lo
	s_wait_dscnt 0x0
	v_cmpx_o_f32_e32 v1, v1
	s_cbranch_execz .LBB43_347
; %bb.344:
	s_mov_b32 s1, exec_lo
	v_cmpx_o_f32_e32 v4, v4
; %bb.345:
	v_cmp_gt_f32_e32 vcc_lo, v4, v1
	v_cndmask_b32_e32 v4, v1, v4, vcc_lo
; %bb.346:
	s_or_b32 exec_lo, exec_lo, s1
	s_delay_alu instid0(VALU_DEP_1)
	v_mov_b32_e32 v1, v4
.LBB43_347:
	s_or_b32 exec_lo, exec_lo, s0
	v_mov_b32_e32 v4, 0
	s_mov_b32 s0, exec_lo
	ds_bpermute_b32 v1, v4, v1 offset:124
	v_cmpx_eq_u32_e32 0, v2
	s_cbranch_execz .LBB43_349
; %bb.348:
	v_lshlrev_b32_e32 v3, 2, v3
	s_wait_dscnt 0x0
	ds_store_b32 v3, v1
.LBB43_349:
	s_or_b32 exec_lo, exec_lo, s0
	s_delay_alu instid0(SALU_CYCLE_1)
	s_mov_b32 s0, exec_lo
	s_wait_dscnt 0x0
	s_barrier_signal -1
	s_barrier_wait -1
	v_cmpx_gt_u32_e32 32, v0
	s_cbranch_execz .LBB43_363
; %bb.350:
	v_and_b32_e32 v3, 7, v2
	s_mov_b32 s1, exec_lo
	s_delay_alu instid0(VALU_DEP_1) | instskip(SKIP_1) | instid1(VALU_DEP_1)
	v_cmp_ne_u32_e32 vcc_lo, 7, v3
	v_add_co_ci_u32_e64 v4, null, 0, v2, vcc_lo
	v_dual_lshlrev_b32 v4, 2, v4 :: v_dual_lshlrev_b32 v1, 2, v3
	ds_load_b32 v1, v1
	s_wait_dscnt 0x0
	ds_bpermute_b32 v4, v4, v1
	v_cmpx_o_f32_e32 v1, v1
	s_cbranch_execz .LBB43_354
; %bb.351:
	s_mov_b32 s4, exec_lo
	s_wait_dscnt 0x0
	v_cmpx_o_f32_e32 v4, v4
; %bb.352:
	v_cmp_lt_f32_e32 vcc_lo, v1, v4
	v_cndmask_b32_e32 v4, v1, v4, vcc_lo
; %bb.353:
	s_or_b32 exec_lo, exec_lo, s4
	s_delay_alu instid0(VALU_DEP_1)
	v_mov_b32_e32 v1, v4
.LBB43_354:
	s_or_b32 exec_lo, exec_lo, s1
	v_cmp_gt_u32_e32 vcc_lo, 6, v3
	s_mov_b32 s1, exec_lo
	v_cndmask_b32_e64 v3, 0, 2, vcc_lo
	s_delay_alu instid0(VALU_DEP_1)
	v_add_lshl_u32 v3, v3, v2, 2
	v_lshlrev_b32_e32 v2, 2, v2
	ds_bpermute_b32 v3, v3, v1
	v_cmpx_o_f32_e32 v1, v1
	s_cbranch_execz .LBB43_358
; %bb.355:
	s_mov_b32 s4, exec_lo
	s_wait_dscnt 0x0
	v_cmpx_o_f32_e32 v3, v3
; %bb.356:
	v_cmp_lt_f32_e32 vcc_lo, v1, v3
	v_cndmask_b32_e32 v3, v1, v3, vcc_lo
; %bb.357:
	s_or_b32 exec_lo, exec_lo, s4
	s_delay_alu instid0(VALU_DEP_1)
	v_mov_b32_e32 v1, v3
.LBB43_358:
	s_or_b32 exec_lo, exec_lo, s1
	v_or_b32_e32 v2, 16, v2
	s_mov_b32 s1, exec_lo
	ds_bpermute_b32 v2, v2, v1
	v_cmpx_o_f32_e32 v1, v1
	s_cbranch_execz .LBB43_362
; %bb.359:
	s_mov_b32 s4, exec_lo
	s_wait_dscnt 0x0
	v_cmpx_o_f32_e32 v2, v2
; %bb.360:
	v_cmp_lt_f32_e32 vcc_lo, v1, v2
	v_cndmask_b32_e32 v2, v1, v2, vcc_lo
; %bb.361:
	s_or_b32 exec_lo, exec_lo, s4
	s_delay_alu instid0(VALU_DEP_1)
	v_mov_b32_e32 v1, v2
.LBB43_362:
	s_or_b32 exec_lo, exec_lo, s1
.LBB43_363:
	s_delay_alu instid0(SALU_CYCLE_1)
	s_or_b32 exec_lo, exec_lo, s0
.LBB43_364:
	s_delay_alu instid0(SALU_CYCLE_1)
	s_mov_b32 s0, exec_lo
                                        ; implicit-def: $vgpr2
	v_cmpx_eq_u32_e32 0, v0
	s_cbranch_execz .LBB43_370
; %bb.365:
	s_wait_dscnt 0x0
	v_mov_b32_e32 v2, s13
	s_cmp_u_f32 s13, s13
	s_cbranch_scc1 .LBB43_369
; %bb.366:
	s_mov_b32 s1, exec_lo
	v_cmpx_o_f32_e32 v1, v1
; %bb.367:
	v_cmp_lt_f32_e32 vcc_lo, s13, v1
	v_cndmask_b32_e32 v1, s13, v1, vcc_lo
; %bb.368:
	s_or_b32 exec_lo, exec_lo, s1
	s_delay_alu instid0(VALU_DEP_1)
	v_mov_b32_e32 v2, v1
.LBB43_369:
	s_or_b32 s12, s12, exec_lo
.LBB43_370:
	s_or_b32 exec_lo, exec_lo, s0
	s_and_saveexec_b32 s0, s12
	s_cbranch_execz .LBB43_372
.LBB43_371:
	v_mov_b32_e32 v0, 0
	s_add_nc_u64 s[0:1], s[6:7], s[8:9]
	s_lshl_b64 s[2:3], s[2:3], 2
	s_delay_alu instid0(SALU_CYCLE_1)
	s_add_nc_u64 s[0:1], s[0:1], s[2:3]
	s_wait_dscnt 0x0
	global_store_b32 v0, v2, s[0:1]
.LBB43_372:
	s_endpgm
	.section	.rodata,"a",@progbits
	.p2align	6, 0x0
	.amdhsa_kernel _ZN7rocprim17ROCPRIM_400000_NS6detail17trampoline_kernelINS0_14default_configENS1_32segmented_reduce_config_selectorIfEEZNS1_21segmented_reduce_implIS3_PKfPfPKifN6hipcub16HIPCUB_304000_NS6detail27convert_result_type_wrapperIS8_S9_N2at6native12_GLOBAL__N_19CustomMaxEEEEE10hipError_tPvRmT0_T1_jT2_SQ_T4_T3_P12ihipStream_tbEUlT_E_NS1_11comp_targetILNS1_3genE0ELNS1_11target_archE4294967295ELNS1_3gpuE0ELNS1_3repE0EEENS1_30default_config_static_selectorELNS0_4arch9wavefront6targetE0EEEvSP_
		.amdhsa_group_segment_fixed_size 32
		.amdhsa_private_segment_fixed_size 0
		.amdhsa_kernarg_size 48
		.amdhsa_user_sgpr_count 2
		.amdhsa_user_sgpr_dispatch_ptr 0
		.amdhsa_user_sgpr_queue_ptr 0
		.amdhsa_user_sgpr_kernarg_segment_ptr 1
		.amdhsa_user_sgpr_dispatch_id 0
		.amdhsa_user_sgpr_kernarg_preload_length 0
		.amdhsa_user_sgpr_kernarg_preload_offset 0
		.amdhsa_user_sgpr_private_segment_size 0
		.amdhsa_wavefront_size32 1
		.amdhsa_uses_dynamic_stack 0
		.amdhsa_enable_private_segment 0
		.amdhsa_system_sgpr_workgroup_id_x 1
		.amdhsa_system_sgpr_workgroup_id_y 0
		.amdhsa_system_sgpr_workgroup_id_z 0
		.amdhsa_system_sgpr_workgroup_info 0
		.amdhsa_system_vgpr_workitem_id 0
		.amdhsa_next_free_vgpr 33
		.amdhsa_next_free_sgpr 18
		.amdhsa_named_barrier_count 0
		.amdhsa_reserve_vcc 1
		.amdhsa_float_round_mode_32 0
		.amdhsa_float_round_mode_16_64 0
		.amdhsa_float_denorm_mode_32 3
		.amdhsa_float_denorm_mode_16_64 3
		.amdhsa_fp16_overflow 0
		.amdhsa_memory_ordered 1
		.amdhsa_forward_progress 1
		.amdhsa_inst_pref_size 55
		.amdhsa_round_robin_scheduling 0
		.amdhsa_exception_fp_ieee_invalid_op 0
		.amdhsa_exception_fp_denorm_src 0
		.amdhsa_exception_fp_ieee_div_zero 0
		.amdhsa_exception_fp_ieee_overflow 0
		.amdhsa_exception_fp_ieee_underflow 0
		.amdhsa_exception_fp_ieee_inexact 0
		.amdhsa_exception_int_div_zero 0
	.end_amdhsa_kernel
	.section	.text._ZN7rocprim17ROCPRIM_400000_NS6detail17trampoline_kernelINS0_14default_configENS1_32segmented_reduce_config_selectorIfEEZNS1_21segmented_reduce_implIS3_PKfPfPKifN6hipcub16HIPCUB_304000_NS6detail27convert_result_type_wrapperIS8_S9_N2at6native12_GLOBAL__N_19CustomMaxEEEEE10hipError_tPvRmT0_T1_jT2_SQ_T4_T3_P12ihipStream_tbEUlT_E_NS1_11comp_targetILNS1_3genE0ELNS1_11target_archE4294967295ELNS1_3gpuE0ELNS1_3repE0EEENS1_30default_config_static_selectorELNS0_4arch9wavefront6targetE0EEEvSP_,"axG",@progbits,_ZN7rocprim17ROCPRIM_400000_NS6detail17trampoline_kernelINS0_14default_configENS1_32segmented_reduce_config_selectorIfEEZNS1_21segmented_reduce_implIS3_PKfPfPKifN6hipcub16HIPCUB_304000_NS6detail27convert_result_type_wrapperIS8_S9_N2at6native12_GLOBAL__N_19CustomMaxEEEEE10hipError_tPvRmT0_T1_jT2_SQ_T4_T3_P12ihipStream_tbEUlT_E_NS1_11comp_targetILNS1_3genE0ELNS1_11target_archE4294967295ELNS1_3gpuE0ELNS1_3repE0EEENS1_30default_config_static_selectorELNS0_4arch9wavefront6targetE0EEEvSP_,comdat
.Lfunc_end43:
	.size	_ZN7rocprim17ROCPRIM_400000_NS6detail17trampoline_kernelINS0_14default_configENS1_32segmented_reduce_config_selectorIfEEZNS1_21segmented_reduce_implIS3_PKfPfPKifN6hipcub16HIPCUB_304000_NS6detail27convert_result_type_wrapperIS8_S9_N2at6native12_GLOBAL__N_19CustomMaxEEEEE10hipError_tPvRmT0_T1_jT2_SQ_T4_T3_P12ihipStream_tbEUlT_E_NS1_11comp_targetILNS1_3genE0ELNS1_11target_archE4294967295ELNS1_3gpuE0ELNS1_3repE0EEENS1_30default_config_static_selectorELNS0_4arch9wavefront6targetE0EEEvSP_, .Lfunc_end43-_ZN7rocprim17ROCPRIM_400000_NS6detail17trampoline_kernelINS0_14default_configENS1_32segmented_reduce_config_selectorIfEEZNS1_21segmented_reduce_implIS3_PKfPfPKifN6hipcub16HIPCUB_304000_NS6detail27convert_result_type_wrapperIS8_S9_N2at6native12_GLOBAL__N_19CustomMaxEEEEE10hipError_tPvRmT0_T1_jT2_SQ_T4_T3_P12ihipStream_tbEUlT_E_NS1_11comp_targetILNS1_3genE0ELNS1_11target_archE4294967295ELNS1_3gpuE0ELNS1_3repE0EEENS1_30default_config_static_selectorELNS0_4arch9wavefront6targetE0EEEvSP_
                                        ; -- End function
	.set _ZN7rocprim17ROCPRIM_400000_NS6detail17trampoline_kernelINS0_14default_configENS1_32segmented_reduce_config_selectorIfEEZNS1_21segmented_reduce_implIS3_PKfPfPKifN6hipcub16HIPCUB_304000_NS6detail27convert_result_type_wrapperIS8_S9_N2at6native12_GLOBAL__N_19CustomMaxEEEEE10hipError_tPvRmT0_T1_jT2_SQ_T4_T3_P12ihipStream_tbEUlT_E_NS1_11comp_targetILNS1_3genE0ELNS1_11target_archE4294967295ELNS1_3gpuE0ELNS1_3repE0EEENS1_30default_config_static_selectorELNS0_4arch9wavefront6targetE0EEEvSP_.num_vgpr, 33
	.set _ZN7rocprim17ROCPRIM_400000_NS6detail17trampoline_kernelINS0_14default_configENS1_32segmented_reduce_config_selectorIfEEZNS1_21segmented_reduce_implIS3_PKfPfPKifN6hipcub16HIPCUB_304000_NS6detail27convert_result_type_wrapperIS8_S9_N2at6native12_GLOBAL__N_19CustomMaxEEEEE10hipError_tPvRmT0_T1_jT2_SQ_T4_T3_P12ihipStream_tbEUlT_E_NS1_11comp_targetILNS1_3genE0ELNS1_11target_archE4294967295ELNS1_3gpuE0ELNS1_3repE0EEENS1_30default_config_static_selectorELNS0_4arch9wavefront6targetE0EEEvSP_.num_agpr, 0
	.set _ZN7rocprim17ROCPRIM_400000_NS6detail17trampoline_kernelINS0_14default_configENS1_32segmented_reduce_config_selectorIfEEZNS1_21segmented_reduce_implIS3_PKfPfPKifN6hipcub16HIPCUB_304000_NS6detail27convert_result_type_wrapperIS8_S9_N2at6native12_GLOBAL__N_19CustomMaxEEEEE10hipError_tPvRmT0_T1_jT2_SQ_T4_T3_P12ihipStream_tbEUlT_E_NS1_11comp_targetILNS1_3genE0ELNS1_11target_archE4294967295ELNS1_3gpuE0ELNS1_3repE0EEENS1_30default_config_static_selectorELNS0_4arch9wavefront6targetE0EEEvSP_.numbered_sgpr, 18
	.set _ZN7rocprim17ROCPRIM_400000_NS6detail17trampoline_kernelINS0_14default_configENS1_32segmented_reduce_config_selectorIfEEZNS1_21segmented_reduce_implIS3_PKfPfPKifN6hipcub16HIPCUB_304000_NS6detail27convert_result_type_wrapperIS8_S9_N2at6native12_GLOBAL__N_19CustomMaxEEEEE10hipError_tPvRmT0_T1_jT2_SQ_T4_T3_P12ihipStream_tbEUlT_E_NS1_11comp_targetILNS1_3genE0ELNS1_11target_archE4294967295ELNS1_3gpuE0ELNS1_3repE0EEENS1_30default_config_static_selectorELNS0_4arch9wavefront6targetE0EEEvSP_.num_named_barrier, 0
	.set _ZN7rocprim17ROCPRIM_400000_NS6detail17trampoline_kernelINS0_14default_configENS1_32segmented_reduce_config_selectorIfEEZNS1_21segmented_reduce_implIS3_PKfPfPKifN6hipcub16HIPCUB_304000_NS6detail27convert_result_type_wrapperIS8_S9_N2at6native12_GLOBAL__N_19CustomMaxEEEEE10hipError_tPvRmT0_T1_jT2_SQ_T4_T3_P12ihipStream_tbEUlT_E_NS1_11comp_targetILNS1_3genE0ELNS1_11target_archE4294967295ELNS1_3gpuE0ELNS1_3repE0EEENS1_30default_config_static_selectorELNS0_4arch9wavefront6targetE0EEEvSP_.private_seg_size, 0
	.set _ZN7rocprim17ROCPRIM_400000_NS6detail17trampoline_kernelINS0_14default_configENS1_32segmented_reduce_config_selectorIfEEZNS1_21segmented_reduce_implIS3_PKfPfPKifN6hipcub16HIPCUB_304000_NS6detail27convert_result_type_wrapperIS8_S9_N2at6native12_GLOBAL__N_19CustomMaxEEEEE10hipError_tPvRmT0_T1_jT2_SQ_T4_T3_P12ihipStream_tbEUlT_E_NS1_11comp_targetILNS1_3genE0ELNS1_11target_archE4294967295ELNS1_3gpuE0ELNS1_3repE0EEENS1_30default_config_static_selectorELNS0_4arch9wavefront6targetE0EEEvSP_.uses_vcc, 1
	.set _ZN7rocprim17ROCPRIM_400000_NS6detail17trampoline_kernelINS0_14default_configENS1_32segmented_reduce_config_selectorIfEEZNS1_21segmented_reduce_implIS3_PKfPfPKifN6hipcub16HIPCUB_304000_NS6detail27convert_result_type_wrapperIS8_S9_N2at6native12_GLOBAL__N_19CustomMaxEEEEE10hipError_tPvRmT0_T1_jT2_SQ_T4_T3_P12ihipStream_tbEUlT_E_NS1_11comp_targetILNS1_3genE0ELNS1_11target_archE4294967295ELNS1_3gpuE0ELNS1_3repE0EEENS1_30default_config_static_selectorELNS0_4arch9wavefront6targetE0EEEvSP_.uses_flat_scratch, 0
	.set _ZN7rocprim17ROCPRIM_400000_NS6detail17trampoline_kernelINS0_14default_configENS1_32segmented_reduce_config_selectorIfEEZNS1_21segmented_reduce_implIS3_PKfPfPKifN6hipcub16HIPCUB_304000_NS6detail27convert_result_type_wrapperIS8_S9_N2at6native12_GLOBAL__N_19CustomMaxEEEEE10hipError_tPvRmT0_T1_jT2_SQ_T4_T3_P12ihipStream_tbEUlT_E_NS1_11comp_targetILNS1_3genE0ELNS1_11target_archE4294967295ELNS1_3gpuE0ELNS1_3repE0EEENS1_30default_config_static_selectorELNS0_4arch9wavefront6targetE0EEEvSP_.has_dyn_sized_stack, 0
	.set _ZN7rocprim17ROCPRIM_400000_NS6detail17trampoline_kernelINS0_14default_configENS1_32segmented_reduce_config_selectorIfEEZNS1_21segmented_reduce_implIS3_PKfPfPKifN6hipcub16HIPCUB_304000_NS6detail27convert_result_type_wrapperIS8_S9_N2at6native12_GLOBAL__N_19CustomMaxEEEEE10hipError_tPvRmT0_T1_jT2_SQ_T4_T3_P12ihipStream_tbEUlT_E_NS1_11comp_targetILNS1_3genE0ELNS1_11target_archE4294967295ELNS1_3gpuE0ELNS1_3repE0EEENS1_30default_config_static_selectorELNS0_4arch9wavefront6targetE0EEEvSP_.has_recursion, 0
	.set _ZN7rocprim17ROCPRIM_400000_NS6detail17trampoline_kernelINS0_14default_configENS1_32segmented_reduce_config_selectorIfEEZNS1_21segmented_reduce_implIS3_PKfPfPKifN6hipcub16HIPCUB_304000_NS6detail27convert_result_type_wrapperIS8_S9_N2at6native12_GLOBAL__N_19CustomMaxEEEEE10hipError_tPvRmT0_T1_jT2_SQ_T4_T3_P12ihipStream_tbEUlT_E_NS1_11comp_targetILNS1_3genE0ELNS1_11target_archE4294967295ELNS1_3gpuE0ELNS1_3repE0EEENS1_30default_config_static_selectorELNS0_4arch9wavefront6targetE0EEEvSP_.has_indirect_call, 0
	.section	.AMDGPU.csdata,"",@progbits
; Kernel info:
; codeLenInByte = 6916
; TotalNumSgprs: 20
; NumVgprs: 33
; ScratchSize: 0
; MemoryBound: 0
; FloatMode: 240
; IeeeMode: 1
; LDSByteSize: 32 bytes/workgroup (compile time only)
; SGPRBlocks: 0
; VGPRBlocks: 2
; NumSGPRsForWavesPerEU: 20
; NumVGPRsForWavesPerEU: 33
; NamedBarCnt: 0
; Occupancy: 16
; WaveLimiterHint : 1
; COMPUTE_PGM_RSRC2:SCRATCH_EN: 0
; COMPUTE_PGM_RSRC2:USER_SGPR: 2
; COMPUTE_PGM_RSRC2:TRAP_HANDLER: 0
; COMPUTE_PGM_RSRC2:TGID_X_EN: 1
; COMPUTE_PGM_RSRC2:TGID_Y_EN: 0
; COMPUTE_PGM_RSRC2:TGID_Z_EN: 0
; COMPUTE_PGM_RSRC2:TIDIG_COMP_CNT: 0
	.section	.text._ZN7rocprim17ROCPRIM_400000_NS6detail17trampoline_kernelINS0_14default_configENS1_32segmented_reduce_config_selectorIfEEZNS1_21segmented_reduce_implIS3_PKfPfPKifN6hipcub16HIPCUB_304000_NS6detail27convert_result_type_wrapperIS8_S9_N2at6native12_GLOBAL__N_19CustomMaxEEEEE10hipError_tPvRmT0_T1_jT2_SQ_T4_T3_P12ihipStream_tbEUlT_E_NS1_11comp_targetILNS1_3genE5ELNS1_11target_archE942ELNS1_3gpuE9ELNS1_3repE0EEENS1_30default_config_static_selectorELNS0_4arch9wavefront6targetE0EEEvSP_,"axG",@progbits,_ZN7rocprim17ROCPRIM_400000_NS6detail17trampoline_kernelINS0_14default_configENS1_32segmented_reduce_config_selectorIfEEZNS1_21segmented_reduce_implIS3_PKfPfPKifN6hipcub16HIPCUB_304000_NS6detail27convert_result_type_wrapperIS8_S9_N2at6native12_GLOBAL__N_19CustomMaxEEEEE10hipError_tPvRmT0_T1_jT2_SQ_T4_T3_P12ihipStream_tbEUlT_E_NS1_11comp_targetILNS1_3genE5ELNS1_11target_archE942ELNS1_3gpuE9ELNS1_3repE0EEENS1_30default_config_static_selectorELNS0_4arch9wavefront6targetE0EEEvSP_,comdat
	.globl	_ZN7rocprim17ROCPRIM_400000_NS6detail17trampoline_kernelINS0_14default_configENS1_32segmented_reduce_config_selectorIfEEZNS1_21segmented_reduce_implIS3_PKfPfPKifN6hipcub16HIPCUB_304000_NS6detail27convert_result_type_wrapperIS8_S9_N2at6native12_GLOBAL__N_19CustomMaxEEEEE10hipError_tPvRmT0_T1_jT2_SQ_T4_T3_P12ihipStream_tbEUlT_E_NS1_11comp_targetILNS1_3genE5ELNS1_11target_archE942ELNS1_3gpuE9ELNS1_3repE0EEENS1_30default_config_static_selectorELNS0_4arch9wavefront6targetE0EEEvSP_ ; -- Begin function _ZN7rocprim17ROCPRIM_400000_NS6detail17trampoline_kernelINS0_14default_configENS1_32segmented_reduce_config_selectorIfEEZNS1_21segmented_reduce_implIS3_PKfPfPKifN6hipcub16HIPCUB_304000_NS6detail27convert_result_type_wrapperIS8_S9_N2at6native12_GLOBAL__N_19CustomMaxEEEEE10hipError_tPvRmT0_T1_jT2_SQ_T4_T3_P12ihipStream_tbEUlT_E_NS1_11comp_targetILNS1_3genE5ELNS1_11target_archE942ELNS1_3gpuE9ELNS1_3repE0EEENS1_30default_config_static_selectorELNS0_4arch9wavefront6targetE0EEEvSP_
	.p2align	8
	.type	_ZN7rocprim17ROCPRIM_400000_NS6detail17trampoline_kernelINS0_14default_configENS1_32segmented_reduce_config_selectorIfEEZNS1_21segmented_reduce_implIS3_PKfPfPKifN6hipcub16HIPCUB_304000_NS6detail27convert_result_type_wrapperIS8_S9_N2at6native12_GLOBAL__N_19CustomMaxEEEEE10hipError_tPvRmT0_T1_jT2_SQ_T4_T3_P12ihipStream_tbEUlT_E_NS1_11comp_targetILNS1_3genE5ELNS1_11target_archE942ELNS1_3gpuE9ELNS1_3repE0EEENS1_30default_config_static_selectorELNS0_4arch9wavefront6targetE0EEEvSP_,@function
_ZN7rocprim17ROCPRIM_400000_NS6detail17trampoline_kernelINS0_14default_configENS1_32segmented_reduce_config_selectorIfEEZNS1_21segmented_reduce_implIS3_PKfPfPKifN6hipcub16HIPCUB_304000_NS6detail27convert_result_type_wrapperIS8_S9_N2at6native12_GLOBAL__N_19CustomMaxEEEEE10hipError_tPvRmT0_T1_jT2_SQ_T4_T3_P12ihipStream_tbEUlT_E_NS1_11comp_targetILNS1_3genE5ELNS1_11target_archE942ELNS1_3gpuE9ELNS1_3repE0EEENS1_30default_config_static_selectorELNS0_4arch9wavefront6targetE0EEEvSP_: ; @_ZN7rocprim17ROCPRIM_400000_NS6detail17trampoline_kernelINS0_14default_configENS1_32segmented_reduce_config_selectorIfEEZNS1_21segmented_reduce_implIS3_PKfPfPKifN6hipcub16HIPCUB_304000_NS6detail27convert_result_type_wrapperIS8_S9_N2at6native12_GLOBAL__N_19CustomMaxEEEEE10hipError_tPvRmT0_T1_jT2_SQ_T4_T3_P12ihipStream_tbEUlT_E_NS1_11comp_targetILNS1_3genE5ELNS1_11target_archE942ELNS1_3gpuE9ELNS1_3repE0EEENS1_30default_config_static_selectorELNS0_4arch9wavefront6targetE0EEEvSP_
; %bb.0:
	.section	.rodata,"a",@progbits
	.p2align	6, 0x0
	.amdhsa_kernel _ZN7rocprim17ROCPRIM_400000_NS6detail17trampoline_kernelINS0_14default_configENS1_32segmented_reduce_config_selectorIfEEZNS1_21segmented_reduce_implIS3_PKfPfPKifN6hipcub16HIPCUB_304000_NS6detail27convert_result_type_wrapperIS8_S9_N2at6native12_GLOBAL__N_19CustomMaxEEEEE10hipError_tPvRmT0_T1_jT2_SQ_T4_T3_P12ihipStream_tbEUlT_E_NS1_11comp_targetILNS1_3genE5ELNS1_11target_archE942ELNS1_3gpuE9ELNS1_3repE0EEENS1_30default_config_static_selectorELNS0_4arch9wavefront6targetE0EEEvSP_
		.amdhsa_group_segment_fixed_size 0
		.amdhsa_private_segment_fixed_size 0
		.amdhsa_kernarg_size 48
		.amdhsa_user_sgpr_count 2
		.amdhsa_user_sgpr_dispatch_ptr 0
		.amdhsa_user_sgpr_queue_ptr 0
		.amdhsa_user_sgpr_kernarg_segment_ptr 1
		.amdhsa_user_sgpr_dispatch_id 0
		.amdhsa_user_sgpr_kernarg_preload_length 0
		.amdhsa_user_sgpr_kernarg_preload_offset 0
		.amdhsa_user_sgpr_private_segment_size 0
		.amdhsa_wavefront_size32 1
		.amdhsa_uses_dynamic_stack 0
		.amdhsa_enable_private_segment 0
		.amdhsa_system_sgpr_workgroup_id_x 1
		.amdhsa_system_sgpr_workgroup_id_y 0
		.amdhsa_system_sgpr_workgroup_id_z 0
		.amdhsa_system_sgpr_workgroup_info 0
		.amdhsa_system_vgpr_workitem_id 0
		.amdhsa_next_free_vgpr 1
		.amdhsa_next_free_sgpr 1
		.amdhsa_named_barrier_count 0
		.amdhsa_reserve_vcc 0
		.amdhsa_float_round_mode_32 0
		.amdhsa_float_round_mode_16_64 0
		.amdhsa_float_denorm_mode_32 3
		.amdhsa_float_denorm_mode_16_64 3
		.amdhsa_fp16_overflow 0
		.amdhsa_memory_ordered 1
		.amdhsa_forward_progress 1
		.amdhsa_inst_pref_size 0
		.amdhsa_round_robin_scheduling 0
		.amdhsa_exception_fp_ieee_invalid_op 0
		.amdhsa_exception_fp_denorm_src 0
		.amdhsa_exception_fp_ieee_div_zero 0
		.amdhsa_exception_fp_ieee_overflow 0
		.amdhsa_exception_fp_ieee_underflow 0
		.amdhsa_exception_fp_ieee_inexact 0
		.amdhsa_exception_int_div_zero 0
	.end_amdhsa_kernel
	.section	.text._ZN7rocprim17ROCPRIM_400000_NS6detail17trampoline_kernelINS0_14default_configENS1_32segmented_reduce_config_selectorIfEEZNS1_21segmented_reduce_implIS3_PKfPfPKifN6hipcub16HIPCUB_304000_NS6detail27convert_result_type_wrapperIS8_S9_N2at6native12_GLOBAL__N_19CustomMaxEEEEE10hipError_tPvRmT0_T1_jT2_SQ_T4_T3_P12ihipStream_tbEUlT_E_NS1_11comp_targetILNS1_3genE5ELNS1_11target_archE942ELNS1_3gpuE9ELNS1_3repE0EEENS1_30default_config_static_selectorELNS0_4arch9wavefront6targetE0EEEvSP_,"axG",@progbits,_ZN7rocprim17ROCPRIM_400000_NS6detail17trampoline_kernelINS0_14default_configENS1_32segmented_reduce_config_selectorIfEEZNS1_21segmented_reduce_implIS3_PKfPfPKifN6hipcub16HIPCUB_304000_NS6detail27convert_result_type_wrapperIS8_S9_N2at6native12_GLOBAL__N_19CustomMaxEEEEE10hipError_tPvRmT0_T1_jT2_SQ_T4_T3_P12ihipStream_tbEUlT_E_NS1_11comp_targetILNS1_3genE5ELNS1_11target_archE942ELNS1_3gpuE9ELNS1_3repE0EEENS1_30default_config_static_selectorELNS0_4arch9wavefront6targetE0EEEvSP_,comdat
.Lfunc_end44:
	.size	_ZN7rocprim17ROCPRIM_400000_NS6detail17trampoline_kernelINS0_14default_configENS1_32segmented_reduce_config_selectorIfEEZNS1_21segmented_reduce_implIS3_PKfPfPKifN6hipcub16HIPCUB_304000_NS6detail27convert_result_type_wrapperIS8_S9_N2at6native12_GLOBAL__N_19CustomMaxEEEEE10hipError_tPvRmT0_T1_jT2_SQ_T4_T3_P12ihipStream_tbEUlT_E_NS1_11comp_targetILNS1_3genE5ELNS1_11target_archE942ELNS1_3gpuE9ELNS1_3repE0EEENS1_30default_config_static_selectorELNS0_4arch9wavefront6targetE0EEEvSP_, .Lfunc_end44-_ZN7rocprim17ROCPRIM_400000_NS6detail17trampoline_kernelINS0_14default_configENS1_32segmented_reduce_config_selectorIfEEZNS1_21segmented_reduce_implIS3_PKfPfPKifN6hipcub16HIPCUB_304000_NS6detail27convert_result_type_wrapperIS8_S9_N2at6native12_GLOBAL__N_19CustomMaxEEEEE10hipError_tPvRmT0_T1_jT2_SQ_T4_T3_P12ihipStream_tbEUlT_E_NS1_11comp_targetILNS1_3genE5ELNS1_11target_archE942ELNS1_3gpuE9ELNS1_3repE0EEENS1_30default_config_static_selectorELNS0_4arch9wavefront6targetE0EEEvSP_
                                        ; -- End function
	.set _ZN7rocprim17ROCPRIM_400000_NS6detail17trampoline_kernelINS0_14default_configENS1_32segmented_reduce_config_selectorIfEEZNS1_21segmented_reduce_implIS3_PKfPfPKifN6hipcub16HIPCUB_304000_NS6detail27convert_result_type_wrapperIS8_S9_N2at6native12_GLOBAL__N_19CustomMaxEEEEE10hipError_tPvRmT0_T1_jT2_SQ_T4_T3_P12ihipStream_tbEUlT_E_NS1_11comp_targetILNS1_3genE5ELNS1_11target_archE942ELNS1_3gpuE9ELNS1_3repE0EEENS1_30default_config_static_selectorELNS0_4arch9wavefront6targetE0EEEvSP_.num_vgpr, 0
	.set _ZN7rocprim17ROCPRIM_400000_NS6detail17trampoline_kernelINS0_14default_configENS1_32segmented_reduce_config_selectorIfEEZNS1_21segmented_reduce_implIS3_PKfPfPKifN6hipcub16HIPCUB_304000_NS6detail27convert_result_type_wrapperIS8_S9_N2at6native12_GLOBAL__N_19CustomMaxEEEEE10hipError_tPvRmT0_T1_jT2_SQ_T4_T3_P12ihipStream_tbEUlT_E_NS1_11comp_targetILNS1_3genE5ELNS1_11target_archE942ELNS1_3gpuE9ELNS1_3repE0EEENS1_30default_config_static_selectorELNS0_4arch9wavefront6targetE0EEEvSP_.num_agpr, 0
	.set _ZN7rocprim17ROCPRIM_400000_NS6detail17trampoline_kernelINS0_14default_configENS1_32segmented_reduce_config_selectorIfEEZNS1_21segmented_reduce_implIS3_PKfPfPKifN6hipcub16HIPCUB_304000_NS6detail27convert_result_type_wrapperIS8_S9_N2at6native12_GLOBAL__N_19CustomMaxEEEEE10hipError_tPvRmT0_T1_jT2_SQ_T4_T3_P12ihipStream_tbEUlT_E_NS1_11comp_targetILNS1_3genE5ELNS1_11target_archE942ELNS1_3gpuE9ELNS1_3repE0EEENS1_30default_config_static_selectorELNS0_4arch9wavefront6targetE0EEEvSP_.numbered_sgpr, 0
	.set _ZN7rocprim17ROCPRIM_400000_NS6detail17trampoline_kernelINS0_14default_configENS1_32segmented_reduce_config_selectorIfEEZNS1_21segmented_reduce_implIS3_PKfPfPKifN6hipcub16HIPCUB_304000_NS6detail27convert_result_type_wrapperIS8_S9_N2at6native12_GLOBAL__N_19CustomMaxEEEEE10hipError_tPvRmT0_T1_jT2_SQ_T4_T3_P12ihipStream_tbEUlT_E_NS1_11comp_targetILNS1_3genE5ELNS1_11target_archE942ELNS1_3gpuE9ELNS1_3repE0EEENS1_30default_config_static_selectorELNS0_4arch9wavefront6targetE0EEEvSP_.num_named_barrier, 0
	.set _ZN7rocprim17ROCPRIM_400000_NS6detail17trampoline_kernelINS0_14default_configENS1_32segmented_reduce_config_selectorIfEEZNS1_21segmented_reduce_implIS3_PKfPfPKifN6hipcub16HIPCUB_304000_NS6detail27convert_result_type_wrapperIS8_S9_N2at6native12_GLOBAL__N_19CustomMaxEEEEE10hipError_tPvRmT0_T1_jT2_SQ_T4_T3_P12ihipStream_tbEUlT_E_NS1_11comp_targetILNS1_3genE5ELNS1_11target_archE942ELNS1_3gpuE9ELNS1_3repE0EEENS1_30default_config_static_selectorELNS0_4arch9wavefront6targetE0EEEvSP_.private_seg_size, 0
	.set _ZN7rocprim17ROCPRIM_400000_NS6detail17trampoline_kernelINS0_14default_configENS1_32segmented_reduce_config_selectorIfEEZNS1_21segmented_reduce_implIS3_PKfPfPKifN6hipcub16HIPCUB_304000_NS6detail27convert_result_type_wrapperIS8_S9_N2at6native12_GLOBAL__N_19CustomMaxEEEEE10hipError_tPvRmT0_T1_jT2_SQ_T4_T3_P12ihipStream_tbEUlT_E_NS1_11comp_targetILNS1_3genE5ELNS1_11target_archE942ELNS1_3gpuE9ELNS1_3repE0EEENS1_30default_config_static_selectorELNS0_4arch9wavefront6targetE0EEEvSP_.uses_vcc, 0
	.set _ZN7rocprim17ROCPRIM_400000_NS6detail17trampoline_kernelINS0_14default_configENS1_32segmented_reduce_config_selectorIfEEZNS1_21segmented_reduce_implIS3_PKfPfPKifN6hipcub16HIPCUB_304000_NS6detail27convert_result_type_wrapperIS8_S9_N2at6native12_GLOBAL__N_19CustomMaxEEEEE10hipError_tPvRmT0_T1_jT2_SQ_T4_T3_P12ihipStream_tbEUlT_E_NS1_11comp_targetILNS1_3genE5ELNS1_11target_archE942ELNS1_3gpuE9ELNS1_3repE0EEENS1_30default_config_static_selectorELNS0_4arch9wavefront6targetE0EEEvSP_.uses_flat_scratch, 0
	.set _ZN7rocprim17ROCPRIM_400000_NS6detail17trampoline_kernelINS0_14default_configENS1_32segmented_reduce_config_selectorIfEEZNS1_21segmented_reduce_implIS3_PKfPfPKifN6hipcub16HIPCUB_304000_NS6detail27convert_result_type_wrapperIS8_S9_N2at6native12_GLOBAL__N_19CustomMaxEEEEE10hipError_tPvRmT0_T1_jT2_SQ_T4_T3_P12ihipStream_tbEUlT_E_NS1_11comp_targetILNS1_3genE5ELNS1_11target_archE942ELNS1_3gpuE9ELNS1_3repE0EEENS1_30default_config_static_selectorELNS0_4arch9wavefront6targetE0EEEvSP_.has_dyn_sized_stack, 0
	.set _ZN7rocprim17ROCPRIM_400000_NS6detail17trampoline_kernelINS0_14default_configENS1_32segmented_reduce_config_selectorIfEEZNS1_21segmented_reduce_implIS3_PKfPfPKifN6hipcub16HIPCUB_304000_NS6detail27convert_result_type_wrapperIS8_S9_N2at6native12_GLOBAL__N_19CustomMaxEEEEE10hipError_tPvRmT0_T1_jT2_SQ_T4_T3_P12ihipStream_tbEUlT_E_NS1_11comp_targetILNS1_3genE5ELNS1_11target_archE942ELNS1_3gpuE9ELNS1_3repE0EEENS1_30default_config_static_selectorELNS0_4arch9wavefront6targetE0EEEvSP_.has_recursion, 0
	.set _ZN7rocprim17ROCPRIM_400000_NS6detail17trampoline_kernelINS0_14default_configENS1_32segmented_reduce_config_selectorIfEEZNS1_21segmented_reduce_implIS3_PKfPfPKifN6hipcub16HIPCUB_304000_NS6detail27convert_result_type_wrapperIS8_S9_N2at6native12_GLOBAL__N_19CustomMaxEEEEE10hipError_tPvRmT0_T1_jT2_SQ_T4_T3_P12ihipStream_tbEUlT_E_NS1_11comp_targetILNS1_3genE5ELNS1_11target_archE942ELNS1_3gpuE9ELNS1_3repE0EEENS1_30default_config_static_selectorELNS0_4arch9wavefront6targetE0EEEvSP_.has_indirect_call, 0
	.section	.AMDGPU.csdata,"",@progbits
; Kernel info:
; codeLenInByte = 0
; TotalNumSgprs: 0
; NumVgprs: 0
; ScratchSize: 0
; MemoryBound: 0
; FloatMode: 240
; IeeeMode: 1
; LDSByteSize: 0 bytes/workgroup (compile time only)
; SGPRBlocks: 0
; VGPRBlocks: 0
; NumSGPRsForWavesPerEU: 1
; NumVGPRsForWavesPerEU: 1
; NamedBarCnt: 0
; Occupancy: 16
; WaveLimiterHint : 0
; COMPUTE_PGM_RSRC2:SCRATCH_EN: 0
; COMPUTE_PGM_RSRC2:USER_SGPR: 2
; COMPUTE_PGM_RSRC2:TRAP_HANDLER: 0
; COMPUTE_PGM_RSRC2:TGID_X_EN: 1
; COMPUTE_PGM_RSRC2:TGID_Y_EN: 0
; COMPUTE_PGM_RSRC2:TGID_Z_EN: 0
; COMPUTE_PGM_RSRC2:TIDIG_COMP_CNT: 0
	.section	.text._ZN7rocprim17ROCPRIM_400000_NS6detail17trampoline_kernelINS0_14default_configENS1_32segmented_reduce_config_selectorIfEEZNS1_21segmented_reduce_implIS3_PKfPfPKifN6hipcub16HIPCUB_304000_NS6detail27convert_result_type_wrapperIS8_S9_N2at6native12_GLOBAL__N_19CustomMaxEEEEE10hipError_tPvRmT0_T1_jT2_SQ_T4_T3_P12ihipStream_tbEUlT_E_NS1_11comp_targetILNS1_3genE10ELNS1_11target_archE1201ELNS1_3gpuE5ELNS1_3repE0EEENS1_30default_config_static_selectorELNS0_4arch9wavefront6targetE0EEEvSP_,"axG",@progbits,_ZN7rocprim17ROCPRIM_400000_NS6detail17trampoline_kernelINS0_14default_configENS1_32segmented_reduce_config_selectorIfEEZNS1_21segmented_reduce_implIS3_PKfPfPKifN6hipcub16HIPCUB_304000_NS6detail27convert_result_type_wrapperIS8_S9_N2at6native12_GLOBAL__N_19CustomMaxEEEEE10hipError_tPvRmT0_T1_jT2_SQ_T4_T3_P12ihipStream_tbEUlT_E_NS1_11comp_targetILNS1_3genE10ELNS1_11target_archE1201ELNS1_3gpuE5ELNS1_3repE0EEENS1_30default_config_static_selectorELNS0_4arch9wavefront6targetE0EEEvSP_,comdat
	.globl	_ZN7rocprim17ROCPRIM_400000_NS6detail17trampoline_kernelINS0_14default_configENS1_32segmented_reduce_config_selectorIfEEZNS1_21segmented_reduce_implIS3_PKfPfPKifN6hipcub16HIPCUB_304000_NS6detail27convert_result_type_wrapperIS8_S9_N2at6native12_GLOBAL__N_19CustomMaxEEEEE10hipError_tPvRmT0_T1_jT2_SQ_T4_T3_P12ihipStream_tbEUlT_E_NS1_11comp_targetILNS1_3genE10ELNS1_11target_archE1201ELNS1_3gpuE5ELNS1_3repE0EEENS1_30default_config_static_selectorELNS0_4arch9wavefront6targetE0EEEvSP_ ; -- Begin function _ZN7rocprim17ROCPRIM_400000_NS6detail17trampoline_kernelINS0_14default_configENS1_32segmented_reduce_config_selectorIfEEZNS1_21segmented_reduce_implIS3_PKfPfPKifN6hipcub16HIPCUB_304000_NS6detail27convert_result_type_wrapperIS8_S9_N2at6native12_GLOBAL__N_19CustomMaxEEEEE10hipError_tPvRmT0_T1_jT2_SQ_T4_T3_P12ihipStream_tbEUlT_E_NS1_11comp_targetILNS1_3genE10ELNS1_11target_archE1201ELNS1_3gpuE5ELNS1_3repE0EEENS1_30default_config_static_selectorELNS0_4arch9wavefront6targetE0EEEvSP_
	.p2align	8
	.type	_ZN7rocprim17ROCPRIM_400000_NS6detail17trampoline_kernelINS0_14default_configENS1_32segmented_reduce_config_selectorIfEEZNS1_21segmented_reduce_implIS3_PKfPfPKifN6hipcub16HIPCUB_304000_NS6detail27convert_result_type_wrapperIS8_S9_N2at6native12_GLOBAL__N_19CustomMaxEEEEE10hipError_tPvRmT0_T1_jT2_SQ_T4_T3_P12ihipStream_tbEUlT_E_NS1_11comp_targetILNS1_3genE10ELNS1_11target_archE1201ELNS1_3gpuE5ELNS1_3repE0EEENS1_30default_config_static_selectorELNS0_4arch9wavefront6targetE0EEEvSP_,@function
_ZN7rocprim17ROCPRIM_400000_NS6detail17trampoline_kernelINS0_14default_configENS1_32segmented_reduce_config_selectorIfEEZNS1_21segmented_reduce_implIS3_PKfPfPKifN6hipcub16HIPCUB_304000_NS6detail27convert_result_type_wrapperIS8_S9_N2at6native12_GLOBAL__N_19CustomMaxEEEEE10hipError_tPvRmT0_T1_jT2_SQ_T4_T3_P12ihipStream_tbEUlT_E_NS1_11comp_targetILNS1_3genE10ELNS1_11target_archE1201ELNS1_3gpuE5ELNS1_3repE0EEENS1_30default_config_static_selectorELNS0_4arch9wavefront6targetE0EEEvSP_: ; @_ZN7rocprim17ROCPRIM_400000_NS6detail17trampoline_kernelINS0_14default_configENS1_32segmented_reduce_config_selectorIfEEZNS1_21segmented_reduce_implIS3_PKfPfPKifN6hipcub16HIPCUB_304000_NS6detail27convert_result_type_wrapperIS8_S9_N2at6native12_GLOBAL__N_19CustomMaxEEEEE10hipError_tPvRmT0_T1_jT2_SQ_T4_T3_P12ihipStream_tbEUlT_E_NS1_11comp_targetILNS1_3genE10ELNS1_11target_archE1201ELNS1_3gpuE5ELNS1_3repE0EEENS1_30default_config_static_selectorELNS0_4arch9wavefront6targetE0EEEvSP_
; %bb.0:
	.section	.rodata,"a",@progbits
	.p2align	6, 0x0
	.amdhsa_kernel _ZN7rocprim17ROCPRIM_400000_NS6detail17trampoline_kernelINS0_14default_configENS1_32segmented_reduce_config_selectorIfEEZNS1_21segmented_reduce_implIS3_PKfPfPKifN6hipcub16HIPCUB_304000_NS6detail27convert_result_type_wrapperIS8_S9_N2at6native12_GLOBAL__N_19CustomMaxEEEEE10hipError_tPvRmT0_T1_jT2_SQ_T4_T3_P12ihipStream_tbEUlT_E_NS1_11comp_targetILNS1_3genE10ELNS1_11target_archE1201ELNS1_3gpuE5ELNS1_3repE0EEENS1_30default_config_static_selectorELNS0_4arch9wavefront6targetE0EEEvSP_
		.amdhsa_group_segment_fixed_size 0
		.amdhsa_private_segment_fixed_size 0
		.amdhsa_kernarg_size 48
		.amdhsa_user_sgpr_count 2
		.amdhsa_user_sgpr_dispatch_ptr 0
		.amdhsa_user_sgpr_queue_ptr 0
		.amdhsa_user_sgpr_kernarg_segment_ptr 1
		.amdhsa_user_sgpr_dispatch_id 0
		.amdhsa_user_sgpr_kernarg_preload_length 0
		.amdhsa_user_sgpr_kernarg_preload_offset 0
		.amdhsa_user_sgpr_private_segment_size 0
		.amdhsa_wavefront_size32 1
		.amdhsa_uses_dynamic_stack 0
		.amdhsa_enable_private_segment 0
		.amdhsa_system_sgpr_workgroup_id_x 1
		.amdhsa_system_sgpr_workgroup_id_y 0
		.amdhsa_system_sgpr_workgroup_id_z 0
		.amdhsa_system_sgpr_workgroup_info 0
		.amdhsa_system_vgpr_workitem_id 0
		.amdhsa_next_free_vgpr 1
		.amdhsa_next_free_sgpr 1
		.amdhsa_named_barrier_count 0
		.amdhsa_reserve_vcc 0
		.amdhsa_float_round_mode_32 0
		.amdhsa_float_round_mode_16_64 0
		.amdhsa_float_denorm_mode_32 3
		.amdhsa_float_denorm_mode_16_64 3
		.amdhsa_fp16_overflow 0
		.amdhsa_memory_ordered 1
		.amdhsa_forward_progress 1
		.amdhsa_inst_pref_size 0
		.amdhsa_round_robin_scheduling 0
		.amdhsa_exception_fp_ieee_invalid_op 0
		.amdhsa_exception_fp_denorm_src 0
		.amdhsa_exception_fp_ieee_div_zero 0
		.amdhsa_exception_fp_ieee_overflow 0
		.amdhsa_exception_fp_ieee_underflow 0
		.amdhsa_exception_fp_ieee_inexact 0
		.amdhsa_exception_int_div_zero 0
	.end_amdhsa_kernel
	.section	.text._ZN7rocprim17ROCPRIM_400000_NS6detail17trampoline_kernelINS0_14default_configENS1_32segmented_reduce_config_selectorIfEEZNS1_21segmented_reduce_implIS3_PKfPfPKifN6hipcub16HIPCUB_304000_NS6detail27convert_result_type_wrapperIS8_S9_N2at6native12_GLOBAL__N_19CustomMaxEEEEE10hipError_tPvRmT0_T1_jT2_SQ_T4_T3_P12ihipStream_tbEUlT_E_NS1_11comp_targetILNS1_3genE10ELNS1_11target_archE1201ELNS1_3gpuE5ELNS1_3repE0EEENS1_30default_config_static_selectorELNS0_4arch9wavefront6targetE0EEEvSP_,"axG",@progbits,_ZN7rocprim17ROCPRIM_400000_NS6detail17trampoline_kernelINS0_14default_configENS1_32segmented_reduce_config_selectorIfEEZNS1_21segmented_reduce_implIS3_PKfPfPKifN6hipcub16HIPCUB_304000_NS6detail27convert_result_type_wrapperIS8_S9_N2at6native12_GLOBAL__N_19CustomMaxEEEEE10hipError_tPvRmT0_T1_jT2_SQ_T4_T3_P12ihipStream_tbEUlT_E_NS1_11comp_targetILNS1_3genE10ELNS1_11target_archE1201ELNS1_3gpuE5ELNS1_3repE0EEENS1_30default_config_static_selectorELNS0_4arch9wavefront6targetE0EEEvSP_,comdat
.Lfunc_end45:
	.size	_ZN7rocprim17ROCPRIM_400000_NS6detail17trampoline_kernelINS0_14default_configENS1_32segmented_reduce_config_selectorIfEEZNS1_21segmented_reduce_implIS3_PKfPfPKifN6hipcub16HIPCUB_304000_NS6detail27convert_result_type_wrapperIS8_S9_N2at6native12_GLOBAL__N_19CustomMaxEEEEE10hipError_tPvRmT0_T1_jT2_SQ_T4_T3_P12ihipStream_tbEUlT_E_NS1_11comp_targetILNS1_3genE10ELNS1_11target_archE1201ELNS1_3gpuE5ELNS1_3repE0EEENS1_30default_config_static_selectorELNS0_4arch9wavefront6targetE0EEEvSP_, .Lfunc_end45-_ZN7rocprim17ROCPRIM_400000_NS6detail17trampoline_kernelINS0_14default_configENS1_32segmented_reduce_config_selectorIfEEZNS1_21segmented_reduce_implIS3_PKfPfPKifN6hipcub16HIPCUB_304000_NS6detail27convert_result_type_wrapperIS8_S9_N2at6native12_GLOBAL__N_19CustomMaxEEEEE10hipError_tPvRmT0_T1_jT2_SQ_T4_T3_P12ihipStream_tbEUlT_E_NS1_11comp_targetILNS1_3genE10ELNS1_11target_archE1201ELNS1_3gpuE5ELNS1_3repE0EEENS1_30default_config_static_selectorELNS0_4arch9wavefront6targetE0EEEvSP_
                                        ; -- End function
	.set _ZN7rocprim17ROCPRIM_400000_NS6detail17trampoline_kernelINS0_14default_configENS1_32segmented_reduce_config_selectorIfEEZNS1_21segmented_reduce_implIS3_PKfPfPKifN6hipcub16HIPCUB_304000_NS6detail27convert_result_type_wrapperIS8_S9_N2at6native12_GLOBAL__N_19CustomMaxEEEEE10hipError_tPvRmT0_T1_jT2_SQ_T4_T3_P12ihipStream_tbEUlT_E_NS1_11comp_targetILNS1_3genE10ELNS1_11target_archE1201ELNS1_3gpuE5ELNS1_3repE0EEENS1_30default_config_static_selectorELNS0_4arch9wavefront6targetE0EEEvSP_.num_vgpr, 0
	.set _ZN7rocprim17ROCPRIM_400000_NS6detail17trampoline_kernelINS0_14default_configENS1_32segmented_reduce_config_selectorIfEEZNS1_21segmented_reduce_implIS3_PKfPfPKifN6hipcub16HIPCUB_304000_NS6detail27convert_result_type_wrapperIS8_S9_N2at6native12_GLOBAL__N_19CustomMaxEEEEE10hipError_tPvRmT0_T1_jT2_SQ_T4_T3_P12ihipStream_tbEUlT_E_NS1_11comp_targetILNS1_3genE10ELNS1_11target_archE1201ELNS1_3gpuE5ELNS1_3repE0EEENS1_30default_config_static_selectorELNS0_4arch9wavefront6targetE0EEEvSP_.num_agpr, 0
	.set _ZN7rocprim17ROCPRIM_400000_NS6detail17trampoline_kernelINS0_14default_configENS1_32segmented_reduce_config_selectorIfEEZNS1_21segmented_reduce_implIS3_PKfPfPKifN6hipcub16HIPCUB_304000_NS6detail27convert_result_type_wrapperIS8_S9_N2at6native12_GLOBAL__N_19CustomMaxEEEEE10hipError_tPvRmT0_T1_jT2_SQ_T4_T3_P12ihipStream_tbEUlT_E_NS1_11comp_targetILNS1_3genE10ELNS1_11target_archE1201ELNS1_3gpuE5ELNS1_3repE0EEENS1_30default_config_static_selectorELNS0_4arch9wavefront6targetE0EEEvSP_.numbered_sgpr, 0
	.set _ZN7rocprim17ROCPRIM_400000_NS6detail17trampoline_kernelINS0_14default_configENS1_32segmented_reduce_config_selectorIfEEZNS1_21segmented_reduce_implIS3_PKfPfPKifN6hipcub16HIPCUB_304000_NS6detail27convert_result_type_wrapperIS8_S9_N2at6native12_GLOBAL__N_19CustomMaxEEEEE10hipError_tPvRmT0_T1_jT2_SQ_T4_T3_P12ihipStream_tbEUlT_E_NS1_11comp_targetILNS1_3genE10ELNS1_11target_archE1201ELNS1_3gpuE5ELNS1_3repE0EEENS1_30default_config_static_selectorELNS0_4arch9wavefront6targetE0EEEvSP_.num_named_barrier, 0
	.set _ZN7rocprim17ROCPRIM_400000_NS6detail17trampoline_kernelINS0_14default_configENS1_32segmented_reduce_config_selectorIfEEZNS1_21segmented_reduce_implIS3_PKfPfPKifN6hipcub16HIPCUB_304000_NS6detail27convert_result_type_wrapperIS8_S9_N2at6native12_GLOBAL__N_19CustomMaxEEEEE10hipError_tPvRmT0_T1_jT2_SQ_T4_T3_P12ihipStream_tbEUlT_E_NS1_11comp_targetILNS1_3genE10ELNS1_11target_archE1201ELNS1_3gpuE5ELNS1_3repE0EEENS1_30default_config_static_selectorELNS0_4arch9wavefront6targetE0EEEvSP_.private_seg_size, 0
	.set _ZN7rocprim17ROCPRIM_400000_NS6detail17trampoline_kernelINS0_14default_configENS1_32segmented_reduce_config_selectorIfEEZNS1_21segmented_reduce_implIS3_PKfPfPKifN6hipcub16HIPCUB_304000_NS6detail27convert_result_type_wrapperIS8_S9_N2at6native12_GLOBAL__N_19CustomMaxEEEEE10hipError_tPvRmT0_T1_jT2_SQ_T4_T3_P12ihipStream_tbEUlT_E_NS1_11comp_targetILNS1_3genE10ELNS1_11target_archE1201ELNS1_3gpuE5ELNS1_3repE0EEENS1_30default_config_static_selectorELNS0_4arch9wavefront6targetE0EEEvSP_.uses_vcc, 0
	.set _ZN7rocprim17ROCPRIM_400000_NS6detail17trampoline_kernelINS0_14default_configENS1_32segmented_reduce_config_selectorIfEEZNS1_21segmented_reduce_implIS3_PKfPfPKifN6hipcub16HIPCUB_304000_NS6detail27convert_result_type_wrapperIS8_S9_N2at6native12_GLOBAL__N_19CustomMaxEEEEE10hipError_tPvRmT0_T1_jT2_SQ_T4_T3_P12ihipStream_tbEUlT_E_NS1_11comp_targetILNS1_3genE10ELNS1_11target_archE1201ELNS1_3gpuE5ELNS1_3repE0EEENS1_30default_config_static_selectorELNS0_4arch9wavefront6targetE0EEEvSP_.uses_flat_scratch, 0
	.set _ZN7rocprim17ROCPRIM_400000_NS6detail17trampoline_kernelINS0_14default_configENS1_32segmented_reduce_config_selectorIfEEZNS1_21segmented_reduce_implIS3_PKfPfPKifN6hipcub16HIPCUB_304000_NS6detail27convert_result_type_wrapperIS8_S9_N2at6native12_GLOBAL__N_19CustomMaxEEEEE10hipError_tPvRmT0_T1_jT2_SQ_T4_T3_P12ihipStream_tbEUlT_E_NS1_11comp_targetILNS1_3genE10ELNS1_11target_archE1201ELNS1_3gpuE5ELNS1_3repE0EEENS1_30default_config_static_selectorELNS0_4arch9wavefront6targetE0EEEvSP_.has_dyn_sized_stack, 0
	.set _ZN7rocprim17ROCPRIM_400000_NS6detail17trampoline_kernelINS0_14default_configENS1_32segmented_reduce_config_selectorIfEEZNS1_21segmented_reduce_implIS3_PKfPfPKifN6hipcub16HIPCUB_304000_NS6detail27convert_result_type_wrapperIS8_S9_N2at6native12_GLOBAL__N_19CustomMaxEEEEE10hipError_tPvRmT0_T1_jT2_SQ_T4_T3_P12ihipStream_tbEUlT_E_NS1_11comp_targetILNS1_3genE10ELNS1_11target_archE1201ELNS1_3gpuE5ELNS1_3repE0EEENS1_30default_config_static_selectorELNS0_4arch9wavefront6targetE0EEEvSP_.has_recursion, 0
	.set _ZN7rocprim17ROCPRIM_400000_NS6detail17trampoline_kernelINS0_14default_configENS1_32segmented_reduce_config_selectorIfEEZNS1_21segmented_reduce_implIS3_PKfPfPKifN6hipcub16HIPCUB_304000_NS6detail27convert_result_type_wrapperIS8_S9_N2at6native12_GLOBAL__N_19CustomMaxEEEEE10hipError_tPvRmT0_T1_jT2_SQ_T4_T3_P12ihipStream_tbEUlT_E_NS1_11comp_targetILNS1_3genE10ELNS1_11target_archE1201ELNS1_3gpuE5ELNS1_3repE0EEENS1_30default_config_static_selectorELNS0_4arch9wavefront6targetE0EEEvSP_.has_indirect_call, 0
	.section	.AMDGPU.csdata,"",@progbits
; Kernel info:
; codeLenInByte = 0
; TotalNumSgprs: 0
; NumVgprs: 0
; ScratchSize: 0
; MemoryBound: 0
; FloatMode: 240
; IeeeMode: 1
; LDSByteSize: 0 bytes/workgroup (compile time only)
; SGPRBlocks: 0
; VGPRBlocks: 0
; NumSGPRsForWavesPerEU: 1
; NumVGPRsForWavesPerEU: 1
; NamedBarCnt: 0
; Occupancy: 16
; WaveLimiterHint : 0
; COMPUTE_PGM_RSRC2:SCRATCH_EN: 0
; COMPUTE_PGM_RSRC2:USER_SGPR: 2
; COMPUTE_PGM_RSRC2:TRAP_HANDLER: 0
; COMPUTE_PGM_RSRC2:TGID_X_EN: 1
; COMPUTE_PGM_RSRC2:TGID_Y_EN: 0
; COMPUTE_PGM_RSRC2:TGID_Z_EN: 0
; COMPUTE_PGM_RSRC2:TIDIG_COMP_CNT: 0
	.section	.text._ZN7rocprim17ROCPRIM_400000_NS6detail17trampoline_kernelINS0_14default_configENS1_32segmented_reduce_config_selectorIfEEZNS1_21segmented_reduce_implIS3_PKfPfPKifN6hipcub16HIPCUB_304000_NS6detail27convert_result_type_wrapperIS8_S9_N2at6native12_GLOBAL__N_19CustomMaxEEEEE10hipError_tPvRmT0_T1_jT2_SQ_T4_T3_P12ihipStream_tbEUlT_E_NS1_11comp_targetILNS1_3genE4ELNS1_11target_archE910ELNS1_3gpuE8ELNS1_3repE0EEENS1_30default_config_static_selectorELNS0_4arch9wavefront6targetE0EEEvSP_,"axG",@progbits,_ZN7rocprim17ROCPRIM_400000_NS6detail17trampoline_kernelINS0_14default_configENS1_32segmented_reduce_config_selectorIfEEZNS1_21segmented_reduce_implIS3_PKfPfPKifN6hipcub16HIPCUB_304000_NS6detail27convert_result_type_wrapperIS8_S9_N2at6native12_GLOBAL__N_19CustomMaxEEEEE10hipError_tPvRmT0_T1_jT2_SQ_T4_T3_P12ihipStream_tbEUlT_E_NS1_11comp_targetILNS1_3genE4ELNS1_11target_archE910ELNS1_3gpuE8ELNS1_3repE0EEENS1_30default_config_static_selectorELNS0_4arch9wavefront6targetE0EEEvSP_,comdat
	.globl	_ZN7rocprim17ROCPRIM_400000_NS6detail17trampoline_kernelINS0_14default_configENS1_32segmented_reduce_config_selectorIfEEZNS1_21segmented_reduce_implIS3_PKfPfPKifN6hipcub16HIPCUB_304000_NS6detail27convert_result_type_wrapperIS8_S9_N2at6native12_GLOBAL__N_19CustomMaxEEEEE10hipError_tPvRmT0_T1_jT2_SQ_T4_T3_P12ihipStream_tbEUlT_E_NS1_11comp_targetILNS1_3genE4ELNS1_11target_archE910ELNS1_3gpuE8ELNS1_3repE0EEENS1_30default_config_static_selectorELNS0_4arch9wavefront6targetE0EEEvSP_ ; -- Begin function _ZN7rocprim17ROCPRIM_400000_NS6detail17trampoline_kernelINS0_14default_configENS1_32segmented_reduce_config_selectorIfEEZNS1_21segmented_reduce_implIS3_PKfPfPKifN6hipcub16HIPCUB_304000_NS6detail27convert_result_type_wrapperIS8_S9_N2at6native12_GLOBAL__N_19CustomMaxEEEEE10hipError_tPvRmT0_T1_jT2_SQ_T4_T3_P12ihipStream_tbEUlT_E_NS1_11comp_targetILNS1_3genE4ELNS1_11target_archE910ELNS1_3gpuE8ELNS1_3repE0EEENS1_30default_config_static_selectorELNS0_4arch9wavefront6targetE0EEEvSP_
	.p2align	8
	.type	_ZN7rocprim17ROCPRIM_400000_NS6detail17trampoline_kernelINS0_14default_configENS1_32segmented_reduce_config_selectorIfEEZNS1_21segmented_reduce_implIS3_PKfPfPKifN6hipcub16HIPCUB_304000_NS6detail27convert_result_type_wrapperIS8_S9_N2at6native12_GLOBAL__N_19CustomMaxEEEEE10hipError_tPvRmT0_T1_jT2_SQ_T4_T3_P12ihipStream_tbEUlT_E_NS1_11comp_targetILNS1_3genE4ELNS1_11target_archE910ELNS1_3gpuE8ELNS1_3repE0EEENS1_30default_config_static_selectorELNS0_4arch9wavefront6targetE0EEEvSP_,@function
_ZN7rocprim17ROCPRIM_400000_NS6detail17trampoline_kernelINS0_14default_configENS1_32segmented_reduce_config_selectorIfEEZNS1_21segmented_reduce_implIS3_PKfPfPKifN6hipcub16HIPCUB_304000_NS6detail27convert_result_type_wrapperIS8_S9_N2at6native12_GLOBAL__N_19CustomMaxEEEEE10hipError_tPvRmT0_T1_jT2_SQ_T4_T3_P12ihipStream_tbEUlT_E_NS1_11comp_targetILNS1_3genE4ELNS1_11target_archE910ELNS1_3gpuE8ELNS1_3repE0EEENS1_30default_config_static_selectorELNS0_4arch9wavefront6targetE0EEEvSP_: ; @_ZN7rocprim17ROCPRIM_400000_NS6detail17trampoline_kernelINS0_14default_configENS1_32segmented_reduce_config_selectorIfEEZNS1_21segmented_reduce_implIS3_PKfPfPKifN6hipcub16HIPCUB_304000_NS6detail27convert_result_type_wrapperIS8_S9_N2at6native12_GLOBAL__N_19CustomMaxEEEEE10hipError_tPvRmT0_T1_jT2_SQ_T4_T3_P12ihipStream_tbEUlT_E_NS1_11comp_targetILNS1_3genE4ELNS1_11target_archE910ELNS1_3gpuE8ELNS1_3repE0EEENS1_30default_config_static_selectorELNS0_4arch9wavefront6targetE0EEEvSP_
; %bb.0:
	.section	.rodata,"a",@progbits
	.p2align	6, 0x0
	.amdhsa_kernel _ZN7rocprim17ROCPRIM_400000_NS6detail17trampoline_kernelINS0_14default_configENS1_32segmented_reduce_config_selectorIfEEZNS1_21segmented_reduce_implIS3_PKfPfPKifN6hipcub16HIPCUB_304000_NS6detail27convert_result_type_wrapperIS8_S9_N2at6native12_GLOBAL__N_19CustomMaxEEEEE10hipError_tPvRmT0_T1_jT2_SQ_T4_T3_P12ihipStream_tbEUlT_E_NS1_11comp_targetILNS1_3genE4ELNS1_11target_archE910ELNS1_3gpuE8ELNS1_3repE0EEENS1_30default_config_static_selectorELNS0_4arch9wavefront6targetE0EEEvSP_
		.amdhsa_group_segment_fixed_size 0
		.amdhsa_private_segment_fixed_size 0
		.amdhsa_kernarg_size 48
		.amdhsa_user_sgpr_count 2
		.amdhsa_user_sgpr_dispatch_ptr 0
		.amdhsa_user_sgpr_queue_ptr 0
		.amdhsa_user_sgpr_kernarg_segment_ptr 1
		.amdhsa_user_sgpr_dispatch_id 0
		.amdhsa_user_sgpr_kernarg_preload_length 0
		.amdhsa_user_sgpr_kernarg_preload_offset 0
		.amdhsa_user_sgpr_private_segment_size 0
		.amdhsa_wavefront_size32 1
		.amdhsa_uses_dynamic_stack 0
		.amdhsa_enable_private_segment 0
		.amdhsa_system_sgpr_workgroup_id_x 1
		.amdhsa_system_sgpr_workgroup_id_y 0
		.amdhsa_system_sgpr_workgroup_id_z 0
		.amdhsa_system_sgpr_workgroup_info 0
		.amdhsa_system_vgpr_workitem_id 0
		.amdhsa_next_free_vgpr 1
		.amdhsa_next_free_sgpr 1
		.amdhsa_named_barrier_count 0
		.amdhsa_reserve_vcc 0
		.amdhsa_float_round_mode_32 0
		.amdhsa_float_round_mode_16_64 0
		.amdhsa_float_denorm_mode_32 3
		.amdhsa_float_denorm_mode_16_64 3
		.amdhsa_fp16_overflow 0
		.amdhsa_memory_ordered 1
		.amdhsa_forward_progress 1
		.amdhsa_inst_pref_size 0
		.amdhsa_round_robin_scheduling 0
		.amdhsa_exception_fp_ieee_invalid_op 0
		.amdhsa_exception_fp_denorm_src 0
		.amdhsa_exception_fp_ieee_div_zero 0
		.amdhsa_exception_fp_ieee_overflow 0
		.amdhsa_exception_fp_ieee_underflow 0
		.amdhsa_exception_fp_ieee_inexact 0
		.amdhsa_exception_int_div_zero 0
	.end_amdhsa_kernel
	.section	.text._ZN7rocprim17ROCPRIM_400000_NS6detail17trampoline_kernelINS0_14default_configENS1_32segmented_reduce_config_selectorIfEEZNS1_21segmented_reduce_implIS3_PKfPfPKifN6hipcub16HIPCUB_304000_NS6detail27convert_result_type_wrapperIS8_S9_N2at6native12_GLOBAL__N_19CustomMaxEEEEE10hipError_tPvRmT0_T1_jT2_SQ_T4_T3_P12ihipStream_tbEUlT_E_NS1_11comp_targetILNS1_3genE4ELNS1_11target_archE910ELNS1_3gpuE8ELNS1_3repE0EEENS1_30default_config_static_selectorELNS0_4arch9wavefront6targetE0EEEvSP_,"axG",@progbits,_ZN7rocprim17ROCPRIM_400000_NS6detail17trampoline_kernelINS0_14default_configENS1_32segmented_reduce_config_selectorIfEEZNS1_21segmented_reduce_implIS3_PKfPfPKifN6hipcub16HIPCUB_304000_NS6detail27convert_result_type_wrapperIS8_S9_N2at6native12_GLOBAL__N_19CustomMaxEEEEE10hipError_tPvRmT0_T1_jT2_SQ_T4_T3_P12ihipStream_tbEUlT_E_NS1_11comp_targetILNS1_3genE4ELNS1_11target_archE910ELNS1_3gpuE8ELNS1_3repE0EEENS1_30default_config_static_selectorELNS0_4arch9wavefront6targetE0EEEvSP_,comdat
.Lfunc_end46:
	.size	_ZN7rocprim17ROCPRIM_400000_NS6detail17trampoline_kernelINS0_14default_configENS1_32segmented_reduce_config_selectorIfEEZNS1_21segmented_reduce_implIS3_PKfPfPKifN6hipcub16HIPCUB_304000_NS6detail27convert_result_type_wrapperIS8_S9_N2at6native12_GLOBAL__N_19CustomMaxEEEEE10hipError_tPvRmT0_T1_jT2_SQ_T4_T3_P12ihipStream_tbEUlT_E_NS1_11comp_targetILNS1_3genE4ELNS1_11target_archE910ELNS1_3gpuE8ELNS1_3repE0EEENS1_30default_config_static_selectorELNS0_4arch9wavefront6targetE0EEEvSP_, .Lfunc_end46-_ZN7rocprim17ROCPRIM_400000_NS6detail17trampoline_kernelINS0_14default_configENS1_32segmented_reduce_config_selectorIfEEZNS1_21segmented_reduce_implIS3_PKfPfPKifN6hipcub16HIPCUB_304000_NS6detail27convert_result_type_wrapperIS8_S9_N2at6native12_GLOBAL__N_19CustomMaxEEEEE10hipError_tPvRmT0_T1_jT2_SQ_T4_T3_P12ihipStream_tbEUlT_E_NS1_11comp_targetILNS1_3genE4ELNS1_11target_archE910ELNS1_3gpuE8ELNS1_3repE0EEENS1_30default_config_static_selectorELNS0_4arch9wavefront6targetE0EEEvSP_
                                        ; -- End function
	.set _ZN7rocprim17ROCPRIM_400000_NS6detail17trampoline_kernelINS0_14default_configENS1_32segmented_reduce_config_selectorIfEEZNS1_21segmented_reduce_implIS3_PKfPfPKifN6hipcub16HIPCUB_304000_NS6detail27convert_result_type_wrapperIS8_S9_N2at6native12_GLOBAL__N_19CustomMaxEEEEE10hipError_tPvRmT0_T1_jT2_SQ_T4_T3_P12ihipStream_tbEUlT_E_NS1_11comp_targetILNS1_3genE4ELNS1_11target_archE910ELNS1_3gpuE8ELNS1_3repE0EEENS1_30default_config_static_selectorELNS0_4arch9wavefront6targetE0EEEvSP_.num_vgpr, 0
	.set _ZN7rocprim17ROCPRIM_400000_NS6detail17trampoline_kernelINS0_14default_configENS1_32segmented_reduce_config_selectorIfEEZNS1_21segmented_reduce_implIS3_PKfPfPKifN6hipcub16HIPCUB_304000_NS6detail27convert_result_type_wrapperIS8_S9_N2at6native12_GLOBAL__N_19CustomMaxEEEEE10hipError_tPvRmT0_T1_jT2_SQ_T4_T3_P12ihipStream_tbEUlT_E_NS1_11comp_targetILNS1_3genE4ELNS1_11target_archE910ELNS1_3gpuE8ELNS1_3repE0EEENS1_30default_config_static_selectorELNS0_4arch9wavefront6targetE0EEEvSP_.num_agpr, 0
	.set _ZN7rocprim17ROCPRIM_400000_NS6detail17trampoline_kernelINS0_14default_configENS1_32segmented_reduce_config_selectorIfEEZNS1_21segmented_reduce_implIS3_PKfPfPKifN6hipcub16HIPCUB_304000_NS6detail27convert_result_type_wrapperIS8_S9_N2at6native12_GLOBAL__N_19CustomMaxEEEEE10hipError_tPvRmT0_T1_jT2_SQ_T4_T3_P12ihipStream_tbEUlT_E_NS1_11comp_targetILNS1_3genE4ELNS1_11target_archE910ELNS1_3gpuE8ELNS1_3repE0EEENS1_30default_config_static_selectorELNS0_4arch9wavefront6targetE0EEEvSP_.numbered_sgpr, 0
	.set _ZN7rocprim17ROCPRIM_400000_NS6detail17trampoline_kernelINS0_14default_configENS1_32segmented_reduce_config_selectorIfEEZNS1_21segmented_reduce_implIS3_PKfPfPKifN6hipcub16HIPCUB_304000_NS6detail27convert_result_type_wrapperIS8_S9_N2at6native12_GLOBAL__N_19CustomMaxEEEEE10hipError_tPvRmT0_T1_jT2_SQ_T4_T3_P12ihipStream_tbEUlT_E_NS1_11comp_targetILNS1_3genE4ELNS1_11target_archE910ELNS1_3gpuE8ELNS1_3repE0EEENS1_30default_config_static_selectorELNS0_4arch9wavefront6targetE0EEEvSP_.num_named_barrier, 0
	.set _ZN7rocprim17ROCPRIM_400000_NS6detail17trampoline_kernelINS0_14default_configENS1_32segmented_reduce_config_selectorIfEEZNS1_21segmented_reduce_implIS3_PKfPfPKifN6hipcub16HIPCUB_304000_NS6detail27convert_result_type_wrapperIS8_S9_N2at6native12_GLOBAL__N_19CustomMaxEEEEE10hipError_tPvRmT0_T1_jT2_SQ_T4_T3_P12ihipStream_tbEUlT_E_NS1_11comp_targetILNS1_3genE4ELNS1_11target_archE910ELNS1_3gpuE8ELNS1_3repE0EEENS1_30default_config_static_selectorELNS0_4arch9wavefront6targetE0EEEvSP_.private_seg_size, 0
	.set _ZN7rocprim17ROCPRIM_400000_NS6detail17trampoline_kernelINS0_14default_configENS1_32segmented_reduce_config_selectorIfEEZNS1_21segmented_reduce_implIS3_PKfPfPKifN6hipcub16HIPCUB_304000_NS6detail27convert_result_type_wrapperIS8_S9_N2at6native12_GLOBAL__N_19CustomMaxEEEEE10hipError_tPvRmT0_T1_jT2_SQ_T4_T3_P12ihipStream_tbEUlT_E_NS1_11comp_targetILNS1_3genE4ELNS1_11target_archE910ELNS1_3gpuE8ELNS1_3repE0EEENS1_30default_config_static_selectorELNS0_4arch9wavefront6targetE0EEEvSP_.uses_vcc, 0
	.set _ZN7rocprim17ROCPRIM_400000_NS6detail17trampoline_kernelINS0_14default_configENS1_32segmented_reduce_config_selectorIfEEZNS1_21segmented_reduce_implIS3_PKfPfPKifN6hipcub16HIPCUB_304000_NS6detail27convert_result_type_wrapperIS8_S9_N2at6native12_GLOBAL__N_19CustomMaxEEEEE10hipError_tPvRmT0_T1_jT2_SQ_T4_T3_P12ihipStream_tbEUlT_E_NS1_11comp_targetILNS1_3genE4ELNS1_11target_archE910ELNS1_3gpuE8ELNS1_3repE0EEENS1_30default_config_static_selectorELNS0_4arch9wavefront6targetE0EEEvSP_.uses_flat_scratch, 0
	.set _ZN7rocprim17ROCPRIM_400000_NS6detail17trampoline_kernelINS0_14default_configENS1_32segmented_reduce_config_selectorIfEEZNS1_21segmented_reduce_implIS3_PKfPfPKifN6hipcub16HIPCUB_304000_NS6detail27convert_result_type_wrapperIS8_S9_N2at6native12_GLOBAL__N_19CustomMaxEEEEE10hipError_tPvRmT0_T1_jT2_SQ_T4_T3_P12ihipStream_tbEUlT_E_NS1_11comp_targetILNS1_3genE4ELNS1_11target_archE910ELNS1_3gpuE8ELNS1_3repE0EEENS1_30default_config_static_selectorELNS0_4arch9wavefront6targetE0EEEvSP_.has_dyn_sized_stack, 0
	.set _ZN7rocprim17ROCPRIM_400000_NS6detail17trampoline_kernelINS0_14default_configENS1_32segmented_reduce_config_selectorIfEEZNS1_21segmented_reduce_implIS3_PKfPfPKifN6hipcub16HIPCUB_304000_NS6detail27convert_result_type_wrapperIS8_S9_N2at6native12_GLOBAL__N_19CustomMaxEEEEE10hipError_tPvRmT0_T1_jT2_SQ_T4_T3_P12ihipStream_tbEUlT_E_NS1_11comp_targetILNS1_3genE4ELNS1_11target_archE910ELNS1_3gpuE8ELNS1_3repE0EEENS1_30default_config_static_selectorELNS0_4arch9wavefront6targetE0EEEvSP_.has_recursion, 0
	.set _ZN7rocprim17ROCPRIM_400000_NS6detail17trampoline_kernelINS0_14default_configENS1_32segmented_reduce_config_selectorIfEEZNS1_21segmented_reduce_implIS3_PKfPfPKifN6hipcub16HIPCUB_304000_NS6detail27convert_result_type_wrapperIS8_S9_N2at6native12_GLOBAL__N_19CustomMaxEEEEE10hipError_tPvRmT0_T1_jT2_SQ_T4_T3_P12ihipStream_tbEUlT_E_NS1_11comp_targetILNS1_3genE4ELNS1_11target_archE910ELNS1_3gpuE8ELNS1_3repE0EEENS1_30default_config_static_selectorELNS0_4arch9wavefront6targetE0EEEvSP_.has_indirect_call, 0
	.section	.AMDGPU.csdata,"",@progbits
; Kernel info:
; codeLenInByte = 0
; TotalNumSgprs: 0
; NumVgprs: 0
; ScratchSize: 0
; MemoryBound: 0
; FloatMode: 240
; IeeeMode: 1
; LDSByteSize: 0 bytes/workgroup (compile time only)
; SGPRBlocks: 0
; VGPRBlocks: 0
; NumSGPRsForWavesPerEU: 1
; NumVGPRsForWavesPerEU: 1
; NamedBarCnt: 0
; Occupancy: 16
; WaveLimiterHint : 0
; COMPUTE_PGM_RSRC2:SCRATCH_EN: 0
; COMPUTE_PGM_RSRC2:USER_SGPR: 2
; COMPUTE_PGM_RSRC2:TRAP_HANDLER: 0
; COMPUTE_PGM_RSRC2:TGID_X_EN: 1
; COMPUTE_PGM_RSRC2:TGID_Y_EN: 0
; COMPUTE_PGM_RSRC2:TGID_Z_EN: 0
; COMPUTE_PGM_RSRC2:TIDIG_COMP_CNT: 0
	.section	.text._ZN7rocprim17ROCPRIM_400000_NS6detail17trampoline_kernelINS0_14default_configENS1_32segmented_reduce_config_selectorIfEEZNS1_21segmented_reduce_implIS3_PKfPfPKifN6hipcub16HIPCUB_304000_NS6detail27convert_result_type_wrapperIS8_S9_N2at6native12_GLOBAL__N_19CustomMaxEEEEE10hipError_tPvRmT0_T1_jT2_SQ_T4_T3_P12ihipStream_tbEUlT_E_NS1_11comp_targetILNS1_3genE3ELNS1_11target_archE908ELNS1_3gpuE7ELNS1_3repE0EEENS1_30default_config_static_selectorELNS0_4arch9wavefront6targetE0EEEvSP_,"axG",@progbits,_ZN7rocprim17ROCPRIM_400000_NS6detail17trampoline_kernelINS0_14default_configENS1_32segmented_reduce_config_selectorIfEEZNS1_21segmented_reduce_implIS3_PKfPfPKifN6hipcub16HIPCUB_304000_NS6detail27convert_result_type_wrapperIS8_S9_N2at6native12_GLOBAL__N_19CustomMaxEEEEE10hipError_tPvRmT0_T1_jT2_SQ_T4_T3_P12ihipStream_tbEUlT_E_NS1_11comp_targetILNS1_3genE3ELNS1_11target_archE908ELNS1_3gpuE7ELNS1_3repE0EEENS1_30default_config_static_selectorELNS0_4arch9wavefront6targetE0EEEvSP_,comdat
	.globl	_ZN7rocprim17ROCPRIM_400000_NS6detail17trampoline_kernelINS0_14default_configENS1_32segmented_reduce_config_selectorIfEEZNS1_21segmented_reduce_implIS3_PKfPfPKifN6hipcub16HIPCUB_304000_NS6detail27convert_result_type_wrapperIS8_S9_N2at6native12_GLOBAL__N_19CustomMaxEEEEE10hipError_tPvRmT0_T1_jT2_SQ_T4_T3_P12ihipStream_tbEUlT_E_NS1_11comp_targetILNS1_3genE3ELNS1_11target_archE908ELNS1_3gpuE7ELNS1_3repE0EEENS1_30default_config_static_selectorELNS0_4arch9wavefront6targetE0EEEvSP_ ; -- Begin function _ZN7rocprim17ROCPRIM_400000_NS6detail17trampoline_kernelINS0_14default_configENS1_32segmented_reduce_config_selectorIfEEZNS1_21segmented_reduce_implIS3_PKfPfPKifN6hipcub16HIPCUB_304000_NS6detail27convert_result_type_wrapperIS8_S9_N2at6native12_GLOBAL__N_19CustomMaxEEEEE10hipError_tPvRmT0_T1_jT2_SQ_T4_T3_P12ihipStream_tbEUlT_E_NS1_11comp_targetILNS1_3genE3ELNS1_11target_archE908ELNS1_3gpuE7ELNS1_3repE0EEENS1_30default_config_static_selectorELNS0_4arch9wavefront6targetE0EEEvSP_
	.p2align	8
	.type	_ZN7rocprim17ROCPRIM_400000_NS6detail17trampoline_kernelINS0_14default_configENS1_32segmented_reduce_config_selectorIfEEZNS1_21segmented_reduce_implIS3_PKfPfPKifN6hipcub16HIPCUB_304000_NS6detail27convert_result_type_wrapperIS8_S9_N2at6native12_GLOBAL__N_19CustomMaxEEEEE10hipError_tPvRmT0_T1_jT2_SQ_T4_T3_P12ihipStream_tbEUlT_E_NS1_11comp_targetILNS1_3genE3ELNS1_11target_archE908ELNS1_3gpuE7ELNS1_3repE0EEENS1_30default_config_static_selectorELNS0_4arch9wavefront6targetE0EEEvSP_,@function
_ZN7rocprim17ROCPRIM_400000_NS6detail17trampoline_kernelINS0_14default_configENS1_32segmented_reduce_config_selectorIfEEZNS1_21segmented_reduce_implIS3_PKfPfPKifN6hipcub16HIPCUB_304000_NS6detail27convert_result_type_wrapperIS8_S9_N2at6native12_GLOBAL__N_19CustomMaxEEEEE10hipError_tPvRmT0_T1_jT2_SQ_T4_T3_P12ihipStream_tbEUlT_E_NS1_11comp_targetILNS1_3genE3ELNS1_11target_archE908ELNS1_3gpuE7ELNS1_3repE0EEENS1_30default_config_static_selectorELNS0_4arch9wavefront6targetE0EEEvSP_: ; @_ZN7rocprim17ROCPRIM_400000_NS6detail17trampoline_kernelINS0_14default_configENS1_32segmented_reduce_config_selectorIfEEZNS1_21segmented_reduce_implIS3_PKfPfPKifN6hipcub16HIPCUB_304000_NS6detail27convert_result_type_wrapperIS8_S9_N2at6native12_GLOBAL__N_19CustomMaxEEEEE10hipError_tPvRmT0_T1_jT2_SQ_T4_T3_P12ihipStream_tbEUlT_E_NS1_11comp_targetILNS1_3genE3ELNS1_11target_archE908ELNS1_3gpuE7ELNS1_3repE0EEENS1_30default_config_static_selectorELNS0_4arch9wavefront6targetE0EEEvSP_
; %bb.0:
	.section	.rodata,"a",@progbits
	.p2align	6, 0x0
	.amdhsa_kernel _ZN7rocprim17ROCPRIM_400000_NS6detail17trampoline_kernelINS0_14default_configENS1_32segmented_reduce_config_selectorIfEEZNS1_21segmented_reduce_implIS3_PKfPfPKifN6hipcub16HIPCUB_304000_NS6detail27convert_result_type_wrapperIS8_S9_N2at6native12_GLOBAL__N_19CustomMaxEEEEE10hipError_tPvRmT0_T1_jT2_SQ_T4_T3_P12ihipStream_tbEUlT_E_NS1_11comp_targetILNS1_3genE3ELNS1_11target_archE908ELNS1_3gpuE7ELNS1_3repE0EEENS1_30default_config_static_selectorELNS0_4arch9wavefront6targetE0EEEvSP_
		.amdhsa_group_segment_fixed_size 0
		.amdhsa_private_segment_fixed_size 0
		.amdhsa_kernarg_size 48
		.amdhsa_user_sgpr_count 2
		.amdhsa_user_sgpr_dispatch_ptr 0
		.amdhsa_user_sgpr_queue_ptr 0
		.amdhsa_user_sgpr_kernarg_segment_ptr 1
		.amdhsa_user_sgpr_dispatch_id 0
		.amdhsa_user_sgpr_kernarg_preload_length 0
		.amdhsa_user_sgpr_kernarg_preload_offset 0
		.amdhsa_user_sgpr_private_segment_size 0
		.amdhsa_wavefront_size32 1
		.amdhsa_uses_dynamic_stack 0
		.amdhsa_enable_private_segment 0
		.amdhsa_system_sgpr_workgroup_id_x 1
		.amdhsa_system_sgpr_workgroup_id_y 0
		.amdhsa_system_sgpr_workgroup_id_z 0
		.amdhsa_system_sgpr_workgroup_info 0
		.amdhsa_system_vgpr_workitem_id 0
		.amdhsa_next_free_vgpr 1
		.amdhsa_next_free_sgpr 1
		.amdhsa_named_barrier_count 0
		.amdhsa_reserve_vcc 0
		.amdhsa_float_round_mode_32 0
		.amdhsa_float_round_mode_16_64 0
		.amdhsa_float_denorm_mode_32 3
		.amdhsa_float_denorm_mode_16_64 3
		.amdhsa_fp16_overflow 0
		.amdhsa_memory_ordered 1
		.amdhsa_forward_progress 1
		.amdhsa_inst_pref_size 0
		.amdhsa_round_robin_scheduling 0
		.amdhsa_exception_fp_ieee_invalid_op 0
		.amdhsa_exception_fp_denorm_src 0
		.amdhsa_exception_fp_ieee_div_zero 0
		.amdhsa_exception_fp_ieee_overflow 0
		.amdhsa_exception_fp_ieee_underflow 0
		.amdhsa_exception_fp_ieee_inexact 0
		.amdhsa_exception_int_div_zero 0
	.end_amdhsa_kernel
	.section	.text._ZN7rocprim17ROCPRIM_400000_NS6detail17trampoline_kernelINS0_14default_configENS1_32segmented_reduce_config_selectorIfEEZNS1_21segmented_reduce_implIS3_PKfPfPKifN6hipcub16HIPCUB_304000_NS6detail27convert_result_type_wrapperIS8_S9_N2at6native12_GLOBAL__N_19CustomMaxEEEEE10hipError_tPvRmT0_T1_jT2_SQ_T4_T3_P12ihipStream_tbEUlT_E_NS1_11comp_targetILNS1_3genE3ELNS1_11target_archE908ELNS1_3gpuE7ELNS1_3repE0EEENS1_30default_config_static_selectorELNS0_4arch9wavefront6targetE0EEEvSP_,"axG",@progbits,_ZN7rocprim17ROCPRIM_400000_NS6detail17trampoline_kernelINS0_14default_configENS1_32segmented_reduce_config_selectorIfEEZNS1_21segmented_reduce_implIS3_PKfPfPKifN6hipcub16HIPCUB_304000_NS6detail27convert_result_type_wrapperIS8_S9_N2at6native12_GLOBAL__N_19CustomMaxEEEEE10hipError_tPvRmT0_T1_jT2_SQ_T4_T3_P12ihipStream_tbEUlT_E_NS1_11comp_targetILNS1_3genE3ELNS1_11target_archE908ELNS1_3gpuE7ELNS1_3repE0EEENS1_30default_config_static_selectorELNS0_4arch9wavefront6targetE0EEEvSP_,comdat
.Lfunc_end47:
	.size	_ZN7rocprim17ROCPRIM_400000_NS6detail17trampoline_kernelINS0_14default_configENS1_32segmented_reduce_config_selectorIfEEZNS1_21segmented_reduce_implIS3_PKfPfPKifN6hipcub16HIPCUB_304000_NS6detail27convert_result_type_wrapperIS8_S9_N2at6native12_GLOBAL__N_19CustomMaxEEEEE10hipError_tPvRmT0_T1_jT2_SQ_T4_T3_P12ihipStream_tbEUlT_E_NS1_11comp_targetILNS1_3genE3ELNS1_11target_archE908ELNS1_3gpuE7ELNS1_3repE0EEENS1_30default_config_static_selectorELNS0_4arch9wavefront6targetE0EEEvSP_, .Lfunc_end47-_ZN7rocprim17ROCPRIM_400000_NS6detail17trampoline_kernelINS0_14default_configENS1_32segmented_reduce_config_selectorIfEEZNS1_21segmented_reduce_implIS3_PKfPfPKifN6hipcub16HIPCUB_304000_NS6detail27convert_result_type_wrapperIS8_S9_N2at6native12_GLOBAL__N_19CustomMaxEEEEE10hipError_tPvRmT0_T1_jT2_SQ_T4_T3_P12ihipStream_tbEUlT_E_NS1_11comp_targetILNS1_3genE3ELNS1_11target_archE908ELNS1_3gpuE7ELNS1_3repE0EEENS1_30default_config_static_selectorELNS0_4arch9wavefront6targetE0EEEvSP_
                                        ; -- End function
	.set _ZN7rocprim17ROCPRIM_400000_NS6detail17trampoline_kernelINS0_14default_configENS1_32segmented_reduce_config_selectorIfEEZNS1_21segmented_reduce_implIS3_PKfPfPKifN6hipcub16HIPCUB_304000_NS6detail27convert_result_type_wrapperIS8_S9_N2at6native12_GLOBAL__N_19CustomMaxEEEEE10hipError_tPvRmT0_T1_jT2_SQ_T4_T3_P12ihipStream_tbEUlT_E_NS1_11comp_targetILNS1_3genE3ELNS1_11target_archE908ELNS1_3gpuE7ELNS1_3repE0EEENS1_30default_config_static_selectorELNS0_4arch9wavefront6targetE0EEEvSP_.num_vgpr, 0
	.set _ZN7rocprim17ROCPRIM_400000_NS6detail17trampoline_kernelINS0_14default_configENS1_32segmented_reduce_config_selectorIfEEZNS1_21segmented_reduce_implIS3_PKfPfPKifN6hipcub16HIPCUB_304000_NS6detail27convert_result_type_wrapperIS8_S9_N2at6native12_GLOBAL__N_19CustomMaxEEEEE10hipError_tPvRmT0_T1_jT2_SQ_T4_T3_P12ihipStream_tbEUlT_E_NS1_11comp_targetILNS1_3genE3ELNS1_11target_archE908ELNS1_3gpuE7ELNS1_3repE0EEENS1_30default_config_static_selectorELNS0_4arch9wavefront6targetE0EEEvSP_.num_agpr, 0
	.set _ZN7rocprim17ROCPRIM_400000_NS6detail17trampoline_kernelINS0_14default_configENS1_32segmented_reduce_config_selectorIfEEZNS1_21segmented_reduce_implIS3_PKfPfPKifN6hipcub16HIPCUB_304000_NS6detail27convert_result_type_wrapperIS8_S9_N2at6native12_GLOBAL__N_19CustomMaxEEEEE10hipError_tPvRmT0_T1_jT2_SQ_T4_T3_P12ihipStream_tbEUlT_E_NS1_11comp_targetILNS1_3genE3ELNS1_11target_archE908ELNS1_3gpuE7ELNS1_3repE0EEENS1_30default_config_static_selectorELNS0_4arch9wavefront6targetE0EEEvSP_.numbered_sgpr, 0
	.set _ZN7rocprim17ROCPRIM_400000_NS6detail17trampoline_kernelINS0_14default_configENS1_32segmented_reduce_config_selectorIfEEZNS1_21segmented_reduce_implIS3_PKfPfPKifN6hipcub16HIPCUB_304000_NS6detail27convert_result_type_wrapperIS8_S9_N2at6native12_GLOBAL__N_19CustomMaxEEEEE10hipError_tPvRmT0_T1_jT2_SQ_T4_T3_P12ihipStream_tbEUlT_E_NS1_11comp_targetILNS1_3genE3ELNS1_11target_archE908ELNS1_3gpuE7ELNS1_3repE0EEENS1_30default_config_static_selectorELNS0_4arch9wavefront6targetE0EEEvSP_.num_named_barrier, 0
	.set _ZN7rocprim17ROCPRIM_400000_NS6detail17trampoline_kernelINS0_14default_configENS1_32segmented_reduce_config_selectorIfEEZNS1_21segmented_reduce_implIS3_PKfPfPKifN6hipcub16HIPCUB_304000_NS6detail27convert_result_type_wrapperIS8_S9_N2at6native12_GLOBAL__N_19CustomMaxEEEEE10hipError_tPvRmT0_T1_jT2_SQ_T4_T3_P12ihipStream_tbEUlT_E_NS1_11comp_targetILNS1_3genE3ELNS1_11target_archE908ELNS1_3gpuE7ELNS1_3repE0EEENS1_30default_config_static_selectorELNS0_4arch9wavefront6targetE0EEEvSP_.private_seg_size, 0
	.set _ZN7rocprim17ROCPRIM_400000_NS6detail17trampoline_kernelINS0_14default_configENS1_32segmented_reduce_config_selectorIfEEZNS1_21segmented_reduce_implIS3_PKfPfPKifN6hipcub16HIPCUB_304000_NS6detail27convert_result_type_wrapperIS8_S9_N2at6native12_GLOBAL__N_19CustomMaxEEEEE10hipError_tPvRmT0_T1_jT2_SQ_T4_T3_P12ihipStream_tbEUlT_E_NS1_11comp_targetILNS1_3genE3ELNS1_11target_archE908ELNS1_3gpuE7ELNS1_3repE0EEENS1_30default_config_static_selectorELNS0_4arch9wavefront6targetE0EEEvSP_.uses_vcc, 0
	.set _ZN7rocprim17ROCPRIM_400000_NS6detail17trampoline_kernelINS0_14default_configENS1_32segmented_reduce_config_selectorIfEEZNS1_21segmented_reduce_implIS3_PKfPfPKifN6hipcub16HIPCUB_304000_NS6detail27convert_result_type_wrapperIS8_S9_N2at6native12_GLOBAL__N_19CustomMaxEEEEE10hipError_tPvRmT0_T1_jT2_SQ_T4_T3_P12ihipStream_tbEUlT_E_NS1_11comp_targetILNS1_3genE3ELNS1_11target_archE908ELNS1_3gpuE7ELNS1_3repE0EEENS1_30default_config_static_selectorELNS0_4arch9wavefront6targetE0EEEvSP_.uses_flat_scratch, 0
	.set _ZN7rocprim17ROCPRIM_400000_NS6detail17trampoline_kernelINS0_14default_configENS1_32segmented_reduce_config_selectorIfEEZNS1_21segmented_reduce_implIS3_PKfPfPKifN6hipcub16HIPCUB_304000_NS6detail27convert_result_type_wrapperIS8_S9_N2at6native12_GLOBAL__N_19CustomMaxEEEEE10hipError_tPvRmT0_T1_jT2_SQ_T4_T3_P12ihipStream_tbEUlT_E_NS1_11comp_targetILNS1_3genE3ELNS1_11target_archE908ELNS1_3gpuE7ELNS1_3repE0EEENS1_30default_config_static_selectorELNS0_4arch9wavefront6targetE0EEEvSP_.has_dyn_sized_stack, 0
	.set _ZN7rocprim17ROCPRIM_400000_NS6detail17trampoline_kernelINS0_14default_configENS1_32segmented_reduce_config_selectorIfEEZNS1_21segmented_reduce_implIS3_PKfPfPKifN6hipcub16HIPCUB_304000_NS6detail27convert_result_type_wrapperIS8_S9_N2at6native12_GLOBAL__N_19CustomMaxEEEEE10hipError_tPvRmT0_T1_jT2_SQ_T4_T3_P12ihipStream_tbEUlT_E_NS1_11comp_targetILNS1_3genE3ELNS1_11target_archE908ELNS1_3gpuE7ELNS1_3repE0EEENS1_30default_config_static_selectorELNS0_4arch9wavefront6targetE0EEEvSP_.has_recursion, 0
	.set _ZN7rocprim17ROCPRIM_400000_NS6detail17trampoline_kernelINS0_14default_configENS1_32segmented_reduce_config_selectorIfEEZNS1_21segmented_reduce_implIS3_PKfPfPKifN6hipcub16HIPCUB_304000_NS6detail27convert_result_type_wrapperIS8_S9_N2at6native12_GLOBAL__N_19CustomMaxEEEEE10hipError_tPvRmT0_T1_jT2_SQ_T4_T3_P12ihipStream_tbEUlT_E_NS1_11comp_targetILNS1_3genE3ELNS1_11target_archE908ELNS1_3gpuE7ELNS1_3repE0EEENS1_30default_config_static_selectorELNS0_4arch9wavefront6targetE0EEEvSP_.has_indirect_call, 0
	.section	.AMDGPU.csdata,"",@progbits
; Kernel info:
; codeLenInByte = 0
; TotalNumSgprs: 0
; NumVgprs: 0
; ScratchSize: 0
; MemoryBound: 0
; FloatMode: 240
; IeeeMode: 1
; LDSByteSize: 0 bytes/workgroup (compile time only)
; SGPRBlocks: 0
; VGPRBlocks: 0
; NumSGPRsForWavesPerEU: 1
; NumVGPRsForWavesPerEU: 1
; NamedBarCnt: 0
; Occupancy: 16
; WaveLimiterHint : 0
; COMPUTE_PGM_RSRC2:SCRATCH_EN: 0
; COMPUTE_PGM_RSRC2:USER_SGPR: 2
; COMPUTE_PGM_RSRC2:TRAP_HANDLER: 0
; COMPUTE_PGM_RSRC2:TGID_X_EN: 1
; COMPUTE_PGM_RSRC2:TGID_Y_EN: 0
; COMPUTE_PGM_RSRC2:TGID_Z_EN: 0
; COMPUTE_PGM_RSRC2:TIDIG_COMP_CNT: 0
	.section	.text._ZN7rocprim17ROCPRIM_400000_NS6detail17trampoline_kernelINS0_14default_configENS1_32segmented_reduce_config_selectorIfEEZNS1_21segmented_reduce_implIS3_PKfPfPKifN6hipcub16HIPCUB_304000_NS6detail27convert_result_type_wrapperIS8_S9_N2at6native12_GLOBAL__N_19CustomMaxEEEEE10hipError_tPvRmT0_T1_jT2_SQ_T4_T3_P12ihipStream_tbEUlT_E_NS1_11comp_targetILNS1_3genE2ELNS1_11target_archE906ELNS1_3gpuE6ELNS1_3repE0EEENS1_30default_config_static_selectorELNS0_4arch9wavefront6targetE0EEEvSP_,"axG",@progbits,_ZN7rocprim17ROCPRIM_400000_NS6detail17trampoline_kernelINS0_14default_configENS1_32segmented_reduce_config_selectorIfEEZNS1_21segmented_reduce_implIS3_PKfPfPKifN6hipcub16HIPCUB_304000_NS6detail27convert_result_type_wrapperIS8_S9_N2at6native12_GLOBAL__N_19CustomMaxEEEEE10hipError_tPvRmT0_T1_jT2_SQ_T4_T3_P12ihipStream_tbEUlT_E_NS1_11comp_targetILNS1_3genE2ELNS1_11target_archE906ELNS1_3gpuE6ELNS1_3repE0EEENS1_30default_config_static_selectorELNS0_4arch9wavefront6targetE0EEEvSP_,comdat
	.globl	_ZN7rocprim17ROCPRIM_400000_NS6detail17trampoline_kernelINS0_14default_configENS1_32segmented_reduce_config_selectorIfEEZNS1_21segmented_reduce_implIS3_PKfPfPKifN6hipcub16HIPCUB_304000_NS6detail27convert_result_type_wrapperIS8_S9_N2at6native12_GLOBAL__N_19CustomMaxEEEEE10hipError_tPvRmT0_T1_jT2_SQ_T4_T3_P12ihipStream_tbEUlT_E_NS1_11comp_targetILNS1_3genE2ELNS1_11target_archE906ELNS1_3gpuE6ELNS1_3repE0EEENS1_30default_config_static_selectorELNS0_4arch9wavefront6targetE0EEEvSP_ ; -- Begin function _ZN7rocprim17ROCPRIM_400000_NS6detail17trampoline_kernelINS0_14default_configENS1_32segmented_reduce_config_selectorIfEEZNS1_21segmented_reduce_implIS3_PKfPfPKifN6hipcub16HIPCUB_304000_NS6detail27convert_result_type_wrapperIS8_S9_N2at6native12_GLOBAL__N_19CustomMaxEEEEE10hipError_tPvRmT0_T1_jT2_SQ_T4_T3_P12ihipStream_tbEUlT_E_NS1_11comp_targetILNS1_3genE2ELNS1_11target_archE906ELNS1_3gpuE6ELNS1_3repE0EEENS1_30default_config_static_selectorELNS0_4arch9wavefront6targetE0EEEvSP_
	.p2align	8
	.type	_ZN7rocprim17ROCPRIM_400000_NS6detail17trampoline_kernelINS0_14default_configENS1_32segmented_reduce_config_selectorIfEEZNS1_21segmented_reduce_implIS3_PKfPfPKifN6hipcub16HIPCUB_304000_NS6detail27convert_result_type_wrapperIS8_S9_N2at6native12_GLOBAL__N_19CustomMaxEEEEE10hipError_tPvRmT0_T1_jT2_SQ_T4_T3_P12ihipStream_tbEUlT_E_NS1_11comp_targetILNS1_3genE2ELNS1_11target_archE906ELNS1_3gpuE6ELNS1_3repE0EEENS1_30default_config_static_selectorELNS0_4arch9wavefront6targetE0EEEvSP_,@function
_ZN7rocprim17ROCPRIM_400000_NS6detail17trampoline_kernelINS0_14default_configENS1_32segmented_reduce_config_selectorIfEEZNS1_21segmented_reduce_implIS3_PKfPfPKifN6hipcub16HIPCUB_304000_NS6detail27convert_result_type_wrapperIS8_S9_N2at6native12_GLOBAL__N_19CustomMaxEEEEE10hipError_tPvRmT0_T1_jT2_SQ_T4_T3_P12ihipStream_tbEUlT_E_NS1_11comp_targetILNS1_3genE2ELNS1_11target_archE906ELNS1_3gpuE6ELNS1_3repE0EEENS1_30default_config_static_selectorELNS0_4arch9wavefront6targetE0EEEvSP_: ; @_ZN7rocprim17ROCPRIM_400000_NS6detail17trampoline_kernelINS0_14default_configENS1_32segmented_reduce_config_selectorIfEEZNS1_21segmented_reduce_implIS3_PKfPfPKifN6hipcub16HIPCUB_304000_NS6detail27convert_result_type_wrapperIS8_S9_N2at6native12_GLOBAL__N_19CustomMaxEEEEE10hipError_tPvRmT0_T1_jT2_SQ_T4_T3_P12ihipStream_tbEUlT_E_NS1_11comp_targetILNS1_3genE2ELNS1_11target_archE906ELNS1_3gpuE6ELNS1_3repE0EEENS1_30default_config_static_selectorELNS0_4arch9wavefront6targetE0EEEvSP_
; %bb.0:
	.section	.rodata,"a",@progbits
	.p2align	6, 0x0
	.amdhsa_kernel _ZN7rocprim17ROCPRIM_400000_NS6detail17trampoline_kernelINS0_14default_configENS1_32segmented_reduce_config_selectorIfEEZNS1_21segmented_reduce_implIS3_PKfPfPKifN6hipcub16HIPCUB_304000_NS6detail27convert_result_type_wrapperIS8_S9_N2at6native12_GLOBAL__N_19CustomMaxEEEEE10hipError_tPvRmT0_T1_jT2_SQ_T4_T3_P12ihipStream_tbEUlT_E_NS1_11comp_targetILNS1_3genE2ELNS1_11target_archE906ELNS1_3gpuE6ELNS1_3repE0EEENS1_30default_config_static_selectorELNS0_4arch9wavefront6targetE0EEEvSP_
		.amdhsa_group_segment_fixed_size 0
		.amdhsa_private_segment_fixed_size 0
		.amdhsa_kernarg_size 48
		.amdhsa_user_sgpr_count 2
		.amdhsa_user_sgpr_dispatch_ptr 0
		.amdhsa_user_sgpr_queue_ptr 0
		.amdhsa_user_sgpr_kernarg_segment_ptr 1
		.amdhsa_user_sgpr_dispatch_id 0
		.amdhsa_user_sgpr_kernarg_preload_length 0
		.amdhsa_user_sgpr_kernarg_preload_offset 0
		.amdhsa_user_sgpr_private_segment_size 0
		.amdhsa_wavefront_size32 1
		.amdhsa_uses_dynamic_stack 0
		.amdhsa_enable_private_segment 0
		.amdhsa_system_sgpr_workgroup_id_x 1
		.amdhsa_system_sgpr_workgroup_id_y 0
		.amdhsa_system_sgpr_workgroup_id_z 0
		.amdhsa_system_sgpr_workgroup_info 0
		.amdhsa_system_vgpr_workitem_id 0
		.amdhsa_next_free_vgpr 1
		.amdhsa_next_free_sgpr 1
		.amdhsa_named_barrier_count 0
		.amdhsa_reserve_vcc 0
		.amdhsa_float_round_mode_32 0
		.amdhsa_float_round_mode_16_64 0
		.amdhsa_float_denorm_mode_32 3
		.amdhsa_float_denorm_mode_16_64 3
		.amdhsa_fp16_overflow 0
		.amdhsa_memory_ordered 1
		.amdhsa_forward_progress 1
		.amdhsa_inst_pref_size 0
		.amdhsa_round_robin_scheduling 0
		.amdhsa_exception_fp_ieee_invalid_op 0
		.amdhsa_exception_fp_denorm_src 0
		.amdhsa_exception_fp_ieee_div_zero 0
		.amdhsa_exception_fp_ieee_overflow 0
		.amdhsa_exception_fp_ieee_underflow 0
		.amdhsa_exception_fp_ieee_inexact 0
		.amdhsa_exception_int_div_zero 0
	.end_amdhsa_kernel
	.section	.text._ZN7rocprim17ROCPRIM_400000_NS6detail17trampoline_kernelINS0_14default_configENS1_32segmented_reduce_config_selectorIfEEZNS1_21segmented_reduce_implIS3_PKfPfPKifN6hipcub16HIPCUB_304000_NS6detail27convert_result_type_wrapperIS8_S9_N2at6native12_GLOBAL__N_19CustomMaxEEEEE10hipError_tPvRmT0_T1_jT2_SQ_T4_T3_P12ihipStream_tbEUlT_E_NS1_11comp_targetILNS1_3genE2ELNS1_11target_archE906ELNS1_3gpuE6ELNS1_3repE0EEENS1_30default_config_static_selectorELNS0_4arch9wavefront6targetE0EEEvSP_,"axG",@progbits,_ZN7rocprim17ROCPRIM_400000_NS6detail17trampoline_kernelINS0_14default_configENS1_32segmented_reduce_config_selectorIfEEZNS1_21segmented_reduce_implIS3_PKfPfPKifN6hipcub16HIPCUB_304000_NS6detail27convert_result_type_wrapperIS8_S9_N2at6native12_GLOBAL__N_19CustomMaxEEEEE10hipError_tPvRmT0_T1_jT2_SQ_T4_T3_P12ihipStream_tbEUlT_E_NS1_11comp_targetILNS1_3genE2ELNS1_11target_archE906ELNS1_3gpuE6ELNS1_3repE0EEENS1_30default_config_static_selectorELNS0_4arch9wavefront6targetE0EEEvSP_,comdat
.Lfunc_end48:
	.size	_ZN7rocprim17ROCPRIM_400000_NS6detail17trampoline_kernelINS0_14default_configENS1_32segmented_reduce_config_selectorIfEEZNS1_21segmented_reduce_implIS3_PKfPfPKifN6hipcub16HIPCUB_304000_NS6detail27convert_result_type_wrapperIS8_S9_N2at6native12_GLOBAL__N_19CustomMaxEEEEE10hipError_tPvRmT0_T1_jT2_SQ_T4_T3_P12ihipStream_tbEUlT_E_NS1_11comp_targetILNS1_3genE2ELNS1_11target_archE906ELNS1_3gpuE6ELNS1_3repE0EEENS1_30default_config_static_selectorELNS0_4arch9wavefront6targetE0EEEvSP_, .Lfunc_end48-_ZN7rocprim17ROCPRIM_400000_NS6detail17trampoline_kernelINS0_14default_configENS1_32segmented_reduce_config_selectorIfEEZNS1_21segmented_reduce_implIS3_PKfPfPKifN6hipcub16HIPCUB_304000_NS6detail27convert_result_type_wrapperIS8_S9_N2at6native12_GLOBAL__N_19CustomMaxEEEEE10hipError_tPvRmT0_T1_jT2_SQ_T4_T3_P12ihipStream_tbEUlT_E_NS1_11comp_targetILNS1_3genE2ELNS1_11target_archE906ELNS1_3gpuE6ELNS1_3repE0EEENS1_30default_config_static_selectorELNS0_4arch9wavefront6targetE0EEEvSP_
                                        ; -- End function
	.set _ZN7rocprim17ROCPRIM_400000_NS6detail17trampoline_kernelINS0_14default_configENS1_32segmented_reduce_config_selectorIfEEZNS1_21segmented_reduce_implIS3_PKfPfPKifN6hipcub16HIPCUB_304000_NS6detail27convert_result_type_wrapperIS8_S9_N2at6native12_GLOBAL__N_19CustomMaxEEEEE10hipError_tPvRmT0_T1_jT2_SQ_T4_T3_P12ihipStream_tbEUlT_E_NS1_11comp_targetILNS1_3genE2ELNS1_11target_archE906ELNS1_3gpuE6ELNS1_3repE0EEENS1_30default_config_static_selectorELNS0_4arch9wavefront6targetE0EEEvSP_.num_vgpr, 0
	.set _ZN7rocprim17ROCPRIM_400000_NS6detail17trampoline_kernelINS0_14default_configENS1_32segmented_reduce_config_selectorIfEEZNS1_21segmented_reduce_implIS3_PKfPfPKifN6hipcub16HIPCUB_304000_NS6detail27convert_result_type_wrapperIS8_S9_N2at6native12_GLOBAL__N_19CustomMaxEEEEE10hipError_tPvRmT0_T1_jT2_SQ_T4_T3_P12ihipStream_tbEUlT_E_NS1_11comp_targetILNS1_3genE2ELNS1_11target_archE906ELNS1_3gpuE6ELNS1_3repE0EEENS1_30default_config_static_selectorELNS0_4arch9wavefront6targetE0EEEvSP_.num_agpr, 0
	.set _ZN7rocprim17ROCPRIM_400000_NS6detail17trampoline_kernelINS0_14default_configENS1_32segmented_reduce_config_selectorIfEEZNS1_21segmented_reduce_implIS3_PKfPfPKifN6hipcub16HIPCUB_304000_NS6detail27convert_result_type_wrapperIS8_S9_N2at6native12_GLOBAL__N_19CustomMaxEEEEE10hipError_tPvRmT0_T1_jT2_SQ_T4_T3_P12ihipStream_tbEUlT_E_NS1_11comp_targetILNS1_3genE2ELNS1_11target_archE906ELNS1_3gpuE6ELNS1_3repE0EEENS1_30default_config_static_selectorELNS0_4arch9wavefront6targetE0EEEvSP_.numbered_sgpr, 0
	.set _ZN7rocprim17ROCPRIM_400000_NS6detail17trampoline_kernelINS0_14default_configENS1_32segmented_reduce_config_selectorIfEEZNS1_21segmented_reduce_implIS3_PKfPfPKifN6hipcub16HIPCUB_304000_NS6detail27convert_result_type_wrapperIS8_S9_N2at6native12_GLOBAL__N_19CustomMaxEEEEE10hipError_tPvRmT0_T1_jT2_SQ_T4_T3_P12ihipStream_tbEUlT_E_NS1_11comp_targetILNS1_3genE2ELNS1_11target_archE906ELNS1_3gpuE6ELNS1_3repE0EEENS1_30default_config_static_selectorELNS0_4arch9wavefront6targetE0EEEvSP_.num_named_barrier, 0
	.set _ZN7rocprim17ROCPRIM_400000_NS6detail17trampoline_kernelINS0_14default_configENS1_32segmented_reduce_config_selectorIfEEZNS1_21segmented_reduce_implIS3_PKfPfPKifN6hipcub16HIPCUB_304000_NS6detail27convert_result_type_wrapperIS8_S9_N2at6native12_GLOBAL__N_19CustomMaxEEEEE10hipError_tPvRmT0_T1_jT2_SQ_T4_T3_P12ihipStream_tbEUlT_E_NS1_11comp_targetILNS1_3genE2ELNS1_11target_archE906ELNS1_3gpuE6ELNS1_3repE0EEENS1_30default_config_static_selectorELNS0_4arch9wavefront6targetE0EEEvSP_.private_seg_size, 0
	.set _ZN7rocprim17ROCPRIM_400000_NS6detail17trampoline_kernelINS0_14default_configENS1_32segmented_reduce_config_selectorIfEEZNS1_21segmented_reduce_implIS3_PKfPfPKifN6hipcub16HIPCUB_304000_NS6detail27convert_result_type_wrapperIS8_S9_N2at6native12_GLOBAL__N_19CustomMaxEEEEE10hipError_tPvRmT0_T1_jT2_SQ_T4_T3_P12ihipStream_tbEUlT_E_NS1_11comp_targetILNS1_3genE2ELNS1_11target_archE906ELNS1_3gpuE6ELNS1_3repE0EEENS1_30default_config_static_selectorELNS0_4arch9wavefront6targetE0EEEvSP_.uses_vcc, 0
	.set _ZN7rocprim17ROCPRIM_400000_NS6detail17trampoline_kernelINS0_14default_configENS1_32segmented_reduce_config_selectorIfEEZNS1_21segmented_reduce_implIS3_PKfPfPKifN6hipcub16HIPCUB_304000_NS6detail27convert_result_type_wrapperIS8_S9_N2at6native12_GLOBAL__N_19CustomMaxEEEEE10hipError_tPvRmT0_T1_jT2_SQ_T4_T3_P12ihipStream_tbEUlT_E_NS1_11comp_targetILNS1_3genE2ELNS1_11target_archE906ELNS1_3gpuE6ELNS1_3repE0EEENS1_30default_config_static_selectorELNS0_4arch9wavefront6targetE0EEEvSP_.uses_flat_scratch, 0
	.set _ZN7rocprim17ROCPRIM_400000_NS6detail17trampoline_kernelINS0_14default_configENS1_32segmented_reduce_config_selectorIfEEZNS1_21segmented_reduce_implIS3_PKfPfPKifN6hipcub16HIPCUB_304000_NS6detail27convert_result_type_wrapperIS8_S9_N2at6native12_GLOBAL__N_19CustomMaxEEEEE10hipError_tPvRmT0_T1_jT2_SQ_T4_T3_P12ihipStream_tbEUlT_E_NS1_11comp_targetILNS1_3genE2ELNS1_11target_archE906ELNS1_3gpuE6ELNS1_3repE0EEENS1_30default_config_static_selectorELNS0_4arch9wavefront6targetE0EEEvSP_.has_dyn_sized_stack, 0
	.set _ZN7rocprim17ROCPRIM_400000_NS6detail17trampoline_kernelINS0_14default_configENS1_32segmented_reduce_config_selectorIfEEZNS1_21segmented_reduce_implIS3_PKfPfPKifN6hipcub16HIPCUB_304000_NS6detail27convert_result_type_wrapperIS8_S9_N2at6native12_GLOBAL__N_19CustomMaxEEEEE10hipError_tPvRmT0_T1_jT2_SQ_T4_T3_P12ihipStream_tbEUlT_E_NS1_11comp_targetILNS1_3genE2ELNS1_11target_archE906ELNS1_3gpuE6ELNS1_3repE0EEENS1_30default_config_static_selectorELNS0_4arch9wavefront6targetE0EEEvSP_.has_recursion, 0
	.set _ZN7rocprim17ROCPRIM_400000_NS6detail17trampoline_kernelINS0_14default_configENS1_32segmented_reduce_config_selectorIfEEZNS1_21segmented_reduce_implIS3_PKfPfPKifN6hipcub16HIPCUB_304000_NS6detail27convert_result_type_wrapperIS8_S9_N2at6native12_GLOBAL__N_19CustomMaxEEEEE10hipError_tPvRmT0_T1_jT2_SQ_T4_T3_P12ihipStream_tbEUlT_E_NS1_11comp_targetILNS1_3genE2ELNS1_11target_archE906ELNS1_3gpuE6ELNS1_3repE0EEENS1_30default_config_static_selectorELNS0_4arch9wavefront6targetE0EEEvSP_.has_indirect_call, 0
	.section	.AMDGPU.csdata,"",@progbits
; Kernel info:
; codeLenInByte = 0
; TotalNumSgprs: 0
; NumVgprs: 0
; ScratchSize: 0
; MemoryBound: 0
; FloatMode: 240
; IeeeMode: 1
; LDSByteSize: 0 bytes/workgroup (compile time only)
; SGPRBlocks: 0
; VGPRBlocks: 0
; NumSGPRsForWavesPerEU: 1
; NumVGPRsForWavesPerEU: 1
; NamedBarCnt: 0
; Occupancy: 16
; WaveLimiterHint : 0
; COMPUTE_PGM_RSRC2:SCRATCH_EN: 0
; COMPUTE_PGM_RSRC2:USER_SGPR: 2
; COMPUTE_PGM_RSRC2:TRAP_HANDLER: 0
; COMPUTE_PGM_RSRC2:TGID_X_EN: 1
; COMPUTE_PGM_RSRC2:TGID_Y_EN: 0
; COMPUTE_PGM_RSRC2:TGID_Z_EN: 0
; COMPUTE_PGM_RSRC2:TIDIG_COMP_CNT: 0
	.section	.text._ZN7rocprim17ROCPRIM_400000_NS6detail17trampoline_kernelINS0_14default_configENS1_32segmented_reduce_config_selectorIfEEZNS1_21segmented_reduce_implIS3_PKfPfPKifN6hipcub16HIPCUB_304000_NS6detail27convert_result_type_wrapperIS8_S9_N2at6native12_GLOBAL__N_19CustomMaxEEEEE10hipError_tPvRmT0_T1_jT2_SQ_T4_T3_P12ihipStream_tbEUlT_E_NS1_11comp_targetILNS1_3genE9ELNS1_11target_archE1100ELNS1_3gpuE3ELNS1_3repE0EEENS1_30default_config_static_selectorELNS0_4arch9wavefront6targetE0EEEvSP_,"axG",@progbits,_ZN7rocprim17ROCPRIM_400000_NS6detail17trampoline_kernelINS0_14default_configENS1_32segmented_reduce_config_selectorIfEEZNS1_21segmented_reduce_implIS3_PKfPfPKifN6hipcub16HIPCUB_304000_NS6detail27convert_result_type_wrapperIS8_S9_N2at6native12_GLOBAL__N_19CustomMaxEEEEE10hipError_tPvRmT0_T1_jT2_SQ_T4_T3_P12ihipStream_tbEUlT_E_NS1_11comp_targetILNS1_3genE9ELNS1_11target_archE1100ELNS1_3gpuE3ELNS1_3repE0EEENS1_30default_config_static_selectorELNS0_4arch9wavefront6targetE0EEEvSP_,comdat
	.globl	_ZN7rocprim17ROCPRIM_400000_NS6detail17trampoline_kernelINS0_14default_configENS1_32segmented_reduce_config_selectorIfEEZNS1_21segmented_reduce_implIS3_PKfPfPKifN6hipcub16HIPCUB_304000_NS6detail27convert_result_type_wrapperIS8_S9_N2at6native12_GLOBAL__N_19CustomMaxEEEEE10hipError_tPvRmT0_T1_jT2_SQ_T4_T3_P12ihipStream_tbEUlT_E_NS1_11comp_targetILNS1_3genE9ELNS1_11target_archE1100ELNS1_3gpuE3ELNS1_3repE0EEENS1_30default_config_static_selectorELNS0_4arch9wavefront6targetE0EEEvSP_ ; -- Begin function _ZN7rocprim17ROCPRIM_400000_NS6detail17trampoline_kernelINS0_14default_configENS1_32segmented_reduce_config_selectorIfEEZNS1_21segmented_reduce_implIS3_PKfPfPKifN6hipcub16HIPCUB_304000_NS6detail27convert_result_type_wrapperIS8_S9_N2at6native12_GLOBAL__N_19CustomMaxEEEEE10hipError_tPvRmT0_T1_jT2_SQ_T4_T3_P12ihipStream_tbEUlT_E_NS1_11comp_targetILNS1_3genE9ELNS1_11target_archE1100ELNS1_3gpuE3ELNS1_3repE0EEENS1_30default_config_static_selectorELNS0_4arch9wavefront6targetE0EEEvSP_
	.p2align	8
	.type	_ZN7rocprim17ROCPRIM_400000_NS6detail17trampoline_kernelINS0_14default_configENS1_32segmented_reduce_config_selectorIfEEZNS1_21segmented_reduce_implIS3_PKfPfPKifN6hipcub16HIPCUB_304000_NS6detail27convert_result_type_wrapperIS8_S9_N2at6native12_GLOBAL__N_19CustomMaxEEEEE10hipError_tPvRmT0_T1_jT2_SQ_T4_T3_P12ihipStream_tbEUlT_E_NS1_11comp_targetILNS1_3genE9ELNS1_11target_archE1100ELNS1_3gpuE3ELNS1_3repE0EEENS1_30default_config_static_selectorELNS0_4arch9wavefront6targetE0EEEvSP_,@function
_ZN7rocprim17ROCPRIM_400000_NS6detail17trampoline_kernelINS0_14default_configENS1_32segmented_reduce_config_selectorIfEEZNS1_21segmented_reduce_implIS3_PKfPfPKifN6hipcub16HIPCUB_304000_NS6detail27convert_result_type_wrapperIS8_S9_N2at6native12_GLOBAL__N_19CustomMaxEEEEE10hipError_tPvRmT0_T1_jT2_SQ_T4_T3_P12ihipStream_tbEUlT_E_NS1_11comp_targetILNS1_3genE9ELNS1_11target_archE1100ELNS1_3gpuE3ELNS1_3repE0EEENS1_30default_config_static_selectorELNS0_4arch9wavefront6targetE0EEEvSP_: ; @_ZN7rocprim17ROCPRIM_400000_NS6detail17trampoline_kernelINS0_14default_configENS1_32segmented_reduce_config_selectorIfEEZNS1_21segmented_reduce_implIS3_PKfPfPKifN6hipcub16HIPCUB_304000_NS6detail27convert_result_type_wrapperIS8_S9_N2at6native12_GLOBAL__N_19CustomMaxEEEEE10hipError_tPvRmT0_T1_jT2_SQ_T4_T3_P12ihipStream_tbEUlT_E_NS1_11comp_targetILNS1_3genE9ELNS1_11target_archE1100ELNS1_3gpuE3ELNS1_3repE0EEENS1_30default_config_static_selectorELNS0_4arch9wavefront6targetE0EEEvSP_
; %bb.0:
	.section	.rodata,"a",@progbits
	.p2align	6, 0x0
	.amdhsa_kernel _ZN7rocprim17ROCPRIM_400000_NS6detail17trampoline_kernelINS0_14default_configENS1_32segmented_reduce_config_selectorIfEEZNS1_21segmented_reduce_implIS3_PKfPfPKifN6hipcub16HIPCUB_304000_NS6detail27convert_result_type_wrapperIS8_S9_N2at6native12_GLOBAL__N_19CustomMaxEEEEE10hipError_tPvRmT0_T1_jT2_SQ_T4_T3_P12ihipStream_tbEUlT_E_NS1_11comp_targetILNS1_3genE9ELNS1_11target_archE1100ELNS1_3gpuE3ELNS1_3repE0EEENS1_30default_config_static_selectorELNS0_4arch9wavefront6targetE0EEEvSP_
		.amdhsa_group_segment_fixed_size 0
		.amdhsa_private_segment_fixed_size 0
		.amdhsa_kernarg_size 48
		.amdhsa_user_sgpr_count 2
		.amdhsa_user_sgpr_dispatch_ptr 0
		.amdhsa_user_sgpr_queue_ptr 0
		.amdhsa_user_sgpr_kernarg_segment_ptr 1
		.amdhsa_user_sgpr_dispatch_id 0
		.amdhsa_user_sgpr_kernarg_preload_length 0
		.amdhsa_user_sgpr_kernarg_preload_offset 0
		.amdhsa_user_sgpr_private_segment_size 0
		.amdhsa_wavefront_size32 1
		.amdhsa_uses_dynamic_stack 0
		.amdhsa_enable_private_segment 0
		.amdhsa_system_sgpr_workgroup_id_x 1
		.amdhsa_system_sgpr_workgroup_id_y 0
		.amdhsa_system_sgpr_workgroup_id_z 0
		.amdhsa_system_sgpr_workgroup_info 0
		.amdhsa_system_vgpr_workitem_id 0
		.amdhsa_next_free_vgpr 1
		.amdhsa_next_free_sgpr 1
		.amdhsa_named_barrier_count 0
		.amdhsa_reserve_vcc 0
		.amdhsa_float_round_mode_32 0
		.amdhsa_float_round_mode_16_64 0
		.amdhsa_float_denorm_mode_32 3
		.amdhsa_float_denorm_mode_16_64 3
		.amdhsa_fp16_overflow 0
		.amdhsa_memory_ordered 1
		.amdhsa_forward_progress 1
		.amdhsa_inst_pref_size 0
		.amdhsa_round_robin_scheduling 0
		.amdhsa_exception_fp_ieee_invalid_op 0
		.amdhsa_exception_fp_denorm_src 0
		.amdhsa_exception_fp_ieee_div_zero 0
		.amdhsa_exception_fp_ieee_overflow 0
		.amdhsa_exception_fp_ieee_underflow 0
		.amdhsa_exception_fp_ieee_inexact 0
		.amdhsa_exception_int_div_zero 0
	.end_amdhsa_kernel
	.section	.text._ZN7rocprim17ROCPRIM_400000_NS6detail17trampoline_kernelINS0_14default_configENS1_32segmented_reduce_config_selectorIfEEZNS1_21segmented_reduce_implIS3_PKfPfPKifN6hipcub16HIPCUB_304000_NS6detail27convert_result_type_wrapperIS8_S9_N2at6native12_GLOBAL__N_19CustomMaxEEEEE10hipError_tPvRmT0_T1_jT2_SQ_T4_T3_P12ihipStream_tbEUlT_E_NS1_11comp_targetILNS1_3genE9ELNS1_11target_archE1100ELNS1_3gpuE3ELNS1_3repE0EEENS1_30default_config_static_selectorELNS0_4arch9wavefront6targetE0EEEvSP_,"axG",@progbits,_ZN7rocprim17ROCPRIM_400000_NS6detail17trampoline_kernelINS0_14default_configENS1_32segmented_reduce_config_selectorIfEEZNS1_21segmented_reduce_implIS3_PKfPfPKifN6hipcub16HIPCUB_304000_NS6detail27convert_result_type_wrapperIS8_S9_N2at6native12_GLOBAL__N_19CustomMaxEEEEE10hipError_tPvRmT0_T1_jT2_SQ_T4_T3_P12ihipStream_tbEUlT_E_NS1_11comp_targetILNS1_3genE9ELNS1_11target_archE1100ELNS1_3gpuE3ELNS1_3repE0EEENS1_30default_config_static_selectorELNS0_4arch9wavefront6targetE0EEEvSP_,comdat
.Lfunc_end49:
	.size	_ZN7rocprim17ROCPRIM_400000_NS6detail17trampoline_kernelINS0_14default_configENS1_32segmented_reduce_config_selectorIfEEZNS1_21segmented_reduce_implIS3_PKfPfPKifN6hipcub16HIPCUB_304000_NS6detail27convert_result_type_wrapperIS8_S9_N2at6native12_GLOBAL__N_19CustomMaxEEEEE10hipError_tPvRmT0_T1_jT2_SQ_T4_T3_P12ihipStream_tbEUlT_E_NS1_11comp_targetILNS1_3genE9ELNS1_11target_archE1100ELNS1_3gpuE3ELNS1_3repE0EEENS1_30default_config_static_selectorELNS0_4arch9wavefront6targetE0EEEvSP_, .Lfunc_end49-_ZN7rocprim17ROCPRIM_400000_NS6detail17trampoline_kernelINS0_14default_configENS1_32segmented_reduce_config_selectorIfEEZNS1_21segmented_reduce_implIS3_PKfPfPKifN6hipcub16HIPCUB_304000_NS6detail27convert_result_type_wrapperIS8_S9_N2at6native12_GLOBAL__N_19CustomMaxEEEEE10hipError_tPvRmT0_T1_jT2_SQ_T4_T3_P12ihipStream_tbEUlT_E_NS1_11comp_targetILNS1_3genE9ELNS1_11target_archE1100ELNS1_3gpuE3ELNS1_3repE0EEENS1_30default_config_static_selectorELNS0_4arch9wavefront6targetE0EEEvSP_
                                        ; -- End function
	.set _ZN7rocprim17ROCPRIM_400000_NS6detail17trampoline_kernelINS0_14default_configENS1_32segmented_reduce_config_selectorIfEEZNS1_21segmented_reduce_implIS3_PKfPfPKifN6hipcub16HIPCUB_304000_NS6detail27convert_result_type_wrapperIS8_S9_N2at6native12_GLOBAL__N_19CustomMaxEEEEE10hipError_tPvRmT0_T1_jT2_SQ_T4_T3_P12ihipStream_tbEUlT_E_NS1_11comp_targetILNS1_3genE9ELNS1_11target_archE1100ELNS1_3gpuE3ELNS1_3repE0EEENS1_30default_config_static_selectorELNS0_4arch9wavefront6targetE0EEEvSP_.num_vgpr, 0
	.set _ZN7rocprim17ROCPRIM_400000_NS6detail17trampoline_kernelINS0_14default_configENS1_32segmented_reduce_config_selectorIfEEZNS1_21segmented_reduce_implIS3_PKfPfPKifN6hipcub16HIPCUB_304000_NS6detail27convert_result_type_wrapperIS8_S9_N2at6native12_GLOBAL__N_19CustomMaxEEEEE10hipError_tPvRmT0_T1_jT2_SQ_T4_T3_P12ihipStream_tbEUlT_E_NS1_11comp_targetILNS1_3genE9ELNS1_11target_archE1100ELNS1_3gpuE3ELNS1_3repE0EEENS1_30default_config_static_selectorELNS0_4arch9wavefront6targetE0EEEvSP_.num_agpr, 0
	.set _ZN7rocprim17ROCPRIM_400000_NS6detail17trampoline_kernelINS0_14default_configENS1_32segmented_reduce_config_selectorIfEEZNS1_21segmented_reduce_implIS3_PKfPfPKifN6hipcub16HIPCUB_304000_NS6detail27convert_result_type_wrapperIS8_S9_N2at6native12_GLOBAL__N_19CustomMaxEEEEE10hipError_tPvRmT0_T1_jT2_SQ_T4_T3_P12ihipStream_tbEUlT_E_NS1_11comp_targetILNS1_3genE9ELNS1_11target_archE1100ELNS1_3gpuE3ELNS1_3repE0EEENS1_30default_config_static_selectorELNS0_4arch9wavefront6targetE0EEEvSP_.numbered_sgpr, 0
	.set _ZN7rocprim17ROCPRIM_400000_NS6detail17trampoline_kernelINS0_14default_configENS1_32segmented_reduce_config_selectorIfEEZNS1_21segmented_reduce_implIS3_PKfPfPKifN6hipcub16HIPCUB_304000_NS6detail27convert_result_type_wrapperIS8_S9_N2at6native12_GLOBAL__N_19CustomMaxEEEEE10hipError_tPvRmT0_T1_jT2_SQ_T4_T3_P12ihipStream_tbEUlT_E_NS1_11comp_targetILNS1_3genE9ELNS1_11target_archE1100ELNS1_3gpuE3ELNS1_3repE0EEENS1_30default_config_static_selectorELNS0_4arch9wavefront6targetE0EEEvSP_.num_named_barrier, 0
	.set _ZN7rocprim17ROCPRIM_400000_NS6detail17trampoline_kernelINS0_14default_configENS1_32segmented_reduce_config_selectorIfEEZNS1_21segmented_reduce_implIS3_PKfPfPKifN6hipcub16HIPCUB_304000_NS6detail27convert_result_type_wrapperIS8_S9_N2at6native12_GLOBAL__N_19CustomMaxEEEEE10hipError_tPvRmT0_T1_jT2_SQ_T4_T3_P12ihipStream_tbEUlT_E_NS1_11comp_targetILNS1_3genE9ELNS1_11target_archE1100ELNS1_3gpuE3ELNS1_3repE0EEENS1_30default_config_static_selectorELNS0_4arch9wavefront6targetE0EEEvSP_.private_seg_size, 0
	.set _ZN7rocprim17ROCPRIM_400000_NS6detail17trampoline_kernelINS0_14default_configENS1_32segmented_reduce_config_selectorIfEEZNS1_21segmented_reduce_implIS3_PKfPfPKifN6hipcub16HIPCUB_304000_NS6detail27convert_result_type_wrapperIS8_S9_N2at6native12_GLOBAL__N_19CustomMaxEEEEE10hipError_tPvRmT0_T1_jT2_SQ_T4_T3_P12ihipStream_tbEUlT_E_NS1_11comp_targetILNS1_3genE9ELNS1_11target_archE1100ELNS1_3gpuE3ELNS1_3repE0EEENS1_30default_config_static_selectorELNS0_4arch9wavefront6targetE0EEEvSP_.uses_vcc, 0
	.set _ZN7rocprim17ROCPRIM_400000_NS6detail17trampoline_kernelINS0_14default_configENS1_32segmented_reduce_config_selectorIfEEZNS1_21segmented_reduce_implIS3_PKfPfPKifN6hipcub16HIPCUB_304000_NS6detail27convert_result_type_wrapperIS8_S9_N2at6native12_GLOBAL__N_19CustomMaxEEEEE10hipError_tPvRmT0_T1_jT2_SQ_T4_T3_P12ihipStream_tbEUlT_E_NS1_11comp_targetILNS1_3genE9ELNS1_11target_archE1100ELNS1_3gpuE3ELNS1_3repE0EEENS1_30default_config_static_selectorELNS0_4arch9wavefront6targetE0EEEvSP_.uses_flat_scratch, 0
	.set _ZN7rocprim17ROCPRIM_400000_NS6detail17trampoline_kernelINS0_14default_configENS1_32segmented_reduce_config_selectorIfEEZNS1_21segmented_reduce_implIS3_PKfPfPKifN6hipcub16HIPCUB_304000_NS6detail27convert_result_type_wrapperIS8_S9_N2at6native12_GLOBAL__N_19CustomMaxEEEEE10hipError_tPvRmT0_T1_jT2_SQ_T4_T3_P12ihipStream_tbEUlT_E_NS1_11comp_targetILNS1_3genE9ELNS1_11target_archE1100ELNS1_3gpuE3ELNS1_3repE0EEENS1_30default_config_static_selectorELNS0_4arch9wavefront6targetE0EEEvSP_.has_dyn_sized_stack, 0
	.set _ZN7rocprim17ROCPRIM_400000_NS6detail17trampoline_kernelINS0_14default_configENS1_32segmented_reduce_config_selectorIfEEZNS1_21segmented_reduce_implIS3_PKfPfPKifN6hipcub16HIPCUB_304000_NS6detail27convert_result_type_wrapperIS8_S9_N2at6native12_GLOBAL__N_19CustomMaxEEEEE10hipError_tPvRmT0_T1_jT2_SQ_T4_T3_P12ihipStream_tbEUlT_E_NS1_11comp_targetILNS1_3genE9ELNS1_11target_archE1100ELNS1_3gpuE3ELNS1_3repE0EEENS1_30default_config_static_selectorELNS0_4arch9wavefront6targetE0EEEvSP_.has_recursion, 0
	.set _ZN7rocprim17ROCPRIM_400000_NS6detail17trampoline_kernelINS0_14default_configENS1_32segmented_reduce_config_selectorIfEEZNS1_21segmented_reduce_implIS3_PKfPfPKifN6hipcub16HIPCUB_304000_NS6detail27convert_result_type_wrapperIS8_S9_N2at6native12_GLOBAL__N_19CustomMaxEEEEE10hipError_tPvRmT0_T1_jT2_SQ_T4_T3_P12ihipStream_tbEUlT_E_NS1_11comp_targetILNS1_3genE9ELNS1_11target_archE1100ELNS1_3gpuE3ELNS1_3repE0EEENS1_30default_config_static_selectorELNS0_4arch9wavefront6targetE0EEEvSP_.has_indirect_call, 0
	.section	.AMDGPU.csdata,"",@progbits
; Kernel info:
; codeLenInByte = 0
; TotalNumSgprs: 0
; NumVgprs: 0
; ScratchSize: 0
; MemoryBound: 0
; FloatMode: 240
; IeeeMode: 1
; LDSByteSize: 0 bytes/workgroup (compile time only)
; SGPRBlocks: 0
; VGPRBlocks: 0
; NumSGPRsForWavesPerEU: 1
; NumVGPRsForWavesPerEU: 1
; NamedBarCnt: 0
; Occupancy: 16
; WaveLimiterHint : 0
; COMPUTE_PGM_RSRC2:SCRATCH_EN: 0
; COMPUTE_PGM_RSRC2:USER_SGPR: 2
; COMPUTE_PGM_RSRC2:TRAP_HANDLER: 0
; COMPUTE_PGM_RSRC2:TGID_X_EN: 1
; COMPUTE_PGM_RSRC2:TGID_Y_EN: 0
; COMPUTE_PGM_RSRC2:TGID_Z_EN: 0
; COMPUTE_PGM_RSRC2:TIDIG_COMP_CNT: 0
	.section	.text._ZN7rocprim17ROCPRIM_400000_NS6detail17trampoline_kernelINS0_14default_configENS1_32segmented_reduce_config_selectorIfEEZNS1_21segmented_reduce_implIS3_PKfPfPKifN6hipcub16HIPCUB_304000_NS6detail27convert_result_type_wrapperIS8_S9_N2at6native12_GLOBAL__N_19CustomMaxEEEEE10hipError_tPvRmT0_T1_jT2_SQ_T4_T3_P12ihipStream_tbEUlT_E_NS1_11comp_targetILNS1_3genE8ELNS1_11target_archE1030ELNS1_3gpuE2ELNS1_3repE0EEENS1_30default_config_static_selectorELNS0_4arch9wavefront6targetE0EEEvSP_,"axG",@progbits,_ZN7rocprim17ROCPRIM_400000_NS6detail17trampoline_kernelINS0_14default_configENS1_32segmented_reduce_config_selectorIfEEZNS1_21segmented_reduce_implIS3_PKfPfPKifN6hipcub16HIPCUB_304000_NS6detail27convert_result_type_wrapperIS8_S9_N2at6native12_GLOBAL__N_19CustomMaxEEEEE10hipError_tPvRmT0_T1_jT2_SQ_T4_T3_P12ihipStream_tbEUlT_E_NS1_11comp_targetILNS1_3genE8ELNS1_11target_archE1030ELNS1_3gpuE2ELNS1_3repE0EEENS1_30default_config_static_selectorELNS0_4arch9wavefront6targetE0EEEvSP_,comdat
	.globl	_ZN7rocprim17ROCPRIM_400000_NS6detail17trampoline_kernelINS0_14default_configENS1_32segmented_reduce_config_selectorIfEEZNS1_21segmented_reduce_implIS3_PKfPfPKifN6hipcub16HIPCUB_304000_NS6detail27convert_result_type_wrapperIS8_S9_N2at6native12_GLOBAL__N_19CustomMaxEEEEE10hipError_tPvRmT0_T1_jT2_SQ_T4_T3_P12ihipStream_tbEUlT_E_NS1_11comp_targetILNS1_3genE8ELNS1_11target_archE1030ELNS1_3gpuE2ELNS1_3repE0EEENS1_30default_config_static_selectorELNS0_4arch9wavefront6targetE0EEEvSP_ ; -- Begin function _ZN7rocprim17ROCPRIM_400000_NS6detail17trampoline_kernelINS0_14default_configENS1_32segmented_reduce_config_selectorIfEEZNS1_21segmented_reduce_implIS3_PKfPfPKifN6hipcub16HIPCUB_304000_NS6detail27convert_result_type_wrapperIS8_S9_N2at6native12_GLOBAL__N_19CustomMaxEEEEE10hipError_tPvRmT0_T1_jT2_SQ_T4_T3_P12ihipStream_tbEUlT_E_NS1_11comp_targetILNS1_3genE8ELNS1_11target_archE1030ELNS1_3gpuE2ELNS1_3repE0EEENS1_30default_config_static_selectorELNS0_4arch9wavefront6targetE0EEEvSP_
	.p2align	8
	.type	_ZN7rocprim17ROCPRIM_400000_NS6detail17trampoline_kernelINS0_14default_configENS1_32segmented_reduce_config_selectorIfEEZNS1_21segmented_reduce_implIS3_PKfPfPKifN6hipcub16HIPCUB_304000_NS6detail27convert_result_type_wrapperIS8_S9_N2at6native12_GLOBAL__N_19CustomMaxEEEEE10hipError_tPvRmT0_T1_jT2_SQ_T4_T3_P12ihipStream_tbEUlT_E_NS1_11comp_targetILNS1_3genE8ELNS1_11target_archE1030ELNS1_3gpuE2ELNS1_3repE0EEENS1_30default_config_static_selectorELNS0_4arch9wavefront6targetE0EEEvSP_,@function
_ZN7rocprim17ROCPRIM_400000_NS6detail17trampoline_kernelINS0_14default_configENS1_32segmented_reduce_config_selectorIfEEZNS1_21segmented_reduce_implIS3_PKfPfPKifN6hipcub16HIPCUB_304000_NS6detail27convert_result_type_wrapperIS8_S9_N2at6native12_GLOBAL__N_19CustomMaxEEEEE10hipError_tPvRmT0_T1_jT2_SQ_T4_T3_P12ihipStream_tbEUlT_E_NS1_11comp_targetILNS1_3genE8ELNS1_11target_archE1030ELNS1_3gpuE2ELNS1_3repE0EEENS1_30default_config_static_selectorELNS0_4arch9wavefront6targetE0EEEvSP_: ; @_ZN7rocprim17ROCPRIM_400000_NS6detail17trampoline_kernelINS0_14default_configENS1_32segmented_reduce_config_selectorIfEEZNS1_21segmented_reduce_implIS3_PKfPfPKifN6hipcub16HIPCUB_304000_NS6detail27convert_result_type_wrapperIS8_S9_N2at6native12_GLOBAL__N_19CustomMaxEEEEE10hipError_tPvRmT0_T1_jT2_SQ_T4_T3_P12ihipStream_tbEUlT_E_NS1_11comp_targetILNS1_3genE8ELNS1_11target_archE1030ELNS1_3gpuE2ELNS1_3repE0EEENS1_30default_config_static_selectorELNS0_4arch9wavefront6targetE0EEEvSP_
; %bb.0:
	.section	.rodata,"a",@progbits
	.p2align	6, 0x0
	.amdhsa_kernel _ZN7rocprim17ROCPRIM_400000_NS6detail17trampoline_kernelINS0_14default_configENS1_32segmented_reduce_config_selectorIfEEZNS1_21segmented_reduce_implIS3_PKfPfPKifN6hipcub16HIPCUB_304000_NS6detail27convert_result_type_wrapperIS8_S9_N2at6native12_GLOBAL__N_19CustomMaxEEEEE10hipError_tPvRmT0_T1_jT2_SQ_T4_T3_P12ihipStream_tbEUlT_E_NS1_11comp_targetILNS1_3genE8ELNS1_11target_archE1030ELNS1_3gpuE2ELNS1_3repE0EEENS1_30default_config_static_selectorELNS0_4arch9wavefront6targetE0EEEvSP_
		.amdhsa_group_segment_fixed_size 0
		.amdhsa_private_segment_fixed_size 0
		.amdhsa_kernarg_size 48
		.amdhsa_user_sgpr_count 2
		.amdhsa_user_sgpr_dispatch_ptr 0
		.amdhsa_user_sgpr_queue_ptr 0
		.amdhsa_user_sgpr_kernarg_segment_ptr 1
		.amdhsa_user_sgpr_dispatch_id 0
		.amdhsa_user_sgpr_kernarg_preload_length 0
		.amdhsa_user_sgpr_kernarg_preload_offset 0
		.amdhsa_user_sgpr_private_segment_size 0
		.amdhsa_wavefront_size32 1
		.amdhsa_uses_dynamic_stack 0
		.amdhsa_enable_private_segment 0
		.amdhsa_system_sgpr_workgroup_id_x 1
		.amdhsa_system_sgpr_workgroup_id_y 0
		.amdhsa_system_sgpr_workgroup_id_z 0
		.amdhsa_system_sgpr_workgroup_info 0
		.amdhsa_system_vgpr_workitem_id 0
		.amdhsa_next_free_vgpr 1
		.amdhsa_next_free_sgpr 1
		.amdhsa_named_barrier_count 0
		.amdhsa_reserve_vcc 0
		.amdhsa_float_round_mode_32 0
		.amdhsa_float_round_mode_16_64 0
		.amdhsa_float_denorm_mode_32 3
		.amdhsa_float_denorm_mode_16_64 3
		.amdhsa_fp16_overflow 0
		.amdhsa_memory_ordered 1
		.amdhsa_forward_progress 1
		.amdhsa_inst_pref_size 0
		.amdhsa_round_robin_scheduling 0
		.amdhsa_exception_fp_ieee_invalid_op 0
		.amdhsa_exception_fp_denorm_src 0
		.amdhsa_exception_fp_ieee_div_zero 0
		.amdhsa_exception_fp_ieee_overflow 0
		.amdhsa_exception_fp_ieee_underflow 0
		.amdhsa_exception_fp_ieee_inexact 0
		.amdhsa_exception_int_div_zero 0
	.end_amdhsa_kernel
	.section	.text._ZN7rocprim17ROCPRIM_400000_NS6detail17trampoline_kernelINS0_14default_configENS1_32segmented_reduce_config_selectorIfEEZNS1_21segmented_reduce_implIS3_PKfPfPKifN6hipcub16HIPCUB_304000_NS6detail27convert_result_type_wrapperIS8_S9_N2at6native12_GLOBAL__N_19CustomMaxEEEEE10hipError_tPvRmT0_T1_jT2_SQ_T4_T3_P12ihipStream_tbEUlT_E_NS1_11comp_targetILNS1_3genE8ELNS1_11target_archE1030ELNS1_3gpuE2ELNS1_3repE0EEENS1_30default_config_static_selectorELNS0_4arch9wavefront6targetE0EEEvSP_,"axG",@progbits,_ZN7rocprim17ROCPRIM_400000_NS6detail17trampoline_kernelINS0_14default_configENS1_32segmented_reduce_config_selectorIfEEZNS1_21segmented_reduce_implIS3_PKfPfPKifN6hipcub16HIPCUB_304000_NS6detail27convert_result_type_wrapperIS8_S9_N2at6native12_GLOBAL__N_19CustomMaxEEEEE10hipError_tPvRmT0_T1_jT2_SQ_T4_T3_P12ihipStream_tbEUlT_E_NS1_11comp_targetILNS1_3genE8ELNS1_11target_archE1030ELNS1_3gpuE2ELNS1_3repE0EEENS1_30default_config_static_selectorELNS0_4arch9wavefront6targetE0EEEvSP_,comdat
.Lfunc_end50:
	.size	_ZN7rocprim17ROCPRIM_400000_NS6detail17trampoline_kernelINS0_14default_configENS1_32segmented_reduce_config_selectorIfEEZNS1_21segmented_reduce_implIS3_PKfPfPKifN6hipcub16HIPCUB_304000_NS6detail27convert_result_type_wrapperIS8_S9_N2at6native12_GLOBAL__N_19CustomMaxEEEEE10hipError_tPvRmT0_T1_jT2_SQ_T4_T3_P12ihipStream_tbEUlT_E_NS1_11comp_targetILNS1_3genE8ELNS1_11target_archE1030ELNS1_3gpuE2ELNS1_3repE0EEENS1_30default_config_static_selectorELNS0_4arch9wavefront6targetE0EEEvSP_, .Lfunc_end50-_ZN7rocprim17ROCPRIM_400000_NS6detail17trampoline_kernelINS0_14default_configENS1_32segmented_reduce_config_selectorIfEEZNS1_21segmented_reduce_implIS3_PKfPfPKifN6hipcub16HIPCUB_304000_NS6detail27convert_result_type_wrapperIS8_S9_N2at6native12_GLOBAL__N_19CustomMaxEEEEE10hipError_tPvRmT0_T1_jT2_SQ_T4_T3_P12ihipStream_tbEUlT_E_NS1_11comp_targetILNS1_3genE8ELNS1_11target_archE1030ELNS1_3gpuE2ELNS1_3repE0EEENS1_30default_config_static_selectorELNS0_4arch9wavefront6targetE0EEEvSP_
                                        ; -- End function
	.set _ZN7rocprim17ROCPRIM_400000_NS6detail17trampoline_kernelINS0_14default_configENS1_32segmented_reduce_config_selectorIfEEZNS1_21segmented_reduce_implIS3_PKfPfPKifN6hipcub16HIPCUB_304000_NS6detail27convert_result_type_wrapperIS8_S9_N2at6native12_GLOBAL__N_19CustomMaxEEEEE10hipError_tPvRmT0_T1_jT2_SQ_T4_T3_P12ihipStream_tbEUlT_E_NS1_11comp_targetILNS1_3genE8ELNS1_11target_archE1030ELNS1_3gpuE2ELNS1_3repE0EEENS1_30default_config_static_selectorELNS0_4arch9wavefront6targetE0EEEvSP_.num_vgpr, 0
	.set _ZN7rocprim17ROCPRIM_400000_NS6detail17trampoline_kernelINS0_14default_configENS1_32segmented_reduce_config_selectorIfEEZNS1_21segmented_reduce_implIS3_PKfPfPKifN6hipcub16HIPCUB_304000_NS6detail27convert_result_type_wrapperIS8_S9_N2at6native12_GLOBAL__N_19CustomMaxEEEEE10hipError_tPvRmT0_T1_jT2_SQ_T4_T3_P12ihipStream_tbEUlT_E_NS1_11comp_targetILNS1_3genE8ELNS1_11target_archE1030ELNS1_3gpuE2ELNS1_3repE0EEENS1_30default_config_static_selectorELNS0_4arch9wavefront6targetE0EEEvSP_.num_agpr, 0
	.set _ZN7rocprim17ROCPRIM_400000_NS6detail17trampoline_kernelINS0_14default_configENS1_32segmented_reduce_config_selectorIfEEZNS1_21segmented_reduce_implIS3_PKfPfPKifN6hipcub16HIPCUB_304000_NS6detail27convert_result_type_wrapperIS8_S9_N2at6native12_GLOBAL__N_19CustomMaxEEEEE10hipError_tPvRmT0_T1_jT2_SQ_T4_T3_P12ihipStream_tbEUlT_E_NS1_11comp_targetILNS1_3genE8ELNS1_11target_archE1030ELNS1_3gpuE2ELNS1_3repE0EEENS1_30default_config_static_selectorELNS0_4arch9wavefront6targetE0EEEvSP_.numbered_sgpr, 0
	.set _ZN7rocprim17ROCPRIM_400000_NS6detail17trampoline_kernelINS0_14default_configENS1_32segmented_reduce_config_selectorIfEEZNS1_21segmented_reduce_implIS3_PKfPfPKifN6hipcub16HIPCUB_304000_NS6detail27convert_result_type_wrapperIS8_S9_N2at6native12_GLOBAL__N_19CustomMaxEEEEE10hipError_tPvRmT0_T1_jT2_SQ_T4_T3_P12ihipStream_tbEUlT_E_NS1_11comp_targetILNS1_3genE8ELNS1_11target_archE1030ELNS1_3gpuE2ELNS1_3repE0EEENS1_30default_config_static_selectorELNS0_4arch9wavefront6targetE0EEEvSP_.num_named_barrier, 0
	.set _ZN7rocprim17ROCPRIM_400000_NS6detail17trampoline_kernelINS0_14default_configENS1_32segmented_reduce_config_selectorIfEEZNS1_21segmented_reduce_implIS3_PKfPfPKifN6hipcub16HIPCUB_304000_NS6detail27convert_result_type_wrapperIS8_S9_N2at6native12_GLOBAL__N_19CustomMaxEEEEE10hipError_tPvRmT0_T1_jT2_SQ_T4_T3_P12ihipStream_tbEUlT_E_NS1_11comp_targetILNS1_3genE8ELNS1_11target_archE1030ELNS1_3gpuE2ELNS1_3repE0EEENS1_30default_config_static_selectorELNS0_4arch9wavefront6targetE0EEEvSP_.private_seg_size, 0
	.set _ZN7rocprim17ROCPRIM_400000_NS6detail17trampoline_kernelINS0_14default_configENS1_32segmented_reduce_config_selectorIfEEZNS1_21segmented_reduce_implIS3_PKfPfPKifN6hipcub16HIPCUB_304000_NS6detail27convert_result_type_wrapperIS8_S9_N2at6native12_GLOBAL__N_19CustomMaxEEEEE10hipError_tPvRmT0_T1_jT2_SQ_T4_T3_P12ihipStream_tbEUlT_E_NS1_11comp_targetILNS1_3genE8ELNS1_11target_archE1030ELNS1_3gpuE2ELNS1_3repE0EEENS1_30default_config_static_selectorELNS0_4arch9wavefront6targetE0EEEvSP_.uses_vcc, 0
	.set _ZN7rocprim17ROCPRIM_400000_NS6detail17trampoline_kernelINS0_14default_configENS1_32segmented_reduce_config_selectorIfEEZNS1_21segmented_reduce_implIS3_PKfPfPKifN6hipcub16HIPCUB_304000_NS6detail27convert_result_type_wrapperIS8_S9_N2at6native12_GLOBAL__N_19CustomMaxEEEEE10hipError_tPvRmT0_T1_jT2_SQ_T4_T3_P12ihipStream_tbEUlT_E_NS1_11comp_targetILNS1_3genE8ELNS1_11target_archE1030ELNS1_3gpuE2ELNS1_3repE0EEENS1_30default_config_static_selectorELNS0_4arch9wavefront6targetE0EEEvSP_.uses_flat_scratch, 0
	.set _ZN7rocprim17ROCPRIM_400000_NS6detail17trampoline_kernelINS0_14default_configENS1_32segmented_reduce_config_selectorIfEEZNS1_21segmented_reduce_implIS3_PKfPfPKifN6hipcub16HIPCUB_304000_NS6detail27convert_result_type_wrapperIS8_S9_N2at6native12_GLOBAL__N_19CustomMaxEEEEE10hipError_tPvRmT0_T1_jT2_SQ_T4_T3_P12ihipStream_tbEUlT_E_NS1_11comp_targetILNS1_3genE8ELNS1_11target_archE1030ELNS1_3gpuE2ELNS1_3repE0EEENS1_30default_config_static_selectorELNS0_4arch9wavefront6targetE0EEEvSP_.has_dyn_sized_stack, 0
	.set _ZN7rocprim17ROCPRIM_400000_NS6detail17trampoline_kernelINS0_14default_configENS1_32segmented_reduce_config_selectorIfEEZNS1_21segmented_reduce_implIS3_PKfPfPKifN6hipcub16HIPCUB_304000_NS6detail27convert_result_type_wrapperIS8_S9_N2at6native12_GLOBAL__N_19CustomMaxEEEEE10hipError_tPvRmT0_T1_jT2_SQ_T4_T3_P12ihipStream_tbEUlT_E_NS1_11comp_targetILNS1_3genE8ELNS1_11target_archE1030ELNS1_3gpuE2ELNS1_3repE0EEENS1_30default_config_static_selectorELNS0_4arch9wavefront6targetE0EEEvSP_.has_recursion, 0
	.set _ZN7rocprim17ROCPRIM_400000_NS6detail17trampoline_kernelINS0_14default_configENS1_32segmented_reduce_config_selectorIfEEZNS1_21segmented_reduce_implIS3_PKfPfPKifN6hipcub16HIPCUB_304000_NS6detail27convert_result_type_wrapperIS8_S9_N2at6native12_GLOBAL__N_19CustomMaxEEEEE10hipError_tPvRmT0_T1_jT2_SQ_T4_T3_P12ihipStream_tbEUlT_E_NS1_11comp_targetILNS1_3genE8ELNS1_11target_archE1030ELNS1_3gpuE2ELNS1_3repE0EEENS1_30default_config_static_selectorELNS0_4arch9wavefront6targetE0EEEvSP_.has_indirect_call, 0
	.section	.AMDGPU.csdata,"",@progbits
; Kernel info:
; codeLenInByte = 0
; TotalNumSgprs: 0
; NumVgprs: 0
; ScratchSize: 0
; MemoryBound: 0
; FloatMode: 240
; IeeeMode: 1
; LDSByteSize: 0 bytes/workgroup (compile time only)
; SGPRBlocks: 0
; VGPRBlocks: 0
; NumSGPRsForWavesPerEU: 1
; NumVGPRsForWavesPerEU: 1
; NamedBarCnt: 0
; Occupancy: 16
; WaveLimiterHint : 0
; COMPUTE_PGM_RSRC2:SCRATCH_EN: 0
; COMPUTE_PGM_RSRC2:USER_SGPR: 2
; COMPUTE_PGM_RSRC2:TRAP_HANDLER: 0
; COMPUTE_PGM_RSRC2:TGID_X_EN: 1
; COMPUTE_PGM_RSRC2:TGID_Y_EN: 0
; COMPUTE_PGM_RSRC2:TGID_Z_EN: 0
; COMPUTE_PGM_RSRC2:TIDIG_COMP_CNT: 0
	.section	.text._ZN7rocprim17ROCPRIM_400000_NS6detail17trampoline_kernelINS0_14default_configENS1_32segmented_reduce_config_selectorIfEEZNS1_21segmented_reduce_implIS3_PKfPfPKifN6hipcub16HIPCUB_304000_NS6detail27convert_result_type_wrapperIS8_S9_N2at6native12_GLOBAL__N_19CustomSumEEEEE10hipError_tPvRmT0_T1_jT2_SQ_T4_T3_P12ihipStream_tbEUlT_E_NS1_11comp_targetILNS1_3genE0ELNS1_11target_archE4294967295ELNS1_3gpuE0ELNS1_3repE0EEENS1_30default_config_static_selectorELNS0_4arch9wavefront6targetE0EEEvSP_,"axG",@progbits,_ZN7rocprim17ROCPRIM_400000_NS6detail17trampoline_kernelINS0_14default_configENS1_32segmented_reduce_config_selectorIfEEZNS1_21segmented_reduce_implIS3_PKfPfPKifN6hipcub16HIPCUB_304000_NS6detail27convert_result_type_wrapperIS8_S9_N2at6native12_GLOBAL__N_19CustomSumEEEEE10hipError_tPvRmT0_T1_jT2_SQ_T4_T3_P12ihipStream_tbEUlT_E_NS1_11comp_targetILNS1_3genE0ELNS1_11target_archE4294967295ELNS1_3gpuE0ELNS1_3repE0EEENS1_30default_config_static_selectorELNS0_4arch9wavefront6targetE0EEEvSP_,comdat
	.globl	_ZN7rocprim17ROCPRIM_400000_NS6detail17trampoline_kernelINS0_14default_configENS1_32segmented_reduce_config_selectorIfEEZNS1_21segmented_reduce_implIS3_PKfPfPKifN6hipcub16HIPCUB_304000_NS6detail27convert_result_type_wrapperIS8_S9_N2at6native12_GLOBAL__N_19CustomSumEEEEE10hipError_tPvRmT0_T1_jT2_SQ_T4_T3_P12ihipStream_tbEUlT_E_NS1_11comp_targetILNS1_3genE0ELNS1_11target_archE4294967295ELNS1_3gpuE0ELNS1_3repE0EEENS1_30default_config_static_selectorELNS0_4arch9wavefront6targetE0EEEvSP_ ; -- Begin function _ZN7rocprim17ROCPRIM_400000_NS6detail17trampoline_kernelINS0_14default_configENS1_32segmented_reduce_config_selectorIfEEZNS1_21segmented_reduce_implIS3_PKfPfPKifN6hipcub16HIPCUB_304000_NS6detail27convert_result_type_wrapperIS8_S9_N2at6native12_GLOBAL__N_19CustomSumEEEEE10hipError_tPvRmT0_T1_jT2_SQ_T4_T3_P12ihipStream_tbEUlT_E_NS1_11comp_targetILNS1_3genE0ELNS1_11target_archE4294967295ELNS1_3gpuE0ELNS1_3repE0EEENS1_30default_config_static_selectorELNS0_4arch9wavefront6targetE0EEEvSP_
	.p2align	8
	.type	_ZN7rocprim17ROCPRIM_400000_NS6detail17trampoline_kernelINS0_14default_configENS1_32segmented_reduce_config_selectorIfEEZNS1_21segmented_reduce_implIS3_PKfPfPKifN6hipcub16HIPCUB_304000_NS6detail27convert_result_type_wrapperIS8_S9_N2at6native12_GLOBAL__N_19CustomSumEEEEE10hipError_tPvRmT0_T1_jT2_SQ_T4_T3_P12ihipStream_tbEUlT_E_NS1_11comp_targetILNS1_3genE0ELNS1_11target_archE4294967295ELNS1_3gpuE0ELNS1_3repE0EEENS1_30default_config_static_selectorELNS0_4arch9wavefront6targetE0EEEvSP_,@function
_ZN7rocprim17ROCPRIM_400000_NS6detail17trampoline_kernelINS0_14default_configENS1_32segmented_reduce_config_selectorIfEEZNS1_21segmented_reduce_implIS3_PKfPfPKifN6hipcub16HIPCUB_304000_NS6detail27convert_result_type_wrapperIS8_S9_N2at6native12_GLOBAL__N_19CustomSumEEEEE10hipError_tPvRmT0_T1_jT2_SQ_T4_T3_P12ihipStream_tbEUlT_E_NS1_11comp_targetILNS1_3genE0ELNS1_11target_archE4294967295ELNS1_3gpuE0ELNS1_3repE0EEENS1_30default_config_static_selectorELNS0_4arch9wavefront6targetE0EEEvSP_: ; @_ZN7rocprim17ROCPRIM_400000_NS6detail17trampoline_kernelINS0_14default_configENS1_32segmented_reduce_config_selectorIfEEZNS1_21segmented_reduce_implIS3_PKfPfPKifN6hipcub16HIPCUB_304000_NS6detail27convert_result_type_wrapperIS8_S9_N2at6native12_GLOBAL__N_19CustomSumEEEEE10hipError_tPvRmT0_T1_jT2_SQ_T4_T3_P12ihipStream_tbEUlT_E_NS1_11comp_targetILNS1_3genE0ELNS1_11target_archE4294967295ELNS1_3gpuE0ELNS1_3repE0EEENS1_30default_config_static_selectorELNS0_4arch9wavefront6targetE0EEEvSP_
; %bb.0:
	s_clause 0x1
	s_load_b256 s[16:23], s[0:1], 0x0
	s_load_b64 s[2:3], s[0:1], 0x20
	s_bfe_u32 s4, ttmp6, 0x4000c
	s_and_b32 s5, ttmp6, 15
	s_add_co_i32 s4, s4, 1
	s_getreg_b32 s6, hwreg(HW_REG_IB_STS2, 6, 4)
	s_mul_i32 s4, ttmp9, s4
	s_load_b32 s15, s[0:1], 0x2c
	s_add_co_i32 s5, s5, s4
	s_mov_b32 s28, 0
	v_cmp_eq_u32_e32 vcc_lo, 0, v0
	s_wait_kmcnt 0x0
	s_lshl_b64 s[24:25], s[20:21], 2
	s_cmp_eq_u32 s6, 0
	s_add_nc_u64 s[0:1], s[22:23], s[24:25]
	s_cselect_b32 s20, ttmp9, s5
	s_add_nc_u64 s[2:3], s[2:3], s[24:25]
	s_load_b32 s22, s[0:1], s20 offset:0x0 scale_offset
	s_load_b32 s29, s[2:3], s20 offset:0x0 scale_offset
	s_mov_b32 s21, 0
	s_wait_xcnt 0x0
	s_mov_b32 s0, -1
	s_wait_kmcnt 0x0
	s_cmp_gt_i32 s29, s22
	s_cbranch_scc1 .LBB51_2
; %bb.1:
	s_mov_b32 s0, 0
	s_and_b32 s28, vcc_lo, exec_lo
.LBB51_2:
	s_and_not1_b32 vcc_lo, exec_lo, s0
	s_cbranch_vccnz .LBB51_44
; %bb.3:
	s_add_co_i32 s0, s22, 0x1000
	s_delay_alu instid0(SALU_CYCLE_1)
	s_cmp_le_i32 s0, s29
	s_cbranch_scc0 .LBB51_45
; %bb.4:
	s_ashr_i32 s23, s22, 31
	s_add_co_i32 s1, s22, 0x2000
	s_lshl_b64 s[2:3], s[22:23], 2
	s_cmp_ge_i32 s1, s29
	s_add_nc_u64 s[2:3], s[16:17], s[2:3]
	s_clause 0x7
	global_load_b32 v8, v0, s[2:3] scale_offset
	global_load_b32 v1, v0, s[2:3] offset:1024 scale_offset
	global_load_b32 v2, v0, s[2:3] offset:2048 scale_offset
	;; [unrolled: 1-line block ×7, first 2 shown]
	s_wait_loadcnt 0x6
	v_add_f32_e32 v9, v8, v1
	s_wait_loadcnt 0x5
	s_delay_alu instid0(VALU_DEP_1) | instskip(SKIP_1) | instid1(VALU_DEP_1)
	v_add_f32_e32 v9, v9, v2
	s_wait_loadcnt 0x4
	v_add_f32_e32 v9, v9, v3
	s_wait_loadcnt 0x3
	s_delay_alu instid0(VALU_DEP_1) | instskip(SKIP_1) | instid1(VALU_DEP_1)
	v_add_f32_e32 v9, v9, v4
	;; [unrolled: 5-line block ×3, first 2 shown]
	s_wait_loadcnt 0x0
	v_add_f32_e32 v17, v9, v7
	s_clause 0x7
	global_load_b32 v16, v0, s[2:3] offset:8192 scale_offset
	global_load_b32 v9, v0, s[2:3] offset:9216 scale_offset
	;; [unrolled: 1-line block ×8, first 2 shown]
	s_wait_loadcnt 0x7
	v_add_f32_e32 v17, v17, v16
	s_wait_loadcnt 0x6
	s_delay_alu instid0(VALU_DEP_1) | instskip(SKIP_1) | instid1(VALU_DEP_1)
	v_add_f32_e32 v17, v17, v9
	s_wait_loadcnt 0x5
	v_add_f32_e32 v17, v17, v10
	s_wait_loadcnt 0x4
	s_delay_alu instid0(VALU_DEP_1) | instskip(SKIP_1) | instid1(VALU_DEP_1)
	v_add_f32_e32 v17, v17, v11
	;; [unrolled: 5-line block ×3, first 2 shown]
	s_wait_loadcnt 0x1
	v_add_f32_e32 v17, v17, v14
	s_wait_loadcnt 0x0
	s_delay_alu instid0(VALU_DEP_1)
	v_dual_add_f32 v20, v17, v15 :: v_dual_mov_b32 v17, 0
	s_cbranch_scc1 .LBB51_7
; %bb.5:
	v_lshlrev_b32_e32 v16, 2, v0
	s_delay_alu instid0(VALU_DEP_1)
	v_add_nc_u64_e32 v[18:19], s[16:17], v[16:17]
.LBB51_6:                               ; =>This Inner Loop Header: Depth=1
	s_ashr_i32 s1, s0, 31
	s_delay_alu instid0(VALU_DEP_1) | instid1(SALU_CYCLE_1)
	v_lshl_add_u64 v[22:23], s[0:1], 2, v[18:19]
	s_add_co_i32 s1, s0, 0x2000
	s_addk_co_i32 s0, 0x1000
	s_cmp_lt_i32 s1, s29
	s_clause 0x7
	global_load_b32 v8, v[22:23], off
	global_load_b32 v1, v[22:23], off offset:1024
	global_load_b32 v2, v[22:23], off offset:2048
	;; [unrolled: 1-line block ×7, first 2 shown]
	s_wait_loadcnt 0x7
	v_add_f32_e32 v9, v20, v8
	s_wait_loadcnt 0x6
	s_delay_alu instid0(VALU_DEP_1) | instskip(SKIP_1) | instid1(VALU_DEP_1)
	v_add_f32_e32 v9, v9, v1
	s_wait_loadcnt 0x5
	v_add_f32_e32 v9, v9, v2
	s_wait_loadcnt 0x4
	s_delay_alu instid0(VALU_DEP_1) | instskip(SKIP_1) | instid1(VALU_DEP_1)
	v_add_f32_e32 v9, v9, v3
	s_wait_loadcnt 0x3
	v_add_f32_e32 v9, v9, v4
	s_wait_loadcnt 0x2
	s_delay_alu instid0(VALU_DEP_1) | instskip(SKIP_1) | instid1(VALU_DEP_1)
	v_add_f32_e32 v9, v9, v5
	s_wait_loadcnt 0x1
	v_add_f32_e32 v9, v9, v6
	s_wait_loadcnt 0x0
	s_delay_alu instid0(VALU_DEP_1)
	v_add_f32_e32 v17, v9, v7
	s_clause 0x7
	global_load_b32 v16, v[22:23], off offset:8192
	global_load_b32 v9, v[22:23], off offset:9216
	;; [unrolled: 1-line block ×8, first 2 shown]
	s_wait_loadcnt 0x7
	v_add_f32_e32 v17, v17, v16
	s_wait_loadcnt 0x6
	s_delay_alu instid0(VALU_DEP_1) | instskip(SKIP_1) | instid1(VALU_DEP_1)
	v_add_f32_e32 v17, v17, v9
	s_wait_loadcnt 0x5
	v_add_f32_e32 v17, v17, v10
	s_wait_loadcnt 0x4
	s_delay_alu instid0(VALU_DEP_1) | instskip(SKIP_1) | instid1(VALU_DEP_1)
	v_add_f32_e32 v17, v17, v11
	;; [unrolled: 5-line block ×3, first 2 shown]
	s_wait_loadcnt 0x1
	v_add_f32_e32 v17, v17, v14
	s_wait_loadcnt 0x0
	s_delay_alu instid0(VALU_DEP_1)
	v_add_f32_e32 v20, v17, v15
	s_cbranch_scc1 .LBB51_6
.LBB51_7:
	s_sub_co_i32 s14, s29, s0
	s_ashr_i32 s1, s0, 31
	v_cmp_gt_u32_e32 vcc_lo, s14, v0
	s_lshl_b64 s[0:1], s[0:1], 2
	s_delay_alu instid0(SALU_CYCLE_1)
	s_add_nc_u64 s[26:27], s[16:17], s[0:1]
	s_and_saveexec_b32 s0, vcc_lo
	s_cbranch_execz .LBB51_9
; %bb.8:
	global_load_b32 v8, v0, s[26:27] scale_offset
.LBB51_9:
	s_wait_xcnt 0x0
	s_or_b32 exec_lo, exec_lo, s0
	v_or_b32_e32 v17, 0x100, v0
	s_delay_alu instid0(VALU_DEP_1)
	v_cmp_gt_u32_e64 s0, s14, v17
	s_and_saveexec_b32 s1, s0
	s_cbranch_execz .LBB51_11
; %bb.10:
	global_load_b32 v1, v0, s[26:27] offset:1024 scale_offset
.LBB51_11:
	s_wait_xcnt 0x0
	s_or_b32 exec_lo, exec_lo, s1
	v_or_b32_e32 v17, 0x200, v0
	s_delay_alu instid0(VALU_DEP_1)
	v_cmp_gt_u32_e64 s1, s14, v17
	s_and_saveexec_b32 s2, s1
	s_cbranch_execz .LBB51_13
; %bb.12:
	global_load_b32 v2, v0, s[26:27] offset:2048 scale_offset
.LBB51_13:
	;; [unrolled: 10-line block ×15, first 2 shown]
	s_wait_xcnt 0x0
	s_or_b32 exec_lo, exec_lo, s23
	s_wait_loadcnt 0x0
	v_add_f32_e32 v8, v20, v8
	s_delay_alu instid0(VALU_DEP_1) | instskip(NEXT) | instid1(VALU_DEP_1)
	v_cndmask_b32_e32 v8, v20, v8, vcc_lo
	v_add_f32_e32 v1, v1, v8
	s_delay_alu instid0(VALU_DEP_1) | instskip(SKIP_1) | instid1(VALU_DEP_1)
	v_cndmask_b32_e64 v1, v8, v1, s0
	s_mov_b32 s0, exec_lo
	v_add_f32_e32 v2, v2, v1
	s_delay_alu instid0(VALU_DEP_1) | instskip(NEXT) | instid1(VALU_DEP_1)
	v_cndmask_b32_e64 v1, v1, v2, s1
	v_add_f32_e32 v2, v3, v1
	s_delay_alu instid0(VALU_DEP_1) | instskip(NEXT) | instid1(VALU_DEP_1)
	v_cndmask_b32_e64 v1, v1, v2, s2
	;; [unrolled: 3-line block ×14, first 2 shown]
	v_mov_b32_dpp v2, v1 quad_perm:[1,0,3,2] row_mask:0xf bank_mask:0xf
	s_delay_alu instid0(VALU_DEP_1) | instskip(NEXT) | instid1(VALU_DEP_1)
	v_add_f32_e32 v1, v1, v2
	v_mov_b32_dpp v2, v1 quad_perm:[2,3,0,1] row_mask:0xf bank_mask:0xf
	s_delay_alu instid0(VALU_DEP_1) | instskip(NEXT) | instid1(VALU_DEP_1)
	v_add_f32_e32 v1, v1, v2
	v_mov_b32_dpp v2, v1 row_ror:4 row_mask:0xf bank_mask:0xf
	s_delay_alu instid0(VALU_DEP_1) | instskip(NEXT) | instid1(VALU_DEP_1)
	v_add_f32_e32 v1, v1, v2
	v_mov_b32_dpp v2, v1 row_ror:8 row_mask:0xf bank_mask:0xf
	s_delay_alu instid0(VALU_DEP_1)
	v_add_f32_e32 v1, v1, v2
	ds_swizzle_b32 v2, v1 offset:swizzle(BROADCAST,32,15)
	s_wait_dscnt 0x0
	v_dual_add_f32 v1, v1, v2 :: v_dual_mov_b32 v2, 0
	ds_bpermute_b32 v3, v2, v1 offset:124
	v_mbcnt_lo_u32_b32 v1, -1, 0
	s_delay_alu instid0(VALU_DEP_1)
	v_cmpx_eq_u32_e32 0, v1
	s_cbranch_execz .LBB51_41
; %bb.40:
	v_lshrrev_b32_e32 v2, 3, v0
	s_delay_alu instid0(VALU_DEP_1)
	v_and_b32_e32 v2, 28, v2
	s_wait_dscnt 0x0
	ds_store_b32 v2, v3
.LBB51_41:
	s_or_b32 exec_lo, exec_lo, s0
	s_delay_alu instid0(SALU_CYCLE_1)
	s_mov_b32 s0, exec_lo
	s_wait_dscnt 0x0
	s_barrier_signal -1
	s_barrier_wait -1
	v_cmpx_gt_u32_e32 32, v0
	s_cbranch_execz .LBB51_43
; %bb.42:
	v_and_b32_e32 v2, 7, v1
	s_delay_alu instid0(VALU_DEP_1) | instskip(SKIP_1) | instid1(VALU_DEP_1)
	v_cmp_ne_u32_e32 vcc_lo, 7, v2
	v_add_co_ci_u32_e64 v4, null, 0, v1, vcc_lo
	v_lshlrev_b32_e32 v4, 2, v4
	v_cmp_gt_u32_e32 vcc_lo, 6, v2
	v_lshlrev_b32_e32 v3, 2, v2
	v_cndmask_b32_e64 v2, 0, 2, vcc_lo
	s_delay_alu instid0(VALU_DEP_1)
	v_add_lshl_u32 v2, v2, v1, 2
	v_lshlrev_b32_e32 v1, 2, v1
	ds_load_b32 v3, v3
	v_or_b32_e32 v1, 16, v1
	s_wait_dscnt 0x0
	ds_bpermute_b32 v4, v4, v3
	s_wait_dscnt 0x0
	v_add_f32_e32 v3, v3, v4
	ds_bpermute_b32 v2, v2, v3
	s_wait_dscnt 0x0
	v_add_f32_e32 v2, v3, v2
	ds_bpermute_b32 v1, v1, v2
	s_wait_dscnt 0x0
	v_add_f32_e32 v3, v2, v1
.LBB51_43:
	s_or_b32 exec_lo, exec_lo, s0
	s_branch .LBB51_64
.LBB51_44:
	v_mov_b32_e32 v1, s15
	s_and_saveexec_b32 s0, s28
	s_cbranch_execnz .LBB51_67
	s_branch .LBB51_68
.LBB51_45:
                                        ; implicit-def: $vgpr3
	s_cbranch_execz .LBB51_64
; %bb.46:
	s_sub_co_i32 s2, s29, s22
	s_mov_b32 s0, exec_lo
                                        ; implicit-def: $vgpr2
	v_cmpx_gt_u32_e64 s2, v0
	s_cbranch_execz .LBB51_52
; %bb.47:
	v_add_nc_u32_e32 v1, s22, v0
	s_mov_b32 s1, exec_lo
	global_load_b32 v2, v1, s[16:17] scale_offset
	s_wait_xcnt 0x0
	v_add_nc_u32_e32 v1, 0x100, v1
	s_delay_alu instid0(VALU_DEP_1)
	v_cmpx_gt_i32_e64 s29, v1
	s_cbranch_execz .LBB51_51
; %bb.48:
	s_mov_b32 s3, 0
.LBB51_49:                              ; =>This Inner Loop Header: Depth=1
	global_load_b32 v3, v1, s[16:17] scale_offset
	s_wait_loadcnt 0x0
	v_dual_add_f32 v2, v2, v3 :: v_dual_add_nc_u32 v1, 0x100, v1
	s_delay_alu instid0(VALU_DEP_1) | instskip(SKIP_1) | instid1(SALU_CYCLE_1)
	v_cmp_le_i32_e32 vcc_lo, s29, v1
	s_or_b32 s3, vcc_lo, s3
	s_and_not1_b32 exec_lo, exec_lo, s3
	s_cbranch_execnz .LBB51_49
; %bb.50:
	s_or_b32 exec_lo, exec_lo, s3
.LBB51_51:
	s_delay_alu instid0(SALU_CYCLE_1)
	s_or_b32 exec_lo, exec_lo, s1
.LBB51_52:
	s_delay_alu instid0(SALU_CYCLE_1) | instskip(SKIP_3) | instid1(VALU_DEP_1)
	s_or_b32 exec_lo, exec_lo, s0
	v_mbcnt_lo_u32_b32 v1, -1, 0
	s_cmp_lt_u32 s2, 0x100
	s_mov_b32 s0, -1
                                        ; implicit-def: $vgpr3
	v_cmp_eq_u32_e32 vcc_lo, 0, v1
	s_cbranch_scc0 .LBB51_58
; %bb.53:
	v_cmp_ne_u32_e64 s0, 31, v1
	v_and_b32_e32 v4, 0xe0, v0
	v_cmp_gt_u32_e64 s1, 28, v1
	v_add_nc_u32_e32 v5, 1, v1
	s_delay_alu instid0(VALU_DEP_4) | instskip(SKIP_2) | instid1(VALU_DEP_3)
	v_add_co_ci_u32_e64 v3, null, 0, v1, s0
	v_cmp_gt_u32_e64 s0, 30, v1
	v_sub_nc_u32_e64 v7, s2, v4 clamp
	v_lshlrev_b32_e32 v3, 2, v3
	s_delay_alu instid0(VALU_DEP_3) | instskip(NEXT) | instid1(VALU_DEP_3)
	v_cndmask_b32_e64 v6, 0, 2, s0
	v_cmp_lt_u32_e64 s0, v5, v7
	v_cndmask_b32_e64 v5, 0, 4, s1
	s_wait_loadcnt 0x0
	ds_bpermute_b32 v3, v3, v2
	v_add_lshl_u32 v4, v6, v1, 2
	v_add_nc_u32_e32 v6, 2, v1
	v_add_lshl_u32 v5, v5, v1, 2
	s_delay_alu instid0(VALU_DEP_2) | instskip(SKIP_2) | instid1(VALU_DEP_1)
	v_cmp_lt_u32_e64 s1, v6, v7
	s_wait_dscnt 0x0
	v_dual_add_f32 v3, v2, v3 :: v_dual_add_nc_u32 v6, 4, v1
	v_cndmask_b32_e64 v3, v2, v3, s0
	ds_bpermute_b32 v4, v4, v3
	s_wait_dscnt 0x0
	v_add_f32_e32 v4, v3, v4
	s_delay_alu instid0(VALU_DEP_1) | instskip(SKIP_4) | instid1(VALU_DEP_2)
	v_cndmask_b32_e64 v3, v3, v4, s1
	v_cmp_gt_u32_e64 s1, 24, v1
	ds_bpermute_b32 v4, v5, v3
	v_cndmask_b32_e64 v5, 0, 8, s1
	v_cmp_lt_u32_e64 s1, v6, v7
	v_add_lshl_u32 v5, v5, v1, 2
	s_wait_dscnt 0x0
	v_add_f32_e32 v4, v3, v4
	s_delay_alu instid0(VALU_DEP_1) | instskip(SKIP_2) | instid1(VALU_DEP_1)
	v_cndmask_b32_e64 v3, v3, v4, s1
	ds_bpermute_b32 v4, v5, v3
	v_add_nc_u32_e32 v5, 8, v1
	v_cmp_lt_u32_e64 s1, v5, v7
	s_wait_dscnt 0x0
	v_dual_add_f32 v6, v3, v4 :: v_dual_lshlrev_b32 v4, 2, v1
	s_delay_alu instid0(VALU_DEP_1)
	v_dual_cndmask_b32 v3, v3, v6, s1 :: v_dual_bitop2_b32 v5, 64, v4 bitop3:0x54
	v_add_nc_u32_e32 v6, 16, v1
	ds_bpermute_b32 v5, v5, v3
	v_cmp_lt_u32_e64 s1, v6, v7
	s_wait_dscnt 0x0
	v_add_f32_e32 v5, v3, v5
	s_delay_alu instid0(VALU_DEP_1) | instskip(NEXT) | instid1(VALU_DEP_1)
	v_cndmask_b32_e64 v3, v3, v5, s1
	v_cndmask_b32_e64 v3, v2, v3, s0
	s_and_saveexec_b32 s0, vcc_lo
; %bb.54:
	v_lshrrev_b32_e32 v5, 3, v0
	s_delay_alu instid0(VALU_DEP_1)
	v_and_b32_e32 v5, 28, v5
	ds_store_b32 v5, v3
; %bb.55:
	s_or_b32 exec_lo, exec_lo, s0
	s_delay_alu instid0(SALU_CYCLE_1)
	s_mov_b32 s1, exec_lo
	s_wait_dscnt 0x0
	s_barrier_signal -1
	s_barrier_wait -1
	v_cmpx_gt_u32_e32 8, v0
	s_cbranch_execz .LBB51_57
; %bb.56:
	ds_load_b32 v3, v4
	v_and_b32_e32 v5, 7, v1
	s_add_co_i32 s2, s2, 31
	v_or_b32_e32 v4, 16, v4
	s_lshr_b32 s2, s2, 5
	s_delay_alu instid0(VALU_DEP_2) | instskip(SKIP_1) | instid1(VALU_DEP_1)
	v_cmp_ne_u32_e32 vcc_lo, 7, v5
	v_add_co_ci_u32_e64 v6, null, 0, v1, vcc_lo
	v_lshlrev_b32_e32 v6, 2, v6
	v_cmp_gt_u32_e32 vcc_lo, 6, v5
	s_wait_dscnt 0x0
	ds_bpermute_b32 v6, v6, v3
	v_add_nc_u32_e32 v8, 1, v5
	v_cndmask_b32_e64 v7, 0, 2, vcc_lo
	s_delay_alu instid0(VALU_DEP_1) | instskip(SKIP_4) | instid1(VALU_DEP_3)
	v_add_lshl_u32 v7, v7, v1, 2
	s_wait_dscnt 0x0
	v_add_f32_e32 v6, v3, v6
	v_cmp_gt_u32_e32 vcc_lo, s2, v8
	v_dual_add_nc_u32 v8, 2, v5 :: v_dual_add_nc_u32 v5, 4, v5
	v_cndmask_b32_e32 v6, v3, v6, vcc_lo
	s_delay_alu instid0(VALU_DEP_2) | instskip(SKIP_3) | instid1(VALU_DEP_1)
	v_cmp_gt_u32_e64 s0, s2, v8
	ds_bpermute_b32 v7, v7, v6
	s_wait_dscnt 0x0
	v_add_f32_e32 v7, v6, v7
	v_cndmask_b32_e64 v6, v6, v7, s0
	v_cmp_gt_u32_e64 s0, s2, v5
	ds_bpermute_b32 v4, v4, v6
	s_wait_dscnt 0x0
	v_add_f32_e32 v4, v6, v4
	s_delay_alu instid0(VALU_DEP_1) | instskip(NEXT) | instid1(VALU_DEP_1)
	v_cndmask_b32_e64 v4, v6, v4, s0
	v_cndmask_b32_e32 v3, v3, v4, vcc_lo
.LBB51_57:
	s_or_b32 exec_lo, exec_lo, s1
	s_mov_b32 s0, 0
.LBB51_58:
	s_delay_alu instid0(SALU_CYCLE_1)
	s_and_b32 vcc_lo, exec_lo, s0
	s_cbranch_vccz .LBB51_64
; %bb.59:
	s_wait_loadcnt 0x0
	v_mov_b32_dpp v3, v2 quad_perm:[1,0,3,2] row_mask:0xf bank_mask:0xf
	s_mov_b32 s0, exec_lo
	s_delay_alu instid0(VALU_DEP_1) | instskip(NEXT) | instid1(VALU_DEP_1)
	v_add_f32_e32 v2, v2, v3
	v_mov_b32_dpp v3, v2 quad_perm:[2,3,0,1] row_mask:0xf bank_mask:0xf
	s_delay_alu instid0(VALU_DEP_1) | instskip(NEXT) | instid1(VALU_DEP_1)
	v_add_f32_e32 v2, v2, v3
	v_mov_b32_dpp v3, v2 row_ror:4 row_mask:0xf bank_mask:0xf
	s_delay_alu instid0(VALU_DEP_1) | instskip(NEXT) | instid1(VALU_DEP_1)
	v_add_f32_e32 v2, v2, v3
	v_mov_b32_dpp v3, v2 row_ror:8 row_mask:0xf bank_mask:0xf
	s_delay_alu instid0(VALU_DEP_1)
	v_add_f32_e32 v2, v2, v3
	ds_swizzle_b32 v3, v2 offset:swizzle(BROADCAST,32,15)
	s_wait_dscnt 0x0
	v_dual_add_f32 v2, v2, v3 :: v_dual_mov_b32 v3, 0
	ds_bpermute_b32 v3, v3, v2 offset:124
	v_cmpx_eq_u32_e32 0, v1
	s_cbranch_execz .LBB51_61
; %bb.60:
	v_lshrrev_b32_e32 v2, 3, v0
	s_delay_alu instid0(VALU_DEP_1)
	v_and_b32_e32 v2, 28, v2
	s_wait_dscnt 0x0
	ds_store_b32 v2, v3
.LBB51_61:
	s_or_b32 exec_lo, exec_lo, s0
	s_delay_alu instid0(SALU_CYCLE_1)
	s_mov_b32 s0, exec_lo
	s_wait_dscnt 0x0
	s_barrier_signal -1
	s_barrier_wait -1
	v_cmpx_gt_u32_e32 32, v0
	s_cbranch_execz .LBB51_63
; %bb.62:
	v_and_b32_e32 v2, 7, v1
	s_delay_alu instid0(VALU_DEP_1) | instskip(SKIP_1) | instid1(VALU_DEP_1)
	v_cmp_ne_u32_e32 vcc_lo, 7, v2
	v_add_co_ci_u32_e64 v4, null, 0, v1, vcc_lo
	v_lshlrev_b32_e32 v4, 2, v4
	v_cmp_gt_u32_e32 vcc_lo, 6, v2
	v_lshlrev_b32_e32 v3, 2, v2
	v_cndmask_b32_e64 v2, 0, 2, vcc_lo
	s_delay_alu instid0(VALU_DEP_1)
	v_add_lshl_u32 v2, v2, v1, 2
	v_lshlrev_b32_e32 v1, 2, v1
	ds_load_b32 v3, v3
	v_or_b32_e32 v1, 16, v1
	s_wait_dscnt 0x0
	ds_bpermute_b32 v4, v4, v3
	s_wait_dscnt 0x0
	v_add_f32_e32 v3, v3, v4
	ds_bpermute_b32 v2, v2, v3
	s_wait_dscnt 0x0
	v_add_f32_e32 v2, v3, v2
	;; [unrolled: 3-line block ×3, first 2 shown]
.LBB51_63:
	s_or_b32 exec_lo, exec_lo, s0
.LBB51_64:
	s_delay_alu instid0(SALU_CYCLE_1)
	s_mov_b32 s0, exec_lo
                                        ; implicit-def: $vgpr1
	v_cmpx_eq_u32_e32 0, v0
; %bb.65:
	s_delay_alu instid0(VALU_DEP_2)
	v_add_f32_e32 v1, s15, v3
	s_or_b32 s28, s28, exec_lo
; %bb.66:
	s_or_b32 exec_lo, exec_lo, s0
	s_and_saveexec_b32 s0, s28
	s_cbranch_execz .LBB51_68
.LBB51_67:
	v_mov_b32_e32 v0, 0
	s_add_nc_u64 s[0:1], s[18:19], s[24:25]
	s_lshl_b64 s[2:3], s[20:21], 2
	s_delay_alu instid0(SALU_CYCLE_1)
	s_add_nc_u64 s[0:1], s[0:1], s[2:3]
	global_store_b32 v0, v1, s[0:1]
.LBB51_68:
	s_endpgm
	.section	.rodata,"a",@progbits
	.p2align	6, 0x0
	.amdhsa_kernel _ZN7rocprim17ROCPRIM_400000_NS6detail17trampoline_kernelINS0_14default_configENS1_32segmented_reduce_config_selectorIfEEZNS1_21segmented_reduce_implIS3_PKfPfPKifN6hipcub16HIPCUB_304000_NS6detail27convert_result_type_wrapperIS8_S9_N2at6native12_GLOBAL__N_19CustomSumEEEEE10hipError_tPvRmT0_T1_jT2_SQ_T4_T3_P12ihipStream_tbEUlT_E_NS1_11comp_targetILNS1_3genE0ELNS1_11target_archE4294967295ELNS1_3gpuE0ELNS1_3repE0EEENS1_30default_config_static_selectorELNS0_4arch9wavefront6targetE0EEEvSP_
		.amdhsa_group_segment_fixed_size 32
		.amdhsa_private_segment_fixed_size 0
		.amdhsa_kernarg_size 48
		.amdhsa_user_sgpr_count 2
		.amdhsa_user_sgpr_dispatch_ptr 0
		.amdhsa_user_sgpr_queue_ptr 0
		.amdhsa_user_sgpr_kernarg_segment_ptr 1
		.amdhsa_user_sgpr_dispatch_id 0
		.amdhsa_user_sgpr_kernarg_preload_length 0
		.amdhsa_user_sgpr_kernarg_preload_offset 0
		.amdhsa_user_sgpr_private_segment_size 0
		.amdhsa_wavefront_size32 1
		.amdhsa_uses_dynamic_stack 0
		.amdhsa_enable_private_segment 0
		.amdhsa_system_sgpr_workgroup_id_x 1
		.amdhsa_system_sgpr_workgroup_id_y 0
		.amdhsa_system_sgpr_workgroup_id_z 0
		.amdhsa_system_sgpr_workgroup_info 0
		.amdhsa_system_vgpr_workitem_id 0
		.amdhsa_next_free_vgpr 24
		.amdhsa_next_free_sgpr 30
		.amdhsa_named_barrier_count 0
		.amdhsa_reserve_vcc 1
		.amdhsa_float_round_mode_32 0
		.amdhsa_float_round_mode_16_64 0
		.amdhsa_float_denorm_mode_32 3
		.amdhsa_float_denorm_mode_16_64 3
		.amdhsa_fp16_overflow 0
		.amdhsa_memory_ordered 1
		.amdhsa_forward_progress 1
		.amdhsa_inst_pref_size 27
		.amdhsa_round_robin_scheduling 0
		.amdhsa_exception_fp_ieee_invalid_op 0
		.amdhsa_exception_fp_denorm_src 0
		.amdhsa_exception_fp_ieee_div_zero 0
		.amdhsa_exception_fp_ieee_overflow 0
		.amdhsa_exception_fp_ieee_underflow 0
		.amdhsa_exception_fp_ieee_inexact 0
		.amdhsa_exception_int_div_zero 0
	.end_amdhsa_kernel
	.section	.text._ZN7rocprim17ROCPRIM_400000_NS6detail17trampoline_kernelINS0_14default_configENS1_32segmented_reduce_config_selectorIfEEZNS1_21segmented_reduce_implIS3_PKfPfPKifN6hipcub16HIPCUB_304000_NS6detail27convert_result_type_wrapperIS8_S9_N2at6native12_GLOBAL__N_19CustomSumEEEEE10hipError_tPvRmT0_T1_jT2_SQ_T4_T3_P12ihipStream_tbEUlT_E_NS1_11comp_targetILNS1_3genE0ELNS1_11target_archE4294967295ELNS1_3gpuE0ELNS1_3repE0EEENS1_30default_config_static_selectorELNS0_4arch9wavefront6targetE0EEEvSP_,"axG",@progbits,_ZN7rocprim17ROCPRIM_400000_NS6detail17trampoline_kernelINS0_14default_configENS1_32segmented_reduce_config_selectorIfEEZNS1_21segmented_reduce_implIS3_PKfPfPKifN6hipcub16HIPCUB_304000_NS6detail27convert_result_type_wrapperIS8_S9_N2at6native12_GLOBAL__N_19CustomSumEEEEE10hipError_tPvRmT0_T1_jT2_SQ_T4_T3_P12ihipStream_tbEUlT_E_NS1_11comp_targetILNS1_3genE0ELNS1_11target_archE4294967295ELNS1_3gpuE0ELNS1_3repE0EEENS1_30default_config_static_selectorELNS0_4arch9wavefront6targetE0EEEvSP_,comdat
.Lfunc_end51:
	.size	_ZN7rocprim17ROCPRIM_400000_NS6detail17trampoline_kernelINS0_14default_configENS1_32segmented_reduce_config_selectorIfEEZNS1_21segmented_reduce_implIS3_PKfPfPKifN6hipcub16HIPCUB_304000_NS6detail27convert_result_type_wrapperIS8_S9_N2at6native12_GLOBAL__N_19CustomSumEEEEE10hipError_tPvRmT0_T1_jT2_SQ_T4_T3_P12ihipStream_tbEUlT_E_NS1_11comp_targetILNS1_3genE0ELNS1_11target_archE4294967295ELNS1_3gpuE0ELNS1_3repE0EEENS1_30default_config_static_selectorELNS0_4arch9wavefront6targetE0EEEvSP_, .Lfunc_end51-_ZN7rocprim17ROCPRIM_400000_NS6detail17trampoline_kernelINS0_14default_configENS1_32segmented_reduce_config_selectorIfEEZNS1_21segmented_reduce_implIS3_PKfPfPKifN6hipcub16HIPCUB_304000_NS6detail27convert_result_type_wrapperIS8_S9_N2at6native12_GLOBAL__N_19CustomSumEEEEE10hipError_tPvRmT0_T1_jT2_SQ_T4_T3_P12ihipStream_tbEUlT_E_NS1_11comp_targetILNS1_3genE0ELNS1_11target_archE4294967295ELNS1_3gpuE0ELNS1_3repE0EEENS1_30default_config_static_selectorELNS0_4arch9wavefront6targetE0EEEvSP_
                                        ; -- End function
	.set _ZN7rocprim17ROCPRIM_400000_NS6detail17trampoline_kernelINS0_14default_configENS1_32segmented_reduce_config_selectorIfEEZNS1_21segmented_reduce_implIS3_PKfPfPKifN6hipcub16HIPCUB_304000_NS6detail27convert_result_type_wrapperIS8_S9_N2at6native12_GLOBAL__N_19CustomSumEEEEE10hipError_tPvRmT0_T1_jT2_SQ_T4_T3_P12ihipStream_tbEUlT_E_NS1_11comp_targetILNS1_3genE0ELNS1_11target_archE4294967295ELNS1_3gpuE0ELNS1_3repE0EEENS1_30default_config_static_selectorELNS0_4arch9wavefront6targetE0EEEvSP_.num_vgpr, 24
	.set _ZN7rocprim17ROCPRIM_400000_NS6detail17trampoline_kernelINS0_14default_configENS1_32segmented_reduce_config_selectorIfEEZNS1_21segmented_reduce_implIS3_PKfPfPKifN6hipcub16HIPCUB_304000_NS6detail27convert_result_type_wrapperIS8_S9_N2at6native12_GLOBAL__N_19CustomSumEEEEE10hipError_tPvRmT0_T1_jT2_SQ_T4_T3_P12ihipStream_tbEUlT_E_NS1_11comp_targetILNS1_3genE0ELNS1_11target_archE4294967295ELNS1_3gpuE0ELNS1_3repE0EEENS1_30default_config_static_selectorELNS0_4arch9wavefront6targetE0EEEvSP_.num_agpr, 0
	.set _ZN7rocprim17ROCPRIM_400000_NS6detail17trampoline_kernelINS0_14default_configENS1_32segmented_reduce_config_selectorIfEEZNS1_21segmented_reduce_implIS3_PKfPfPKifN6hipcub16HIPCUB_304000_NS6detail27convert_result_type_wrapperIS8_S9_N2at6native12_GLOBAL__N_19CustomSumEEEEE10hipError_tPvRmT0_T1_jT2_SQ_T4_T3_P12ihipStream_tbEUlT_E_NS1_11comp_targetILNS1_3genE0ELNS1_11target_archE4294967295ELNS1_3gpuE0ELNS1_3repE0EEENS1_30default_config_static_selectorELNS0_4arch9wavefront6targetE0EEEvSP_.numbered_sgpr, 30
	.set _ZN7rocprim17ROCPRIM_400000_NS6detail17trampoline_kernelINS0_14default_configENS1_32segmented_reduce_config_selectorIfEEZNS1_21segmented_reduce_implIS3_PKfPfPKifN6hipcub16HIPCUB_304000_NS6detail27convert_result_type_wrapperIS8_S9_N2at6native12_GLOBAL__N_19CustomSumEEEEE10hipError_tPvRmT0_T1_jT2_SQ_T4_T3_P12ihipStream_tbEUlT_E_NS1_11comp_targetILNS1_3genE0ELNS1_11target_archE4294967295ELNS1_3gpuE0ELNS1_3repE0EEENS1_30default_config_static_selectorELNS0_4arch9wavefront6targetE0EEEvSP_.num_named_barrier, 0
	.set _ZN7rocprim17ROCPRIM_400000_NS6detail17trampoline_kernelINS0_14default_configENS1_32segmented_reduce_config_selectorIfEEZNS1_21segmented_reduce_implIS3_PKfPfPKifN6hipcub16HIPCUB_304000_NS6detail27convert_result_type_wrapperIS8_S9_N2at6native12_GLOBAL__N_19CustomSumEEEEE10hipError_tPvRmT0_T1_jT2_SQ_T4_T3_P12ihipStream_tbEUlT_E_NS1_11comp_targetILNS1_3genE0ELNS1_11target_archE4294967295ELNS1_3gpuE0ELNS1_3repE0EEENS1_30default_config_static_selectorELNS0_4arch9wavefront6targetE0EEEvSP_.private_seg_size, 0
	.set _ZN7rocprim17ROCPRIM_400000_NS6detail17trampoline_kernelINS0_14default_configENS1_32segmented_reduce_config_selectorIfEEZNS1_21segmented_reduce_implIS3_PKfPfPKifN6hipcub16HIPCUB_304000_NS6detail27convert_result_type_wrapperIS8_S9_N2at6native12_GLOBAL__N_19CustomSumEEEEE10hipError_tPvRmT0_T1_jT2_SQ_T4_T3_P12ihipStream_tbEUlT_E_NS1_11comp_targetILNS1_3genE0ELNS1_11target_archE4294967295ELNS1_3gpuE0ELNS1_3repE0EEENS1_30default_config_static_selectorELNS0_4arch9wavefront6targetE0EEEvSP_.uses_vcc, 1
	.set _ZN7rocprim17ROCPRIM_400000_NS6detail17trampoline_kernelINS0_14default_configENS1_32segmented_reduce_config_selectorIfEEZNS1_21segmented_reduce_implIS3_PKfPfPKifN6hipcub16HIPCUB_304000_NS6detail27convert_result_type_wrapperIS8_S9_N2at6native12_GLOBAL__N_19CustomSumEEEEE10hipError_tPvRmT0_T1_jT2_SQ_T4_T3_P12ihipStream_tbEUlT_E_NS1_11comp_targetILNS1_3genE0ELNS1_11target_archE4294967295ELNS1_3gpuE0ELNS1_3repE0EEENS1_30default_config_static_selectorELNS0_4arch9wavefront6targetE0EEEvSP_.uses_flat_scratch, 0
	.set _ZN7rocprim17ROCPRIM_400000_NS6detail17trampoline_kernelINS0_14default_configENS1_32segmented_reduce_config_selectorIfEEZNS1_21segmented_reduce_implIS3_PKfPfPKifN6hipcub16HIPCUB_304000_NS6detail27convert_result_type_wrapperIS8_S9_N2at6native12_GLOBAL__N_19CustomSumEEEEE10hipError_tPvRmT0_T1_jT2_SQ_T4_T3_P12ihipStream_tbEUlT_E_NS1_11comp_targetILNS1_3genE0ELNS1_11target_archE4294967295ELNS1_3gpuE0ELNS1_3repE0EEENS1_30default_config_static_selectorELNS0_4arch9wavefront6targetE0EEEvSP_.has_dyn_sized_stack, 0
	.set _ZN7rocprim17ROCPRIM_400000_NS6detail17trampoline_kernelINS0_14default_configENS1_32segmented_reduce_config_selectorIfEEZNS1_21segmented_reduce_implIS3_PKfPfPKifN6hipcub16HIPCUB_304000_NS6detail27convert_result_type_wrapperIS8_S9_N2at6native12_GLOBAL__N_19CustomSumEEEEE10hipError_tPvRmT0_T1_jT2_SQ_T4_T3_P12ihipStream_tbEUlT_E_NS1_11comp_targetILNS1_3genE0ELNS1_11target_archE4294967295ELNS1_3gpuE0ELNS1_3repE0EEENS1_30default_config_static_selectorELNS0_4arch9wavefront6targetE0EEEvSP_.has_recursion, 0
	.set _ZN7rocprim17ROCPRIM_400000_NS6detail17trampoline_kernelINS0_14default_configENS1_32segmented_reduce_config_selectorIfEEZNS1_21segmented_reduce_implIS3_PKfPfPKifN6hipcub16HIPCUB_304000_NS6detail27convert_result_type_wrapperIS8_S9_N2at6native12_GLOBAL__N_19CustomSumEEEEE10hipError_tPvRmT0_T1_jT2_SQ_T4_T3_P12ihipStream_tbEUlT_E_NS1_11comp_targetILNS1_3genE0ELNS1_11target_archE4294967295ELNS1_3gpuE0ELNS1_3repE0EEENS1_30default_config_static_selectorELNS0_4arch9wavefront6targetE0EEEvSP_.has_indirect_call, 0
	.section	.AMDGPU.csdata,"",@progbits
; Kernel info:
; codeLenInByte = 3432
; TotalNumSgprs: 32
; NumVgprs: 24
; ScratchSize: 0
; MemoryBound: 0
; FloatMode: 240
; IeeeMode: 1
; LDSByteSize: 32 bytes/workgroup (compile time only)
; SGPRBlocks: 0
; VGPRBlocks: 1
; NumSGPRsForWavesPerEU: 32
; NumVGPRsForWavesPerEU: 24
; NamedBarCnt: 0
; Occupancy: 16
; WaveLimiterHint : 1
; COMPUTE_PGM_RSRC2:SCRATCH_EN: 0
; COMPUTE_PGM_RSRC2:USER_SGPR: 2
; COMPUTE_PGM_RSRC2:TRAP_HANDLER: 0
; COMPUTE_PGM_RSRC2:TGID_X_EN: 1
; COMPUTE_PGM_RSRC2:TGID_Y_EN: 0
; COMPUTE_PGM_RSRC2:TGID_Z_EN: 0
; COMPUTE_PGM_RSRC2:TIDIG_COMP_CNT: 0
	.section	.text._ZN7rocprim17ROCPRIM_400000_NS6detail17trampoline_kernelINS0_14default_configENS1_32segmented_reduce_config_selectorIfEEZNS1_21segmented_reduce_implIS3_PKfPfPKifN6hipcub16HIPCUB_304000_NS6detail27convert_result_type_wrapperIS8_S9_N2at6native12_GLOBAL__N_19CustomSumEEEEE10hipError_tPvRmT0_T1_jT2_SQ_T4_T3_P12ihipStream_tbEUlT_E_NS1_11comp_targetILNS1_3genE5ELNS1_11target_archE942ELNS1_3gpuE9ELNS1_3repE0EEENS1_30default_config_static_selectorELNS0_4arch9wavefront6targetE0EEEvSP_,"axG",@progbits,_ZN7rocprim17ROCPRIM_400000_NS6detail17trampoline_kernelINS0_14default_configENS1_32segmented_reduce_config_selectorIfEEZNS1_21segmented_reduce_implIS3_PKfPfPKifN6hipcub16HIPCUB_304000_NS6detail27convert_result_type_wrapperIS8_S9_N2at6native12_GLOBAL__N_19CustomSumEEEEE10hipError_tPvRmT0_T1_jT2_SQ_T4_T3_P12ihipStream_tbEUlT_E_NS1_11comp_targetILNS1_3genE5ELNS1_11target_archE942ELNS1_3gpuE9ELNS1_3repE0EEENS1_30default_config_static_selectorELNS0_4arch9wavefront6targetE0EEEvSP_,comdat
	.globl	_ZN7rocprim17ROCPRIM_400000_NS6detail17trampoline_kernelINS0_14default_configENS1_32segmented_reduce_config_selectorIfEEZNS1_21segmented_reduce_implIS3_PKfPfPKifN6hipcub16HIPCUB_304000_NS6detail27convert_result_type_wrapperIS8_S9_N2at6native12_GLOBAL__N_19CustomSumEEEEE10hipError_tPvRmT0_T1_jT2_SQ_T4_T3_P12ihipStream_tbEUlT_E_NS1_11comp_targetILNS1_3genE5ELNS1_11target_archE942ELNS1_3gpuE9ELNS1_3repE0EEENS1_30default_config_static_selectorELNS0_4arch9wavefront6targetE0EEEvSP_ ; -- Begin function _ZN7rocprim17ROCPRIM_400000_NS6detail17trampoline_kernelINS0_14default_configENS1_32segmented_reduce_config_selectorIfEEZNS1_21segmented_reduce_implIS3_PKfPfPKifN6hipcub16HIPCUB_304000_NS6detail27convert_result_type_wrapperIS8_S9_N2at6native12_GLOBAL__N_19CustomSumEEEEE10hipError_tPvRmT0_T1_jT2_SQ_T4_T3_P12ihipStream_tbEUlT_E_NS1_11comp_targetILNS1_3genE5ELNS1_11target_archE942ELNS1_3gpuE9ELNS1_3repE0EEENS1_30default_config_static_selectorELNS0_4arch9wavefront6targetE0EEEvSP_
	.p2align	8
	.type	_ZN7rocprim17ROCPRIM_400000_NS6detail17trampoline_kernelINS0_14default_configENS1_32segmented_reduce_config_selectorIfEEZNS1_21segmented_reduce_implIS3_PKfPfPKifN6hipcub16HIPCUB_304000_NS6detail27convert_result_type_wrapperIS8_S9_N2at6native12_GLOBAL__N_19CustomSumEEEEE10hipError_tPvRmT0_T1_jT2_SQ_T4_T3_P12ihipStream_tbEUlT_E_NS1_11comp_targetILNS1_3genE5ELNS1_11target_archE942ELNS1_3gpuE9ELNS1_3repE0EEENS1_30default_config_static_selectorELNS0_4arch9wavefront6targetE0EEEvSP_,@function
_ZN7rocprim17ROCPRIM_400000_NS6detail17trampoline_kernelINS0_14default_configENS1_32segmented_reduce_config_selectorIfEEZNS1_21segmented_reduce_implIS3_PKfPfPKifN6hipcub16HIPCUB_304000_NS6detail27convert_result_type_wrapperIS8_S9_N2at6native12_GLOBAL__N_19CustomSumEEEEE10hipError_tPvRmT0_T1_jT2_SQ_T4_T3_P12ihipStream_tbEUlT_E_NS1_11comp_targetILNS1_3genE5ELNS1_11target_archE942ELNS1_3gpuE9ELNS1_3repE0EEENS1_30default_config_static_selectorELNS0_4arch9wavefront6targetE0EEEvSP_: ; @_ZN7rocprim17ROCPRIM_400000_NS6detail17trampoline_kernelINS0_14default_configENS1_32segmented_reduce_config_selectorIfEEZNS1_21segmented_reduce_implIS3_PKfPfPKifN6hipcub16HIPCUB_304000_NS6detail27convert_result_type_wrapperIS8_S9_N2at6native12_GLOBAL__N_19CustomSumEEEEE10hipError_tPvRmT0_T1_jT2_SQ_T4_T3_P12ihipStream_tbEUlT_E_NS1_11comp_targetILNS1_3genE5ELNS1_11target_archE942ELNS1_3gpuE9ELNS1_3repE0EEENS1_30default_config_static_selectorELNS0_4arch9wavefront6targetE0EEEvSP_
; %bb.0:
	.section	.rodata,"a",@progbits
	.p2align	6, 0x0
	.amdhsa_kernel _ZN7rocprim17ROCPRIM_400000_NS6detail17trampoline_kernelINS0_14default_configENS1_32segmented_reduce_config_selectorIfEEZNS1_21segmented_reduce_implIS3_PKfPfPKifN6hipcub16HIPCUB_304000_NS6detail27convert_result_type_wrapperIS8_S9_N2at6native12_GLOBAL__N_19CustomSumEEEEE10hipError_tPvRmT0_T1_jT2_SQ_T4_T3_P12ihipStream_tbEUlT_E_NS1_11comp_targetILNS1_3genE5ELNS1_11target_archE942ELNS1_3gpuE9ELNS1_3repE0EEENS1_30default_config_static_selectorELNS0_4arch9wavefront6targetE0EEEvSP_
		.amdhsa_group_segment_fixed_size 0
		.amdhsa_private_segment_fixed_size 0
		.amdhsa_kernarg_size 48
		.amdhsa_user_sgpr_count 2
		.amdhsa_user_sgpr_dispatch_ptr 0
		.amdhsa_user_sgpr_queue_ptr 0
		.amdhsa_user_sgpr_kernarg_segment_ptr 1
		.amdhsa_user_sgpr_dispatch_id 0
		.amdhsa_user_sgpr_kernarg_preload_length 0
		.amdhsa_user_sgpr_kernarg_preload_offset 0
		.amdhsa_user_sgpr_private_segment_size 0
		.amdhsa_wavefront_size32 1
		.amdhsa_uses_dynamic_stack 0
		.amdhsa_enable_private_segment 0
		.amdhsa_system_sgpr_workgroup_id_x 1
		.amdhsa_system_sgpr_workgroup_id_y 0
		.amdhsa_system_sgpr_workgroup_id_z 0
		.amdhsa_system_sgpr_workgroup_info 0
		.amdhsa_system_vgpr_workitem_id 0
		.amdhsa_next_free_vgpr 1
		.amdhsa_next_free_sgpr 1
		.amdhsa_named_barrier_count 0
		.amdhsa_reserve_vcc 0
		.amdhsa_float_round_mode_32 0
		.amdhsa_float_round_mode_16_64 0
		.amdhsa_float_denorm_mode_32 3
		.amdhsa_float_denorm_mode_16_64 3
		.amdhsa_fp16_overflow 0
		.amdhsa_memory_ordered 1
		.amdhsa_forward_progress 1
		.amdhsa_inst_pref_size 0
		.amdhsa_round_robin_scheduling 0
		.amdhsa_exception_fp_ieee_invalid_op 0
		.amdhsa_exception_fp_denorm_src 0
		.amdhsa_exception_fp_ieee_div_zero 0
		.amdhsa_exception_fp_ieee_overflow 0
		.amdhsa_exception_fp_ieee_underflow 0
		.amdhsa_exception_fp_ieee_inexact 0
		.amdhsa_exception_int_div_zero 0
	.end_amdhsa_kernel
	.section	.text._ZN7rocprim17ROCPRIM_400000_NS6detail17trampoline_kernelINS0_14default_configENS1_32segmented_reduce_config_selectorIfEEZNS1_21segmented_reduce_implIS3_PKfPfPKifN6hipcub16HIPCUB_304000_NS6detail27convert_result_type_wrapperIS8_S9_N2at6native12_GLOBAL__N_19CustomSumEEEEE10hipError_tPvRmT0_T1_jT2_SQ_T4_T3_P12ihipStream_tbEUlT_E_NS1_11comp_targetILNS1_3genE5ELNS1_11target_archE942ELNS1_3gpuE9ELNS1_3repE0EEENS1_30default_config_static_selectorELNS0_4arch9wavefront6targetE0EEEvSP_,"axG",@progbits,_ZN7rocprim17ROCPRIM_400000_NS6detail17trampoline_kernelINS0_14default_configENS1_32segmented_reduce_config_selectorIfEEZNS1_21segmented_reduce_implIS3_PKfPfPKifN6hipcub16HIPCUB_304000_NS6detail27convert_result_type_wrapperIS8_S9_N2at6native12_GLOBAL__N_19CustomSumEEEEE10hipError_tPvRmT0_T1_jT2_SQ_T4_T3_P12ihipStream_tbEUlT_E_NS1_11comp_targetILNS1_3genE5ELNS1_11target_archE942ELNS1_3gpuE9ELNS1_3repE0EEENS1_30default_config_static_selectorELNS0_4arch9wavefront6targetE0EEEvSP_,comdat
.Lfunc_end52:
	.size	_ZN7rocprim17ROCPRIM_400000_NS6detail17trampoline_kernelINS0_14default_configENS1_32segmented_reduce_config_selectorIfEEZNS1_21segmented_reduce_implIS3_PKfPfPKifN6hipcub16HIPCUB_304000_NS6detail27convert_result_type_wrapperIS8_S9_N2at6native12_GLOBAL__N_19CustomSumEEEEE10hipError_tPvRmT0_T1_jT2_SQ_T4_T3_P12ihipStream_tbEUlT_E_NS1_11comp_targetILNS1_3genE5ELNS1_11target_archE942ELNS1_3gpuE9ELNS1_3repE0EEENS1_30default_config_static_selectorELNS0_4arch9wavefront6targetE0EEEvSP_, .Lfunc_end52-_ZN7rocprim17ROCPRIM_400000_NS6detail17trampoline_kernelINS0_14default_configENS1_32segmented_reduce_config_selectorIfEEZNS1_21segmented_reduce_implIS3_PKfPfPKifN6hipcub16HIPCUB_304000_NS6detail27convert_result_type_wrapperIS8_S9_N2at6native12_GLOBAL__N_19CustomSumEEEEE10hipError_tPvRmT0_T1_jT2_SQ_T4_T3_P12ihipStream_tbEUlT_E_NS1_11comp_targetILNS1_3genE5ELNS1_11target_archE942ELNS1_3gpuE9ELNS1_3repE0EEENS1_30default_config_static_selectorELNS0_4arch9wavefront6targetE0EEEvSP_
                                        ; -- End function
	.set _ZN7rocprim17ROCPRIM_400000_NS6detail17trampoline_kernelINS0_14default_configENS1_32segmented_reduce_config_selectorIfEEZNS1_21segmented_reduce_implIS3_PKfPfPKifN6hipcub16HIPCUB_304000_NS6detail27convert_result_type_wrapperIS8_S9_N2at6native12_GLOBAL__N_19CustomSumEEEEE10hipError_tPvRmT0_T1_jT2_SQ_T4_T3_P12ihipStream_tbEUlT_E_NS1_11comp_targetILNS1_3genE5ELNS1_11target_archE942ELNS1_3gpuE9ELNS1_3repE0EEENS1_30default_config_static_selectorELNS0_4arch9wavefront6targetE0EEEvSP_.num_vgpr, 0
	.set _ZN7rocprim17ROCPRIM_400000_NS6detail17trampoline_kernelINS0_14default_configENS1_32segmented_reduce_config_selectorIfEEZNS1_21segmented_reduce_implIS3_PKfPfPKifN6hipcub16HIPCUB_304000_NS6detail27convert_result_type_wrapperIS8_S9_N2at6native12_GLOBAL__N_19CustomSumEEEEE10hipError_tPvRmT0_T1_jT2_SQ_T4_T3_P12ihipStream_tbEUlT_E_NS1_11comp_targetILNS1_3genE5ELNS1_11target_archE942ELNS1_3gpuE9ELNS1_3repE0EEENS1_30default_config_static_selectorELNS0_4arch9wavefront6targetE0EEEvSP_.num_agpr, 0
	.set _ZN7rocprim17ROCPRIM_400000_NS6detail17trampoline_kernelINS0_14default_configENS1_32segmented_reduce_config_selectorIfEEZNS1_21segmented_reduce_implIS3_PKfPfPKifN6hipcub16HIPCUB_304000_NS6detail27convert_result_type_wrapperIS8_S9_N2at6native12_GLOBAL__N_19CustomSumEEEEE10hipError_tPvRmT0_T1_jT2_SQ_T4_T3_P12ihipStream_tbEUlT_E_NS1_11comp_targetILNS1_3genE5ELNS1_11target_archE942ELNS1_3gpuE9ELNS1_3repE0EEENS1_30default_config_static_selectorELNS0_4arch9wavefront6targetE0EEEvSP_.numbered_sgpr, 0
	.set _ZN7rocprim17ROCPRIM_400000_NS6detail17trampoline_kernelINS0_14default_configENS1_32segmented_reduce_config_selectorIfEEZNS1_21segmented_reduce_implIS3_PKfPfPKifN6hipcub16HIPCUB_304000_NS6detail27convert_result_type_wrapperIS8_S9_N2at6native12_GLOBAL__N_19CustomSumEEEEE10hipError_tPvRmT0_T1_jT2_SQ_T4_T3_P12ihipStream_tbEUlT_E_NS1_11comp_targetILNS1_3genE5ELNS1_11target_archE942ELNS1_3gpuE9ELNS1_3repE0EEENS1_30default_config_static_selectorELNS0_4arch9wavefront6targetE0EEEvSP_.num_named_barrier, 0
	.set _ZN7rocprim17ROCPRIM_400000_NS6detail17trampoline_kernelINS0_14default_configENS1_32segmented_reduce_config_selectorIfEEZNS1_21segmented_reduce_implIS3_PKfPfPKifN6hipcub16HIPCUB_304000_NS6detail27convert_result_type_wrapperIS8_S9_N2at6native12_GLOBAL__N_19CustomSumEEEEE10hipError_tPvRmT0_T1_jT2_SQ_T4_T3_P12ihipStream_tbEUlT_E_NS1_11comp_targetILNS1_3genE5ELNS1_11target_archE942ELNS1_3gpuE9ELNS1_3repE0EEENS1_30default_config_static_selectorELNS0_4arch9wavefront6targetE0EEEvSP_.private_seg_size, 0
	.set _ZN7rocprim17ROCPRIM_400000_NS6detail17trampoline_kernelINS0_14default_configENS1_32segmented_reduce_config_selectorIfEEZNS1_21segmented_reduce_implIS3_PKfPfPKifN6hipcub16HIPCUB_304000_NS6detail27convert_result_type_wrapperIS8_S9_N2at6native12_GLOBAL__N_19CustomSumEEEEE10hipError_tPvRmT0_T1_jT2_SQ_T4_T3_P12ihipStream_tbEUlT_E_NS1_11comp_targetILNS1_3genE5ELNS1_11target_archE942ELNS1_3gpuE9ELNS1_3repE0EEENS1_30default_config_static_selectorELNS0_4arch9wavefront6targetE0EEEvSP_.uses_vcc, 0
	.set _ZN7rocprim17ROCPRIM_400000_NS6detail17trampoline_kernelINS0_14default_configENS1_32segmented_reduce_config_selectorIfEEZNS1_21segmented_reduce_implIS3_PKfPfPKifN6hipcub16HIPCUB_304000_NS6detail27convert_result_type_wrapperIS8_S9_N2at6native12_GLOBAL__N_19CustomSumEEEEE10hipError_tPvRmT0_T1_jT2_SQ_T4_T3_P12ihipStream_tbEUlT_E_NS1_11comp_targetILNS1_3genE5ELNS1_11target_archE942ELNS1_3gpuE9ELNS1_3repE0EEENS1_30default_config_static_selectorELNS0_4arch9wavefront6targetE0EEEvSP_.uses_flat_scratch, 0
	.set _ZN7rocprim17ROCPRIM_400000_NS6detail17trampoline_kernelINS0_14default_configENS1_32segmented_reduce_config_selectorIfEEZNS1_21segmented_reduce_implIS3_PKfPfPKifN6hipcub16HIPCUB_304000_NS6detail27convert_result_type_wrapperIS8_S9_N2at6native12_GLOBAL__N_19CustomSumEEEEE10hipError_tPvRmT0_T1_jT2_SQ_T4_T3_P12ihipStream_tbEUlT_E_NS1_11comp_targetILNS1_3genE5ELNS1_11target_archE942ELNS1_3gpuE9ELNS1_3repE0EEENS1_30default_config_static_selectorELNS0_4arch9wavefront6targetE0EEEvSP_.has_dyn_sized_stack, 0
	.set _ZN7rocprim17ROCPRIM_400000_NS6detail17trampoline_kernelINS0_14default_configENS1_32segmented_reduce_config_selectorIfEEZNS1_21segmented_reduce_implIS3_PKfPfPKifN6hipcub16HIPCUB_304000_NS6detail27convert_result_type_wrapperIS8_S9_N2at6native12_GLOBAL__N_19CustomSumEEEEE10hipError_tPvRmT0_T1_jT2_SQ_T4_T3_P12ihipStream_tbEUlT_E_NS1_11comp_targetILNS1_3genE5ELNS1_11target_archE942ELNS1_3gpuE9ELNS1_3repE0EEENS1_30default_config_static_selectorELNS0_4arch9wavefront6targetE0EEEvSP_.has_recursion, 0
	.set _ZN7rocprim17ROCPRIM_400000_NS6detail17trampoline_kernelINS0_14default_configENS1_32segmented_reduce_config_selectorIfEEZNS1_21segmented_reduce_implIS3_PKfPfPKifN6hipcub16HIPCUB_304000_NS6detail27convert_result_type_wrapperIS8_S9_N2at6native12_GLOBAL__N_19CustomSumEEEEE10hipError_tPvRmT0_T1_jT2_SQ_T4_T3_P12ihipStream_tbEUlT_E_NS1_11comp_targetILNS1_3genE5ELNS1_11target_archE942ELNS1_3gpuE9ELNS1_3repE0EEENS1_30default_config_static_selectorELNS0_4arch9wavefront6targetE0EEEvSP_.has_indirect_call, 0
	.section	.AMDGPU.csdata,"",@progbits
; Kernel info:
; codeLenInByte = 0
; TotalNumSgprs: 0
; NumVgprs: 0
; ScratchSize: 0
; MemoryBound: 0
; FloatMode: 240
; IeeeMode: 1
; LDSByteSize: 0 bytes/workgroup (compile time only)
; SGPRBlocks: 0
; VGPRBlocks: 0
; NumSGPRsForWavesPerEU: 1
; NumVGPRsForWavesPerEU: 1
; NamedBarCnt: 0
; Occupancy: 16
; WaveLimiterHint : 0
; COMPUTE_PGM_RSRC2:SCRATCH_EN: 0
; COMPUTE_PGM_RSRC2:USER_SGPR: 2
; COMPUTE_PGM_RSRC2:TRAP_HANDLER: 0
; COMPUTE_PGM_RSRC2:TGID_X_EN: 1
; COMPUTE_PGM_RSRC2:TGID_Y_EN: 0
; COMPUTE_PGM_RSRC2:TGID_Z_EN: 0
; COMPUTE_PGM_RSRC2:TIDIG_COMP_CNT: 0
	.section	.text._ZN7rocprim17ROCPRIM_400000_NS6detail17trampoline_kernelINS0_14default_configENS1_32segmented_reduce_config_selectorIfEEZNS1_21segmented_reduce_implIS3_PKfPfPKifN6hipcub16HIPCUB_304000_NS6detail27convert_result_type_wrapperIS8_S9_N2at6native12_GLOBAL__N_19CustomSumEEEEE10hipError_tPvRmT0_T1_jT2_SQ_T4_T3_P12ihipStream_tbEUlT_E_NS1_11comp_targetILNS1_3genE10ELNS1_11target_archE1201ELNS1_3gpuE5ELNS1_3repE0EEENS1_30default_config_static_selectorELNS0_4arch9wavefront6targetE0EEEvSP_,"axG",@progbits,_ZN7rocprim17ROCPRIM_400000_NS6detail17trampoline_kernelINS0_14default_configENS1_32segmented_reduce_config_selectorIfEEZNS1_21segmented_reduce_implIS3_PKfPfPKifN6hipcub16HIPCUB_304000_NS6detail27convert_result_type_wrapperIS8_S9_N2at6native12_GLOBAL__N_19CustomSumEEEEE10hipError_tPvRmT0_T1_jT2_SQ_T4_T3_P12ihipStream_tbEUlT_E_NS1_11comp_targetILNS1_3genE10ELNS1_11target_archE1201ELNS1_3gpuE5ELNS1_3repE0EEENS1_30default_config_static_selectorELNS0_4arch9wavefront6targetE0EEEvSP_,comdat
	.globl	_ZN7rocprim17ROCPRIM_400000_NS6detail17trampoline_kernelINS0_14default_configENS1_32segmented_reduce_config_selectorIfEEZNS1_21segmented_reduce_implIS3_PKfPfPKifN6hipcub16HIPCUB_304000_NS6detail27convert_result_type_wrapperIS8_S9_N2at6native12_GLOBAL__N_19CustomSumEEEEE10hipError_tPvRmT0_T1_jT2_SQ_T4_T3_P12ihipStream_tbEUlT_E_NS1_11comp_targetILNS1_3genE10ELNS1_11target_archE1201ELNS1_3gpuE5ELNS1_3repE0EEENS1_30default_config_static_selectorELNS0_4arch9wavefront6targetE0EEEvSP_ ; -- Begin function _ZN7rocprim17ROCPRIM_400000_NS6detail17trampoline_kernelINS0_14default_configENS1_32segmented_reduce_config_selectorIfEEZNS1_21segmented_reduce_implIS3_PKfPfPKifN6hipcub16HIPCUB_304000_NS6detail27convert_result_type_wrapperIS8_S9_N2at6native12_GLOBAL__N_19CustomSumEEEEE10hipError_tPvRmT0_T1_jT2_SQ_T4_T3_P12ihipStream_tbEUlT_E_NS1_11comp_targetILNS1_3genE10ELNS1_11target_archE1201ELNS1_3gpuE5ELNS1_3repE0EEENS1_30default_config_static_selectorELNS0_4arch9wavefront6targetE0EEEvSP_
	.p2align	8
	.type	_ZN7rocprim17ROCPRIM_400000_NS6detail17trampoline_kernelINS0_14default_configENS1_32segmented_reduce_config_selectorIfEEZNS1_21segmented_reduce_implIS3_PKfPfPKifN6hipcub16HIPCUB_304000_NS6detail27convert_result_type_wrapperIS8_S9_N2at6native12_GLOBAL__N_19CustomSumEEEEE10hipError_tPvRmT0_T1_jT2_SQ_T4_T3_P12ihipStream_tbEUlT_E_NS1_11comp_targetILNS1_3genE10ELNS1_11target_archE1201ELNS1_3gpuE5ELNS1_3repE0EEENS1_30default_config_static_selectorELNS0_4arch9wavefront6targetE0EEEvSP_,@function
_ZN7rocprim17ROCPRIM_400000_NS6detail17trampoline_kernelINS0_14default_configENS1_32segmented_reduce_config_selectorIfEEZNS1_21segmented_reduce_implIS3_PKfPfPKifN6hipcub16HIPCUB_304000_NS6detail27convert_result_type_wrapperIS8_S9_N2at6native12_GLOBAL__N_19CustomSumEEEEE10hipError_tPvRmT0_T1_jT2_SQ_T4_T3_P12ihipStream_tbEUlT_E_NS1_11comp_targetILNS1_3genE10ELNS1_11target_archE1201ELNS1_3gpuE5ELNS1_3repE0EEENS1_30default_config_static_selectorELNS0_4arch9wavefront6targetE0EEEvSP_: ; @_ZN7rocprim17ROCPRIM_400000_NS6detail17trampoline_kernelINS0_14default_configENS1_32segmented_reduce_config_selectorIfEEZNS1_21segmented_reduce_implIS3_PKfPfPKifN6hipcub16HIPCUB_304000_NS6detail27convert_result_type_wrapperIS8_S9_N2at6native12_GLOBAL__N_19CustomSumEEEEE10hipError_tPvRmT0_T1_jT2_SQ_T4_T3_P12ihipStream_tbEUlT_E_NS1_11comp_targetILNS1_3genE10ELNS1_11target_archE1201ELNS1_3gpuE5ELNS1_3repE0EEENS1_30default_config_static_selectorELNS0_4arch9wavefront6targetE0EEEvSP_
; %bb.0:
	.section	.rodata,"a",@progbits
	.p2align	6, 0x0
	.amdhsa_kernel _ZN7rocprim17ROCPRIM_400000_NS6detail17trampoline_kernelINS0_14default_configENS1_32segmented_reduce_config_selectorIfEEZNS1_21segmented_reduce_implIS3_PKfPfPKifN6hipcub16HIPCUB_304000_NS6detail27convert_result_type_wrapperIS8_S9_N2at6native12_GLOBAL__N_19CustomSumEEEEE10hipError_tPvRmT0_T1_jT2_SQ_T4_T3_P12ihipStream_tbEUlT_E_NS1_11comp_targetILNS1_3genE10ELNS1_11target_archE1201ELNS1_3gpuE5ELNS1_3repE0EEENS1_30default_config_static_selectorELNS0_4arch9wavefront6targetE0EEEvSP_
		.amdhsa_group_segment_fixed_size 0
		.amdhsa_private_segment_fixed_size 0
		.amdhsa_kernarg_size 48
		.amdhsa_user_sgpr_count 2
		.amdhsa_user_sgpr_dispatch_ptr 0
		.amdhsa_user_sgpr_queue_ptr 0
		.amdhsa_user_sgpr_kernarg_segment_ptr 1
		.amdhsa_user_sgpr_dispatch_id 0
		.amdhsa_user_sgpr_kernarg_preload_length 0
		.amdhsa_user_sgpr_kernarg_preload_offset 0
		.amdhsa_user_sgpr_private_segment_size 0
		.amdhsa_wavefront_size32 1
		.amdhsa_uses_dynamic_stack 0
		.amdhsa_enable_private_segment 0
		.amdhsa_system_sgpr_workgroup_id_x 1
		.amdhsa_system_sgpr_workgroup_id_y 0
		.amdhsa_system_sgpr_workgroup_id_z 0
		.amdhsa_system_sgpr_workgroup_info 0
		.amdhsa_system_vgpr_workitem_id 0
		.amdhsa_next_free_vgpr 1
		.amdhsa_next_free_sgpr 1
		.amdhsa_named_barrier_count 0
		.amdhsa_reserve_vcc 0
		.amdhsa_float_round_mode_32 0
		.amdhsa_float_round_mode_16_64 0
		.amdhsa_float_denorm_mode_32 3
		.amdhsa_float_denorm_mode_16_64 3
		.amdhsa_fp16_overflow 0
		.amdhsa_memory_ordered 1
		.amdhsa_forward_progress 1
		.amdhsa_inst_pref_size 0
		.amdhsa_round_robin_scheduling 0
		.amdhsa_exception_fp_ieee_invalid_op 0
		.amdhsa_exception_fp_denorm_src 0
		.amdhsa_exception_fp_ieee_div_zero 0
		.amdhsa_exception_fp_ieee_overflow 0
		.amdhsa_exception_fp_ieee_underflow 0
		.amdhsa_exception_fp_ieee_inexact 0
		.amdhsa_exception_int_div_zero 0
	.end_amdhsa_kernel
	.section	.text._ZN7rocprim17ROCPRIM_400000_NS6detail17trampoline_kernelINS0_14default_configENS1_32segmented_reduce_config_selectorIfEEZNS1_21segmented_reduce_implIS3_PKfPfPKifN6hipcub16HIPCUB_304000_NS6detail27convert_result_type_wrapperIS8_S9_N2at6native12_GLOBAL__N_19CustomSumEEEEE10hipError_tPvRmT0_T1_jT2_SQ_T4_T3_P12ihipStream_tbEUlT_E_NS1_11comp_targetILNS1_3genE10ELNS1_11target_archE1201ELNS1_3gpuE5ELNS1_3repE0EEENS1_30default_config_static_selectorELNS0_4arch9wavefront6targetE0EEEvSP_,"axG",@progbits,_ZN7rocprim17ROCPRIM_400000_NS6detail17trampoline_kernelINS0_14default_configENS1_32segmented_reduce_config_selectorIfEEZNS1_21segmented_reduce_implIS3_PKfPfPKifN6hipcub16HIPCUB_304000_NS6detail27convert_result_type_wrapperIS8_S9_N2at6native12_GLOBAL__N_19CustomSumEEEEE10hipError_tPvRmT0_T1_jT2_SQ_T4_T3_P12ihipStream_tbEUlT_E_NS1_11comp_targetILNS1_3genE10ELNS1_11target_archE1201ELNS1_3gpuE5ELNS1_3repE0EEENS1_30default_config_static_selectorELNS0_4arch9wavefront6targetE0EEEvSP_,comdat
.Lfunc_end53:
	.size	_ZN7rocprim17ROCPRIM_400000_NS6detail17trampoline_kernelINS0_14default_configENS1_32segmented_reduce_config_selectorIfEEZNS1_21segmented_reduce_implIS3_PKfPfPKifN6hipcub16HIPCUB_304000_NS6detail27convert_result_type_wrapperIS8_S9_N2at6native12_GLOBAL__N_19CustomSumEEEEE10hipError_tPvRmT0_T1_jT2_SQ_T4_T3_P12ihipStream_tbEUlT_E_NS1_11comp_targetILNS1_3genE10ELNS1_11target_archE1201ELNS1_3gpuE5ELNS1_3repE0EEENS1_30default_config_static_selectorELNS0_4arch9wavefront6targetE0EEEvSP_, .Lfunc_end53-_ZN7rocprim17ROCPRIM_400000_NS6detail17trampoline_kernelINS0_14default_configENS1_32segmented_reduce_config_selectorIfEEZNS1_21segmented_reduce_implIS3_PKfPfPKifN6hipcub16HIPCUB_304000_NS6detail27convert_result_type_wrapperIS8_S9_N2at6native12_GLOBAL__N_19CustomSumEEEEE10hipError_tPvRmT0_T1_jT2_SQ_T4_T3_P12ihipStream_tbEUlT_E_NS1_11comp_targetILNS1_3genE10ELNS1_11target_archE1201ELNS1_3gpuE5ELNS1_3repE0EEENS1_30default_config_static_selectorELNS0_4arch9wavefront6targetE0EEEvSP_
                                        ; -- End function
	.set _ZN7rocprim17ROCPRIM_400000_NS6detail17trampoline_kernelINS0_14default_configENS1_32segmented_reduce_config_selectorIfEEZNS1_21segmented_reduce_implIS3_PKfPfPKifN6hipcub16HIPCUB_304000_NS6detail27convert_result_type_wrapperIS8_S9_N2at6native12_GLOBAL__N_19CustomSumEEEEE10hipError_tPvRmT0_T1_jT2_SQ_T4_T3_P12ihipStream_tbEUlT_E_NS1_11comp_targetILNS1_3genE10ELNS1_11target_archE1201ELNS1_3gpuE5ELNS1_3repE0EEENS1_30default_config_static_selectorELNS0_4arch9wavefront6targetE0EEEvSP_.num_vgpr, 0
	.set _ZN7rocprim17ROCPRIM_400000_NS6detail17trampoline_kernelINS0_14default_configENS1_32segmented_reduce_config_selectorIfEEZNS1_21segmented_reduce_implIS3_PKfPfPKifN6hipcub16HIPCUB_304000_NS6detail27convert_result_type_wrapperIS8_S9_N2at6native12_GLOBAL__N_19CustomSumEEEEE10hipError_tPvRmT0_T1_jT2_SQ_T4_T3_P12ihipStream_tbEUlT_E_NS1_11comp_targetILNS1_3genE10ELNS1_11target_archE1201ELNS1_3gpuE5ELNS1_3repE0EEENS1_30default_config_static_selectorELNS0_4arch9wavefront6targetE0EEEvSP_.num_agpr, 0
	.set _ZN7rocprim17ROCPRIM_400000_NS6detail17trampoline_kernelINS0_14default_configENS1_32segmented_reduce_config_selectorIfEEZNS1_21segmented_reduce_implIS3_PKfPfPKifN6hipcub16HIPCUB_304000_NS6detail27convert_result_type_wrapperIS8_S9_N2at6native12_GLOBAL__N_19CustomSumEEEEE10hipError_tPvRmT0_T1_jT2_SQ_T4_T3_P12ihipStream_tbEUlT_E_NS1_11comp_targetILNS1_3genE10ELNS1_11target_archE1201ELNS1_3gpuE5ELNS1_3repE0EEENS1_30default_config_static_selectorELNS0_4arch9wavefront6targetE0EEEvSP_.numbered_sgpr, 0
	.set _ZN7rocprim17ROCPRIM_400000_NS6detail17trampoline_kernelINS0_14default_configENS1_32segmented_reduce_config_selectorIfEEZNS1_21segmented_reduce_implIS3_PKfPfPKifN6hipcub16HIPCUB_304000_NS6detail27convert_result_type_wrapperIS8_S9_N2at6native12_GLOBAL__N_19CustomSumEEEEE10hipError_tPvRmT0_T1_jT2_SQ_T4_T3_P12ihipStream_tbEUlT_E_NS1_11comp_targetILNS1_3genE10ELNS1_11target_archE1201ELNS1_3gpuE5ELNS1_3repE0EEENS1_30default_config_static_selectorELNS0_4arch9wavefront6targetE0EEEvSP_.num_named_barrier, 0
	.set _ZN7rocprim17ROCPRIM_400000_NS6detail17trampoline_kernelINS0_14default_configENS1_32segmented_reduce_config_selectorIfEEZNS1_21segmented_reduce_implIS3_PKfPfPKifN6hipcub16HIPCUB_304000_NS6detail27convert_result_type_wrapperIS8_S9_N2at6native12_GLOBAL__N_19CustomSumEEEEE10hipError_tPvRmT0_T1_jT2_SQ_T4_T3_P12ihipStream_tbEUlT_E_NS1_11comp_targetILNS1_3genE10ELNS1_11target_archE1201ELNS1_3gpuE5ELNS1_3repE0EEENS1_30default_config_static_selectorELNS0_4arch9wavefront6targetE0EEEvSP_.private_seg_size, 0
	.set _ZN7rocprim17ROCPRIM_400000_NS6detail17trampoline_kernelINS0_14default_configENS1_32segmented_reduce_config_selectorIfEEZNS1_21segmented_reduce_implIS3_PKfPfPKifN6hipcub16HIPCUB_304000_NS6detail27convert_result_type_wrapperIS8_S9_N2at6native12_GLOBAL__N_19CustomSumEEEEE10hipError_tPvRmT0_T1_jT2_SQ_T4_T3_P12ihipStream_tbEUlT_E_NS1_11comp_targetILNS1_3genE10ELNS1_11target_archE1201ELNS1_3gpuE5ELNS1_3repE0EEENS1_30default_config_static_selectorELNS0_4arch9wavefront6targetE0EEEvSP_.uses_vcc, 0
	.set _ZN7rocprim17ROCPRIM_400000_NS6detail17trampoline_kernelINS0_14default_configENS1_32segmented_reduce_config_selectorIfEEZNS1_21segmented_reduce_implIS3_PKfPfPKifN6hipcub16HIPCUB_304000_NS6detail27convert_result_type_wrapperIS8_S9_N2at6native12_GLOBAL__N_19CustomSumEEEEE10hipError_tPvRmT0_T1_jT2_SQ_T4_T3_P12ihipStream_tbEUlT_E_NS1_11comp_targetILNS1_3genE10ELNS1_11target_archE1201ELNS1_3gpuE5ELNS1_3repE0EEENS1_30default_config_static_selectorELNS0_4arch9wavefront6targetE0EEEvSP_.uses_flat_scratch, 0
	.set _ZN7rocprim17ROCPRIM_400000_NS6detail17trampoline_kernelINS0_14default_configENS1_32segmented_reduce_config_selectorIfEEZNS1_21segmented_reduce_implIS3_PKfPfPKifN6hipcub16HIPCUB_304000_NS6detail27convert_result_type_wrapperIS8_S9_N2at6native12_GLOBAL__N_19CustomSumEEEEE10hipError_tPvRmT0_T1_jT2_SQ_T4_T3_P12ihipStream_tbEUlT_E_NS1_11comp_targetILNS1_3genE10ELNS1_11target_archE1201ELNS1_3gpuE5ELNS1_3repE0EEENS1_30default_config_static_selectorELNS0_4arch9wavefront6targetE0EEEvSP_.has_dyn_sized_stack, 0
	.set _ZN7rocprim17ROCPRIM_400000_NS6detail17trampoline_kernelINS0_14default_configENS1_32segmented_reduce_config_selectorIfEEZNS1_21segmented_reduce_implIS3_PKfPfPKifN6hipcub16HIPCUB_304000_NS6detail27convert_result_type_wrapperIS8_S9_N2at6native12_GLOBAL__N_19CustomSumEEEEE10hipError_tPvRmT0_T1_jT2_SQ_T4_T3_P12ihipStream_tbEUlT_E_NS1_11comp_targetILNS1_3genE10ELNS1_11target_archE1201ELNS1_3gpuE5ELNS1_3repE0EEENS1_30default_config_static_selectorELNS0_4arch9wavefront6targetE0EEEvSP_.has_recursion, 0
	.set _ZN7rocprim17ROCPRIM_400000_NS6detail17trampoline_kernelINS0_14default_configENS1_32segmented_reduce_config_selectorIfEEZNS1_21segmented_reduce_implIS3_PKfPfPKifN6hipcub16HIPCUB_304000_NS6detail27convert_result_type_wrapperIS8_S9_N2at6native12_GLOBAL__N_19CustomSumEEEEE10hipError_tPvRmT0_T1_jT2_SQ_T4_T3_P12ihipStream_tbEUlT_E_NS1_11comp_targetILNS1_3genE10ELNS1_11target_archE1201ELNS1_3gpuE5ELNS1_3repE0EEENS1_30default_config_static_selectorELNS0_4arch9wavefront6targetE0EEEvSP_.has_indirect_call, 0
	.section	.AMDGPU.csdata,"",@progbits
; Kernel info:
; codeLenInByte = 0
; TotalNumSgprs: 0
; NumVgprs: 0
; ScratchSize: 0
; MemoryBound: 0
; FloatMode: 240
; IeeeMode: 1
; LDSByteSize: 0 bytes/workgroup (compile time only)
; SGPRBlocks: 0
; VGPRBlocks: 0
; NumSGPRsForWavesPerEU: 1
; NumVGPRsForWavesPerEU: 1
; NamedBarCnt: 0
; Occupancy: 16
; WaveLimiterHint : 0
; COMPUTE_PGM_RSRC2:SCRATCH_EN: 0
; COMPUTE_PGM_RSRC2:USER_SGPR: 2
; COMPUTE_PGM_RSRC2:TRAP_HANDLER: 0
; COMPUTE_PGM_RSRC2:TGID_X_EN: 1
; COMPUTE_PGM_RSRC2:TGID_Y_EN: 0
; COMPUTE_PGM_RSRC2:TGID_Z_EN: 0
; COMPUTE_PGM_RSRC2:TIDIG_COMP_CNT: 0
	.section	.text._ZN7rocprim17ROCPRIM_400000_NS6detail17trampoline_kernelINS0_14default_configENS1_32segmented_reduce_config_selectorIfEEZNS1_21segmented_reduce_implIS3_PKfPfPKifN6hipcub16HIPCUB_304000_NS6detail27convert_result_type_wrapperIS8_S9_N2at6native12_GLOBAL__N_19CustomSumEEEEE10hipError_tPvRmT0_T1_jT2_SQ_T4_T3_P12ihipStream_tbEUlT_E_NS1_11comp_targetILNS1_3genE4ELNS1_11target_archE910ELNS1_3gpuE8ELNS1_3repE0EEENS1_30default_config_static_selectorELNS0_4arch9wavefront6targetE0EEEvSP_,"axG",@progbits,_ZN7rocprim17ROCPRIM_400000_NS6detail17trampoline_kernelINS0_14default_configENS1_32segmented_reduce_config_selectorIfEEZNS1_21segmented_reduce_implIS3_PKfPfPKifN6hipcub16HIPCUB_304000_NS6detail27convert_result_type_wrapperIS8_S9_N2at6native12_GLOBAL__N_19CustomSumEEEEE10hipError_tPvRmT0_T1_jT2_SQ_T4_T3_P12ihipStream_tbEUlT_E_NS1_11comp_targetILNS1_3genE4ELNS1_11target_archE910ELNS1_3gpuE8ELNS1_3repE0EEENS1_30default_config_static_selectorELNS0_4arch9wavefront6targetE0EEEvSP_,comdat
	.globl	_ZN7rocprim17ROCPRIM_400000_NS6detail17trampoline_kernelINS0_14default_configENS1_32segmented_reduce_config_selectorIfEEZNS1_21segmented_reduce_implIS3_PKfPfPKifN6hipcub16HIPCUB_304000_NS6detail27convert_result_type_wrapperIS8_S9_N2at6native12_GLOBAL__N_19CustomSumEEEEE10hipError_tPvRmT0_T1_jT2_SQ_T4_T3_P12ihipStream_tbEUlT_E_NS1_11comp_targetILNS1_3genE4ELNS1_11target_archE910ELNS1_3gpuE8ELNS1_3repE0EEENS1_30default_config_static_selectorELNS0_4arch9wavefront6targetE0EEEvSP_ ; -- Begin function _ZN7rocprim17ROCPRIM_400000_NS6detail17trampoline_kernelINS0_14default_configENS1_32segmented_reduce_config_selectorIfEEZNS1_21segmented_reduce_implIS3_PKfPfPKifN6hipcub16HIPCUB_304000_NS6detail27convert_result_type_wrapperIS8_S9_N2at6native12_GLOBAL__N_19CustomSumEEEEE10hipError_tPvRmT0_T1_jT2_SQ_T4_T3_P12ihipStream_tbEUlT_E_NS1_11comp_targetILNS1_3genE4ELNS1_11target_archE910ELNS1_3gpuE8ELNS1_3repE0EEENS1_30default_config_static_selectorELNS0_4arch9wavefront6targetE0EEEvSP_
	.p2align	8
	.type	_ZN7rocprim17ROCPRIM_400000_NS6detail17trampoline_kernelINS0_14default_configENS1_32segmented_reduce_config_selectorIfEEZNS1_21segmented_reduce_implIS3_PKfPfPKifN6hipcub16HIPCUB_304000_NS6detail27convert_result_type_wrapperIS8_S9_N2at6native12_GLOBAL__N_19CustomSumEEEEE10hipError_tPvRmT0_T1_jT2_SQ_T4_T3_P12ihipStream_tbEUlT_E_NS1_11comp_targetILNS1_3genE4ELNS1_11target_archE910ELNS1_3gpuE8ELNS1_3repE0EEENS1_30default_config_static_selectorELNS0_4arch9wavefront6targetE0EEEvSP_,@function
_ZN7rocprim17ROCPRIM_400000_NS6detail17trampoline_kernelINS0_14default_configENS1_32segmented_reduce_config_selectorIfEEZNS1_21segmented_reduce_implIS3_PKfPfPKifN6hipcub16HIPCUB_304000_NS6detail27convert_result_type_wrapperIS8_S9_N2at6native12_GLOBAL__N_19CustomSumEEEEE10hipError_tPvRmT0_T1_jT2_SQ_T4_T3_P12ihipStream_tbEUlT_E_NS1_11comp_targetILNS1_3genE4ELNS1_11target_archE910ELNS1_3gpuE8ELNS1_3repE0EEENS1_30default_config_static_selectorELNS0_4arch9wavefront6targetE0EEEvSP_: ; @_ZN7rocprim17ROCPRIM_400000_NS6detail17trampoline_kernelINS0_14default_configENS1_32segmented_reduce_config_selectorIfEEZNS1_21segmented_reduce_implIS3_PKfPfPKifN6hipcub16HIPCUB_304000_NS6detail27convert_result_type_wrapperIS8_S9_N2at6native12_GLOBAL__N_19CustomSumEEEEE10hipError_tPvRmT0_T1_jT2_SQ_T4_T3_P12ihipStream_tbEUlT_E_NS1_11comp_targetILNS1_3genE4ELNS1_11target_archE910ELNS1_3gpuE8ELNS1_3repE0EEENS1_30default_config_static_selectorELNS0_4arch9wavefront6targetE0EEEvSP_
; %bb.0:
	.section	.rodata,"a",@progbits
	.p2align	6, 0x0
	.amdhsa_kernel _ZN7rocprim17ROCPRIM_400000_NS6detail17trampoline_kernelINS0_14default_configENS1_32segmented_reduce_config_selectorIfEEZNS1_21segmented_reduce_implIS3_PKfPfPKifN6hipcub16HIPCUB_304000_NS6detail27convert_result_type_wrapperIS8_S9_N2at6native12_GLOBAL__N_19CustomSumEEEEE10hipError_tPvRmT0_T1_jT2_SQ_T4_T3_P12ihipStream_tbEUlT_E_NS1_11comp_targetILNS1_3genE4ELNS1_11target_archE910ELNS1_3gpuE8ELNS1_3repE0EEENS1_30default_config_static_selectorELNS0_4arch9wavefront6targetE0EEEvSP_
		.amdhsa_group_segment_fixed_size 0
		.amdhsa_private_segment_fixed_size 0
		.amdhsa_kernarg_size 48
		.amdhsa_user_sgpr_count 2
		.amdhsa_user_sgpr_dispatch_ptr 0
		.amdhsa_user_sgpr_queue_ptr 0
		.amdhsa_user_sgpr_kernarg_segment_ptr 1
		.amdhsa_user_sgpr_dispatch_id 0
		.amdhsa_user_sgpr_kernarg_preload_length 0
		.amdhsa_user_sgpr_kernarg_preload_offset 0
		.amdhsa_user_sgpr_private_segment_size 0
		.amdhsa_wavefront_size32 1
		.amdhsa_uses_dynamic_stack 0
		.amdhsa_enable_private_segment 0
		.amdhsa_system_sgpr_workgroup_id_x 1
		.amdhsa_system_sgpr_workgroup_id_y 0
		.amdhsa_system_sgpr_workgroup_id_z 0
		.amdhsa_system_sgpr_workgroup_info 0
		.amdhsa_system_vgpr_workitem_id 0
		.amdhsa_next_free_vgpr 1
		.amdhsa_next_free_sgpr 1
		.amdhsa_named_barrier_count 0
		.amdhsa_reserve_vcc 0
		.amdhsa_float_round_mode_32 0
		.amdhsa_float_round_mode_16_64 0
		.amdhsa_float_denorm_mode_32 3
		.amdhsa_float_denorm_mode_16_64 3
		.amdhsa_fp16_overflow 0
		.amdhsa_memory_ordered 1
		.amdhsa_forward_progress 1
		.amdhsa_inst_pref_size 0
		.amdhsa_round_robin_scheduling 0
		.amdhsa_exception_fp_ieee_invalid_op 0
		.amdhsa_exception_fp_denorm_src 0
		.amdhsa_exception_fp_ieee_div_zero 0
		.amdhsa_exception_fp_ieee_overflow 0
		.amdhsa_exception_fp_ieee_underflow 0
		.amdhsa_exception_fp_ieee_inexact 0
		.amdhsa_exception_int_div_zero 0
	.end_amdhsa_kernel
	.section	.text._ZN7rocprim17ROCPRIM_400000_NS6detail17trampoline_kernelINS0_14default_configENS1_32segmented_reduce_config_selectorIfEEZNS1_21segmented_reduce_implIS3_PKfPfPKifN6hipcub16HIPCUB_304000_NS6detail27convert_result_type_wrapperIS8_S9_N2at6native12_GLOBAL__N_19CustomSumEEEEE10hipError_tPvRmT0_T1_jT2_SQ_T4_T3_P12ihipStream_tbEUlT_E_NS1_11comp_targetILNS1_3genE4ELNS1_11target_archE910ELNS1_3gpuE8ELNS1_3repE0EEENS1_30default_config_static_selectorELNS0_4arch9wavefront6targetE0EEEvSP_,"axG",@progbits,_ZN7rocprim17ROCPRIM_400000_NS6detail17trampoline_kernelINS0_14default_configENS1_32segmented_reduce_config_selectorIfEEZNS1_21segmented_reduce_implIS3_PKfPfPKifN6hipcub16HIPCUB_304000_NS6detail27convert_result_type_wrapperIS8_S9_N2at6native12_GLOBAL__N_19CustomSumEEEEE10hipError_tPvRmT0_T1_jT2_SQ_T4_T3_P12ihipStream_tbEUlT_E_NS1_11comp_targetILNS1_3genE4ELNS1_11target_archE910ELNS1_3gpuE8ELNS1_3repE0EEENS1_30default_config_static_selectorELNS0_4arch9wavefront6targetE0EEEvSP_,comdat
.Lfunc_end54:
	.size	_ZN7rocprim17ROCPRIM_400000_NS6detail17trampoline_kernelINS0_14default_configENS1_32segmented_reduce_config_selectorIfEEZNS1_21segmented_reduce_implIS3_PKfPfPKifN6hipcub16HIPCUB_304000_NS6detail27convert_result_type_wrapperIS8_S9_N2at6native12_GLOBAL__N_19CustomSumEEEEE10hipError_tPvRmT0_T1_jT2_SQ_T4_T3_P12ihipStream_tbEUlT_E_NS1_11comp_targetILNS1_3genE4ELNS1_11target_archE910ELNS1_3gpuE8ELNS1_3repE0EEENS1_30default_config_static_selectorELNS0_4arch9wavefront6targetE0EEEvSP_, .Lfunc_end54-_ZN7rocprim17ROCPRIM_400000_NS6detail17trampoline_kernelINS0_14default_configENS1_32segmented_reduce_config_selectorIfEEZNS1_21segmented_reduce_implIS3_PKfPfPKifN6hipcub16HIPCUB_304000_NS6detail27convert_result_type_wrapperIS8_S9_N2at6native12_GLOBAL__N_19CustomSumEEEEE10hipError_tPvRmT0_T1_jT2_SQ_T4_T3_P12ihipStream_tbEUlT_E_NS1_11comp_targetILNS1_3genE4ELNS1_11target_archE910ELNS1_3gpuE8ELNS1_3repE0EEENS1_30default_config_static_selectorELNS0_4arch9wavefront6targetE0EEEvSP_
                                        ; -- End function
	.set _ZN7rocprim17ROCPRIM_400000_NS6detail17trampoline_kernelINS0_14default_configENS1_32segmented_reduce_config_selectorIfEEZNS1_21segmented_reduce_implIS3_PKfPfPKifN6hipcub16HIPCUB_304000_NS6detail27convert_result_type_wrapperIS8_S9_N2at6native12_GLOBAL__N_19CustomSumEEEEE10hipError_tPvRmT0_T1_jT2_SQ_T4_T3_P12ihipStream_tbEUlT_E_NS1_11comp_targetILNS1_3genE4ELNS1_11target_archE910ELNS1_3gpuE8ELNS1_3repE0EEENS1_30default_config_static_selectorELNS0_4arch9wavefront6targetE0EEEvSP_.num_vgpr, 0
	.set _ZN7rocprim17ROCPRIM_400000_NS6detail17trampoline_kernelINS0_14default_configENS1_32segmented_reduce_config_selectorIfEEZNS1_21segmented_reduce_implIS3_PKfPfPKifN6hipcub16HIPCUB_304000_NS6detail27convert_result_type_wrapperIS8_S9_N2at6native12_GLOBAL__N_19CustomSumEEEEE10hipError_tPvRmT0_T1_jT2_SQ_T4_T3_P12ihipStream_tbEUlT_E_NS1_11comp_targetILNS1_3genE4ELNS1_11target_archE910ELNS1_3gpuE8ELNS1_3repE0EEENS1_30default_config_static_selectorELNS0_4arch9wavefront6targetE0EEEvSP_.num_agpr, 0
	.set _ZN7rocprim17ROCPRIM_400000_NS6detail17trampoline_kernelINS0_14default_configENS1_32segmented_reduce_config_selectorIfEEZNS1_21segmented_reduce_implIS3_PKfPfPKifN6hipcub16HIPCUB_304000_NS6detail27convert_result_type_wrapperIS8_S9_N2at6native12_GLOBAL__N_19CustomSumEEEEE10hipError_tPvRmT0_T1_jT2_SQ_T4_T3_P12ihipStream_tbEUlT_E_NS1_11comp_targetILNS1_3genE4ELNS1_11target_archE910ELNS1_3gpuE8ELNS1_3repE0EEENS1_30default_config_static_selectorELNS0_4arch9wavefront6targetE0EEEvSP_.numbered_sgpr, 0
	.set _ZN7rocprim17ROCPRIM_400000_NS6detail17trampoline_kernelINS0_14default_configENS1_32segmented_reduce_config_selectorIfEEZNS1_21segmented_reduce_implIS3_PKfPfPKifN6hipcub16HIPCUB_304000_NS6detail27convert_result_type_wrapperIS8_S9_N2at6native12_GLOBAL__N_19CustomSumEEEEE10hipError_tPvRmT0_T1_jT2_SQ_T4_T3_P12ihipStream_tbEUlT_E_NS1_11comp_targetILNS1_3genE4ELNS1_11target_archE910ELNS1_3gpuE8ELNS1_3repE0EEENS1_30default_config_static_selectorELNS0_4arch9wavefront6targetE0EEEvSP_.num_named_barrier, 0
	.set _ZN7rocprim17ROCPRIM_400000_NS6detail17trampoline_kernelINS0_14default_configENS1_32segmented_reduce_config_selectorIfEEZNS1_21segmented_reduce_implIS3_PKfPfPKifN6hipcub16HIPCUB_304000_NS6detail27convert_result_type_wrapperIS8_S9_N2at6native12_GLOBAL__N_19CustomSumEEEEE10hipError_tPvRmT0_T1_jT2_SQ_T4_T3_P12ihipStream_tbEUlT_E_NS1_11comp_targetILNS1_3genE4ELNS1_11target_archE910ELNS1_3gpuE8ELNS1_3repE0EEENS1_30default_config_static_selectorELNS0_4arch9wavefront6targetE0EEEvSP_.private_seg_size, 0
	.set _ZN7rocprim17ROCPRIM_400000_NS6detail17trampoline_kernelINS0_14default_configENS1_32segmented_reduce_config_selectorIfEEZNS1_21segmented_reduce_implIS3_PKfPfPKifN6hipcub16HIPCUB_304000_NS6detail27convert_result_type_wrapperIS8_S9_N2at6native12_GLOBAL__N_19CustomSumEEEEE10hipError_tPvRmT0_T1_jT2_SQ_T4_T3_P12ihipStream_tbEUlT_E_NS1_11comp_targetILNS1_3genE4ELNS1_11target_archE910ELNS1_3gpuE8ELNS1_3repE0EEENS1_30default_config_static_selectorELNS0_4arch9wavefront6targetE0EEEvSP_.uses_vcc, 0
	.set _ZN7rocprim17ROCPRIM_400000_NS6detail17trampoline_kernelINS0_14default_configENS1_32segmented_reduce_config_selectorIfEEZNS1_21segmented_reduce_implIS3_PKfPfPKifN6hipcub16HIPCUB_304000_NS6detail27convert_result_type_wrapperIS8_S9_N2at6native12_GLOBAL__N_19CustomSumEEEEE10hipError_tPvRmT0_T1_jT2_SQ_T4_T3_P12ihipStream_tbEUlT_E_NS1_11comp_targetILNS1_3genE4ELNS1_11target_archE910ELNS1_3gpuE8ELNS1_3repE0EEENS1_30default_config_static_selectorELNS0_4arch9wavefront6targetE0EEEvSP_.uses_flat_scratch, 0
	.set _ZN7rocprim17ROCPRIM_400000_NS6detail17trampoline_kernelINS0_14default_configENS1_32segmented_reduce_config_selectorIfEEZNS1_21segmented_reduce_implIS3_PKfPfPKifN6hipcub16HIPCUB_304000_NS6detail27convert_result_type_wrapperIS8_S9_N2at6native12_GLOBAL__N_19CustomSumEEEEE10hipError_tPvRmT0_T1_jT2_SQ_T4_T3_P12ihipStream_tbEUlT_E_NS1_11comp_targetILNS1_3genE4ELNS1_11target_archE910ELNS1_3gpuE8ELNS1_3repE0EEENS1_30default_config_static_selectorELNS0_4arch9wavefront6targetE0EEEvSP_.has_dyn_sized_stack, 0
	.set _ZN7rocprim17ROCPRIM_400000_NS6detail17trampoline_kernelINS0_14default_configENS1_32segmented_reduce_config_selectorIfEEZNS1_21segmented_reduce_implIS3_PKfPfPKifN6hipcub16HIPCUB_304000_NS6detail27convert_result_type_wrapperIS8_S9_N2at6native12_GLOBAL__N_19CustomSumEEEEE10hipError_tPvRmT0_T1_jT2_SQ_T4_T3_P12ihipStream_tbEUlT_E_NS1_11comp_targetILNS1_3genE4ELNS1_11target_archE910ELNS1_3gpuE8ELNS1_3repE0EEENS1_30default_config_static_selectorELNS0_4arch9wavefront6targetE0EEEvSP_.has_recursion, 0
	.set _ZN7rocprim17ROCPRIM_400000_NS6detail17trampoline_kernelINS0_14default_configENS1_32segmented_reduce_config_selectorIfEEZNS1_21segmented_reduce_implIS3_PKfPfPKifN6hipcub16HIPCUB_304000_NS6detail27convert_result_type_wrapperIS8_S9_N2at6native12_GLOBAL__N_19CustomSumEEEEE10hipError_tPvRmT0_T1_jT2_SQ_T4_T3_P12ihipStream_tbEUlT_E_NS1_11comp_targetILNS1_3genE4ELNS1_11target_archE910ELNS1_3gpuE8ELNS1_3repE0EEENS1_30default_config_static_selectorELNS0_4arch9wavefront6targetE0EEEvSP_.has_indirect_call, 0
	.section	.AMDGPU.csdata,"",@progbits
; Kernel info:
; codeLenInByte = 0
; TotalNumSgprs: 0
; NumVgprs: 0
; ScratchSize: 0
; MemoryBound: 0
; FloatMode: 240
; IeeeMode: 1
; LDSByteSize: 0 bytes/workgroup (compile time only)
; SGPRBlocks: 0
; VGPRBlocks: 0
; NumSGPRsForWavesPerEU: 1
; NumVGPRsForWavesPerEU: 1
; NamedBarCnt: 0
; Occupancy: 16
; WaveLimiterHint : 0
; COMPUTE_PGM_RSRC2:SCRATCH_EN: 0
; COMPUTE_PGM_RSRC2:USER_SGPR: 2
; COMPUTE_PGM_RSRC2:TRAP_HANDLER: 0
; COMPUTE_PGM_RSRC2:TGID_X_EN: 1
; COMPUTE_PGM_RSRC2:TGID_Y_EN: 0
; COMPUTE_PGM_RSRC2:TGID_Z_EN: 0
; COMPUTE_PGM_RSRC2:TIDIG_COMP_CNT: 0
	.section	.text._ZN7rocprim17ROCPRIM_400000_NS6detail17trampoline_kernelINS0_14default_configENS1_32segmented_reduce_config_selectorIfEEZNS1_21segmented_reduce_implIS3_PKfPfPKifN6hipcub16HIPCUB_304000_NS6detail27convert_result_type_wrapperIS8_S9_N2at6native12_GLOBAL__N_19CustomSumEEEEE10hipError_tPvRmT0_T1_jT2_SQ_T4_T3_P12ihipStream_tbEUlT_E_NS1_11comp_targetILNS1_3genE3ELNS1_11target_archE908ELNS1_3gpuE7ELNS1_3repE0EEENS1_30default_config_static_selectorELNS0_4arch9wavefront6targetE0EEEvSP_,"axG",@progbits,_ZN7rocprim17ROCPRIM_400000_NS6detail17trampoline_kernelINS0_14default_configENS1_32segmented_reduce_config_selectorIfEEZNS1_21segmented_reduce_implIS3_PKfPfPKifN6hipcub16HIPCUB_304000_NS6detail27convert_result_type_wrapperIS8_S9_N2at6native12_GLOBAL__N_19CustomSumEEEEE10hipError_tPvRmT0_T1_jT2_SQ_T4_T3_P12ihipStream_tbEUlT_E_NS1_11comp_targetILNS1_3genE3ELNS1_11target_archE908ELNS1_3gpuE7ELNS1_3repE0EEENS1_30default_config_static_selectorELNS0_4arch9wavefront6targetE0EEEvSP_,comdat
	.globl	_ZN7rocprim17ROCPRIM_400000_NS6detail17trampoline_kernelINS0_14default_configENS1_32segmented_reduce_config_selectorIfEEZNS1_21segmented_reduce_implIS3_PKfPfPKifN6hipcub16HIPCUB_304000_NS6detail27convert_result_type_wrapperIS8_S9_N2at6native12_GLOBAL__N_19CustomSumEEEEE10hipError_tPvRmT0_T1_jT2_SQ_T4_T3_P12ihipStream_tbEUlT_E_NS1_11comp_targetILNS1_3genE3ELNS1_11target_archE908ELNS1_3gpuE7ELNS1_3repE0EEENS1_30default_config_static_selectorELNS0_4arch9wavefront6targetE0EEEvSP_ ; -- Begin function _ZN7rocprim17ROCPRIM_400000_NS6detail17trampoline_kernelINS0_14default_configENS1_32segmented_reduce_config_selectorIfEEZNS1_21segmented_reduce_implIS3_PKfPfPKifN6hipcub16HIPCUB_304000_NS6detail27convert_result_type_wrapperIS8_S9_N2at6native12_GLOBAL__N_19CustomSumEEEEE10hipError_tPvRmT0_T1_jT2_SQ_T4_T3_P12ihipStream_tbEUlT_E_NS1_11comp_targetILNS1_3genE3ELNS1_11target_archE908ELNS1_3gpuE7ELNS1_3repE0EEENS1_30default_config_static_selectorELNS0_4arch9wavefront6targetE0EEEvSP_
	.p2align	8
	.type	_ZN7rocprim17ROCPRIM_400000_NS6detail17trampoline_kernelINS0_14default_configENS1_32segmented_reduce_config_selectorIfEEZNS1_21segmented_reduce_implIS3_PKfPfPKifN6hipcub16HIPCUB_304000_NS6detail27convert_result_type_wrapperIS8_S9_N2at6native12_GLOBAL__N_19CustomSumEEEEE10hipError_tPvRmT0_T1_jT2_SQ_T4_T3_P12ihipStream_tbEUlT_E_NS1_11comp_targetILNS1_3genE3ELNS1_11target_archE908ELNS1_3gpuE7ELNS1_3repE0EEENS1_30default_config_static_selectorELNS0_4arch9wavefront6targetE0EEEvSP_,@function
_ZN7rocprim17ROCPRIM_400000_NS6detail17trampoline_kernelINS0_14default_configENS1_32segmented_reduce_config_selectorIfEEZNS1_21segmented_reduce_implIS3_PKfPfPKifN6hipcub16HIPCUB_304000_NS6detail27convert_result_type_wrapperIS8_S9_N2at6native12_GLOBAL__N_19CustomSumEEEEE10hipError_tPvRmT0_T1_jT2_SQ_T4_T3_P12ihipStream_tbEUlT_E_NS1_11comp_targetILNS1_3genE3ELNS1_11target_archE908ELNS1_3gpuE7ELNS1_3repE0EEENS1_30default_config_static_selectorELNS0_4arch9wavefront6targetE0EEEvSP_: ; @_ZN7rocprim17ROCPRIM_400000_NS6detail17trampoline_kernelINS0_14default_configENS1_32segmented_reduce_config_selectorIfEEZNS1_21segmented_reduce_implIS3_PKfPfPKifN6hipcub16HIPCUB_304000_NS6detail27convert_result_type_wrapperIS8_S9_N2at6native12_GLOBAL__N_19CustomSumEEEEE10hipError_tPvRmT0_T1_jT2_SQ_T4_T3_P12ihipStream_tbEUlT_E_NS1_11comp_targetILNS1_3genE3ELNS1_11target_archE908ELNS1_3gpuE7ELNS1_3repE0EEENS1_30default_config_static_selectorELNS0_4arch9wavefront6targetE0EEEvSP_
; %bb.0:
	.section	.rodata,"a",@progbits
	.p2align	6, 0x0
	.amdhsa_kernel _ZN7rocprim17ROCPRIM_400000_NS6detail17trampoline_kernelINS0_14default_configENS1_32segmented_reduce_config_selectorIfEEZNS1_21segmented_reduce_implIS3_PKfPfPKifN6hipcub16HIPCUB_304000_NS6detail27convert_result_type_wrapperIS8_S9_N2at6native12_GLOBAL__N_19CustomSumEEEEE10hipError_tPvRmT0_T1_jT2_SQ_T4_T3_P12ihipStream_tbEUlT_E_NS1_11comp_targetILNS1_3genE3ELNS1_11target_archE908ELNS1_3gpuE7ELNS1_3repE0EEENS1_30default_config_static_selectorELNS0_4arch9wavefront6targetE0EEEvSP_
		.amdhsa_group_segment_fixed_size 0
		.amdhsa_private_segment_fixed_size 0
		.amdhsa_kernarg_size 48
		.amdhsa_user_sgpr_count 2
		.amdhsa_user_sgpr_dispatch_ptr 0
		.amdhsa_user_sgpr_queue_ptr 0
		.amdhsa_user_sgpr_kernarg_segment_ptr 1
		.amdhsa_user_sgpr_dispatch_id 0
		.amdhsa_user_sgpr_kernarg_preload_length 0
		.amdhsa_user_sgpr_kernarg_preload_offset 0
		.amdhsa_user_sgpr_private_segment_size 0
		.amdhsa_wavefront_size32 1
		.amdhsa_uses_dynamic_stack 0
		.amdhsa_enable_private_segment 0
		.amdhsa_system_sgpr_workgroup_id_x 1
		.amdhsa_system_sgpr_workgroup_id_y 0
		.amdhsa_system_sgpr_workgroup_id_z 0
		.amdhsa_system_sgpr_workgroup_info 0
		.amdhsa_system_vgpr_workitem_id 0
		.amdhsa_next_free_vgpr 1
		.amdhsa_next_free_sgpr 1
		.amdhsa_named_barrier_count 0
		.amdhsa_reserve_vcc 0
		.amdhsa_float_round_mode_32 0
		.amdhsa_float_round_mode_16_64 0
		.amdhsa_float_denorm_mode_32 3
		.amdhsa_float_denorm_mode_16_64 3
		.amdhsa_fp16_overflow 0
		.amdhsa_memory_ordered 1
		.amdhsa_forward_progress 1
		.amdhsa_inst_pref_size 0
		.amdhsa_round_robin_scheduling 0
		.amdhsa_exception_fp_ieee_invalid_op 0
		.amdhsa_exception_fp_denorm_src 0
		.amdhsa_exception_fp_ieee_div_zero 0
		.amdhsa_exception_fp_ieee_overflow 0
		.amdhsa_exception_fp_ieee_underflow 0
		.amdhsa_exception_fp_ieee_inexact 0
		.amdhsa_exception_int_div_zero 0
	.end_amdhsa_kernel
	.section	.text._ZN7rocprim17ROCPRIM_400000_NS6detail17trampoline_kernelINS0_14default_configENS1_32segmented_reduce_config_selectorIfEEZNS1_21segmented_reduce_implIS3_PKfPfPKifN6hipcub16HIPCUB_304000_NS6detail27convert_result_type_wrapperIS8_S9_N2at6native12_GLOBAL__N_19CustomSumEEEEE10hipError_tPvRmT0_T1_jT2_SQ_T4_T3_P12ihipStream_tbEUlT_E_NS1_11comp_targetILNS1_3genE3ELNS1_11target_archE908ELNS1_3gpuE7ELNS1_3repE0EEENS1_30default_config_static_selectorELNS0_4arch9wavefront6targetE0EEEvSP_,"axG",@progbits,_ZN7rocprim17ROCPRIM_400000_NS6detail17trampoline_kernelINS0_14default_configENS1_32segmented_reduce_config_selectorIfEEZNS1_21segmented_reduce_implIS3_PKfPfPKifN6hipcub16HIPCUB_304000_NS6detail27convert_result_type_wrapperIS8_S9_N2at6native12_GLOBAL__N_19CustomSumEEEEE10hipError_tPvRmT0_T1_jT2_SQ_T4_T3_P12ihipStream_tbEUlT_E_NS1_11comp_targetILNS1_3genE3ELNS1_11target_archE908ELNS1_3gpuE7ELNS1_3repE0EEENS1_30default_config_static_selectorELNS0_4arch9wavefront6targetE0EEEvSP_,comdat
.Lfunc_end55:
	.size	_ZN7rocprim17ROCPRIM_400000_NS6detail17trampoline_kernelINS0_14default_configENS1_32segmented_reduce_config_selectorIfEEZNS1_21segmented_reduce_implIS3_PKfPfPKifN6hipcub16HIPCUB_304000_NS6detail27convert_result_type_wrapperIS8_S9_N2at6native12_GLOBAL__N_19CustomSumEEEEE10hipError_tPvRmT0_T1_jT2_SQ_T4_T3_P12ihipStream_tbEUlT_E_NS1_11comp_targetILNS1_3genE3ELNS1_11target_archE908ELNS1_3gpuE7ELNS1_3repE0EEENS1_30default_config_static_selectorELNS0_4arch9wavefront6targetE0EEEvSP_, .Lfunc_end55-_ZN7rocprim17ROCPRIM_400000_NS6detail17trampoline_kernelINS0_14default_configENS1_32segmented_reduce_config_selectorIfEEZNS1_21segmented_reduce_implIS3_PKfPfPKifN6hipcub16HIPCUB_304000_NS6detail27convert_result_type_wrapperIS8_S9_N2at6native12_GLOBAL__N_19CustomSumEEEEE10hipError_tPvRmT0_T1_jT2_SQ_T4_T3_P12ihipStream_tbEUlT_E_NS1_11comp_targetILNS1_3genE3ELNS1_11target_archE908ELNS1_3gpuE7ELNS1_3repE0EEENS1_30default_config_static_selectorELNS0_4arch9wavefront6targetE0EEEvSP_
                                        ; -- End function
	.set _ZN7rocprim17ROCPRIM_400000_NS6detail17trampoline_kernelINS0_14default_configENS1_32segmented_reduce_config_selectorIfEEZNS1_21segmented_reduce_implIS3_PKfPfPKifN6hipcub16HIPCUB_304000_NS6detail27convert_result_type_wrapperIS8_S9_N2at6native12_GLOBAL__N_19CustomSumEEEEE10hipError_tPvRmT0_T1_jT2_SQ_T4_T3_P12ihipStream_tbEUlT_E_NS1_11comp_targetILNS1_3genE3ELNS1_11target_archE908ELNS1_3gpuE7ELNS1_3repE0EEENS1_30default_config_static_selectorELNS0_4arch9wavefront6targetE0EEEvSP_.num_vgpr, 0
	.set _ZN7rocprim17ROCPRIM_400000_NS6detail17trampoline_kernelINS0_14default_configENS1_32segmented_reduce_config_selectorIfEEZNS1_21segmented_reduce_implIS3_PKfPfPKifN6hipcub16HIPCUB_304000_NS6detail27convert_result_type_wrapperIS8_S9_N2at6native12_GLOBAL__N_19CustomSumEEEEE10hipError_tPvRmT0_T1_jT2_SQ_T4_T3_P12ihipStream_tbEUlT_E_NS1_11comp_targetILNS1_3genE3ELNS1_11target_archE908ELNS1_3gpuE7ELNS1_3repE0EEENS1_30default_config_static_selectorELNS0_4arch9wavefront6targetE0EEEvSP_.num_agpr, 0
	.set _ZN7rocprim17ROCPRIM_400000_NS6detail17trampoline_kernelINS0_14default_configENS1_32segmented_reduce_config_selectorIfEEZNS1_21segmented_reduce_implIS3_PKfPfPKifN6hipcub16HIPCUB_304000_NS6detail27convert_result_type_wrapperIS8_S9_N2at6native12_GLOBAL__N_19CustomSumEEEEE10hipError_tPvRmT0_T1_jT2_SQ_T4_T3_P12ihipStream_tbEUlT_E_NS1_11comp_targetILNS1_3genE3ELNS1_11target_archE908ELNS1_3gpuE7ELNS1_3repE0EEENS1_30default_config_static_selectorELNS0_4arch9wavefront6targetE0EEEvSP_.numbered_sgpr, 0
	.set _ZN7rocprim17ROCPRIM_400000_NS6detail17trampoline_kernelINS0_14default_configENS1_32segmented_reduce_config_selectorIfEEZNS1_21segmented_reduce_implIS3_PKfPfPKifN6hipcub16HIPCUB_304000_NS6detail27convert_result_type_wrapperIS8_S9_N2at6native12_GLOBAL__N_19CustomSumEEEEE10hipError_tPvRmT0_T1_jT2_SQ_T4_T3_P12ihipStream_tbEUlT_E_NS1_11comp_targetILNS1_3genE3ELNS1_11target_archE908ELNS1_3gpuE7ELNS1_3repE0EEENS1_30default_config_static_selectorELNS0_4arch9wavefront6targetE0EEEvSP_.num_named_barrier, 0
	.set _ZN7rocprim17ROCPRIM_400000_NS6detail17trampoline_kernelINS0_14default_configENS1_32segmented_reduce_config_selectorIfEEZNS1_21segmented_reduce_implIS3_PKfPfPKifN6hipcub16HIPCUB_304000_NS6detail27convert_result_type_wrapperIS8_S9_N2at6native12_GLOBAL__N_19CustomSumEEEEE10hipError_tPvRmT0_T1_jT2_SQ_T4_T3_P12ihipStream_tbEUlT_E_NS1_11comp_targetILNS1_3genE3ELNS1_11target_archE908ELNS1_3gpuE7ELNS1_3repE0EEENS1_30default_config_static_selectorELNS0_4arch9wavefront6targetE0EEEvSP_.private_seg_size, 0
	.set _ZN7rocprim17ROCPRIM_400000_NS6detail17trampoline_kernelINS0_14default_configENS1_32segmented_reduce_config_selectorIfEEZNS1_21segmented_reduce_implIS3_PKfPfPKifN6hipcub16HIPCUB_304000_NS6detail27convert_result_type_wrapperIS8_S9_N2at6native12_GLOBAL__N_19CustomSumEEEEE10hipError_tPvRmT0_T1_jT2_SQ_T4_T3_P12ihipStream_tbEUlT_E_NS1_11comp_targetILNS1_3genE3ELNS1_11target_archE908ELNS1_3gpuE7ELNS1_3repE0EEENS1_30default_config_static_selectorELNS0_4arch9wavefront6targetE0EEEvSP_.uses_vcc, 0
	.set _ZN7rocprim17ROCPRIM_400000_NS6detail17trampoline_kernelINS0_14default_configENS1_32segmented_reduce_config_selectorIfEEZNS1_21segmented_reduce_implIS3_PKfPfPKifN6hipcub16HIPCUB_304000_NS6detail27convert_result_type_wrapperIS8_S9_N2at6native12_GLOBAL__N_19CustomSumEEEEE10hipError_tPvRmT0_T1_jT2_SQ_T4_T3_P12ihipStream_tbEUlT_E_NS1_11comp_targetILNS1_3genE3ELNS1_11target_archE908ELNS1_3gpuE7ELNS1_3repE0EEENS1_30default_config_static_selectorELNS0_4arch9wavefront6targetE0EEEvSP_.uses_flat_scratch, 0
	.set _ZN7rocprim17ROCPRIM_400000_NS6detail17trampoline_kernelINS0_14default_configENS1_32segmented_reduce_config_selectorIfEEZNS1_21segmented_reduce_implIS3_PKfPfPKifN6hipcub16HIPCUB_304000_NS6detail27convert_result_type_wrapperIS8_S9_N2at6native12_GLOBAL__N_19CustomSumEEEEE10hipError_tPvRmT0_T1_jT2_SQ_T4_T3_P12ihipStream_tbEUlT_E_NS1_11comp_targetILNS1_3genE3ELNS1_11target_archE908ELNS1_3gpuE7ELNS1_3repE0EEENS1_30default_config_static_selectorELNS0_4arch9wavefront6targetE0EEEvSP_.has_dyn_sized_stack, 0
	.set _ZN7rocprim17ROCPRIM_400000_NS6detail17trampoline_kernelINS0_14default_configENS1_32segmented_reduce_config_selectorIfEEZNS1_21segmented_reduce_implIS3_PKfPfPKifN6hipcub16HIPCUB_304000_NS6detail27convert_result_type_wrapperIS8_S9_N2at6native12_GLOBAL__N_19CustomSumEEEEE10hipError_tPvRmT0_T1_jT2_SQ_T4_T3_P12ihipStream_tbEUlT_E_NS1_11comp_targetILNS1_3genE3ELNS1_11target_archE908ELNS1_3gpuE7ELNS1_3repE0EEENS1_30default_config_static_selectorELNS0_4arch9wavefront6targetE0EEEvSP_.has_recursion, 0
	.set _ZN7rocprim17ROCPRIM_400000_NS6detail17trampoline_kernelINS0_14default_configENS1_32segmented_reduce_config_selectorIfEEZNS1_21segmented_reduce_implIS3_PKfPfPKifN6hipcub16HIPCUB_304000_NS6detail27convert_result_type_wrapperIS8_S9_N2at6native12_GLOBAL__N_19CustomSumEEEEE10hipError_tPvRmT0_T1_jT2_SQ_T4_T3_P12ihipStream_tbEUlT_E_NS1_11comp_targetILNS1_3genE3ELNS1_11target_archE908ELNS1_3gpuE7ELNS1_3repE0EEENS1_30default_config_static_selectorELNS0_4arch9wavefront6targetE0EEEvSP_.has_indirect_call, 0
	.section	.AMDGPU.csdata,"",@progbits
; Kernel info:
; codeLenInByte = 0
; TotalNumSgprs: 0
; NumVgprs: 0
; ScratchSize: 0
; MemoryBound: 0
; FloatMode: 240
; IeeeMode: 1
; LDSByteSize: 0 bytes/workgroup (compile time only)
; SGPRBlocks: 0
; VGPRBlocks: 0
; NumSGPRsForWavesPerEU: 1
; NumVGPRsForWavesPerEU: 1
; NamedBarCnt: 0
; Occupancy: 16
; WaveLimiterHint : 0
; COMPUTE_PGM_RSRC2:SCRATCH_EN: 0
; COMPUTE_PGM_RSRC2:USER_SGPR: 2
; COMPUTE_PGM_RSRC2:TRAP_HANDLER: 0
; COMPUTE_PGM_RSRC2:TGID_X_EN: 1
; COMPUTE_PGM_RSRC2:TGID_Y_EN: 0
; COMPUTE_PGM_RSRC2:TGID_Z_EN: 0
; COMPUTE_PGM_RSRC2:TIDIG_COMP_CNT: 0
	.section	.text._ZN7rocprim17ROCPRIM_400000_NS6detail17trampoline_kernelINS0_14default_configENS1_32segmented_reduce_config_selectorIfEEZNS1_21segmented_reduce_implIS3_PKfPfPKifN6hipcub16HIPCUB_304000_NS6detail27convert_result_type_wrapperIS8_S9_N2at6native12_GLOBAL__N_19CustomSumEEEEE10hipError_tPvRmT0_T1_jT2_SQ_T4_T3_P12ihipStream_tbEUlT_E_NS1_11comp_targetILNS1_3genE2ELNS1_11target_archE906ELNS1_3gpuE6ELNS1_3repE0EEENS1_30default_config_static_selectorELNS0_4arch9wavefront6targetE0EEEvSP_,"axG",@progbits,_ZN7rocprim17ROCPRIM_400000_NS6detail17trampoline_kernelINS0_14default_configENS1_32segmented_reduce_config_selectorIfEEZNS1_21segmented_reduce_implIS3_PKfPfPKifN6hipcub16HIPCUB_304000_NS6detail27convert_result_type_wrapperIS8_S9_N2at6native12_GLOBAL__N_19CustomSumEEEEE10hipError_tPvRmT0_T1_jT2_SQ_T4_T3_P12ihipStream_tbEUlT_E_NS1_11comp_targetILNS1_3genE2ELNS1_11target_archE906ELNS1_3gpuE6ELNS1_3repE0EEENS1_30default_config_static_selectorELNS0_4arch9wavefront6targetE0EEEvSP_,comdat
	.globl	_ZN7rocprim17ROCPRIM_400000_NS6detail17trampoline_kernelINS0_14default_configENS1_32segmented_reduce_config_selectorIfEEZNS1_21segmented_reduce_implIS3_PKfPfPKifN6hipcub16HIPCUB_304000_NS6detail27convert_result_type_wrapperIS8_S9_N2at6native12_GLOBAL__N_19CustomSumEEEEE10hipError_tPvRmT0_T1_jT2_SQ_T4_T3_P12ihipStream_tbEUlT_E_NS1_11comp_targetILNS1_3genE2ELNS1_11target_archE906ELNS1_3gpuE6ELNS1_3repE0EEENS1_30default_config_static_selectorELNS0_4arch9wavefront6targetE0EEEvSP_ ; -- Begin function _ZN7rocprim17ROCPRIM_400000_NS6detail17trampoline_kernelINS0_14default_configENS1_32segmented_reduce_config_selectorIfEEZNS1_21segmented_reduce_implIS3_PKfPfPKifN6hipcub16HIPCUB_304000_NS6detail27convert_result_type_wrapperIS8_S9_N2at6native12_GLOBAL__N_19CustomSumEEEEE10hipError_tPvRmT0_T1_jT2_SQ_T4_T3_P12ihipStream_tbEUlT_E_NS1_11comp_targetILNS1_3genE2ELNS1_11target_archE906ELNS1_3gpuE6ELNS1_3repE0EEENS1_30default_config_static_selectorELNS0_4arch9wavefront6targetE0EEEvSP_
	.p2align	8
	.type	_ZN7rocprim17ROCPRIM_400000_NS6detail17trampoline_kernelINS0_14default_configENS1_32segmented_reduce_config_selectorIfEEZNS1_21segmented_reduce_implIS3_PKfPfPKifN6hipcub16HIPCUB_304000_NS6detail27convert_result_type_wrapperIS8_S9_N2at6native12_GLOBAL__N_19CustomSumEEEEE10hipError_tPvRmT0_T1_jT2_SQ_T4_T3_P12ihipStream_tbEUlT_E_NS1_11comp_targetILNS1_3genE2ELNS1_11target_archE906ELNS1_3gpuE6ELNS1_3repE0EEENS1_30default_config_static_selectorELNS0_4arch9wavefront6targetE0EEEvSP_,@function
_ZN7rocprim17ROCPRIM_400000_NS6detail17trampoline_kernelINS0_14default_configENS1_32segmented_reduce_config_selectorIfEEZNS1_21segmented_reduce_implIS3_PKfPfPKifN6hipcub16HIPCUB_304000_NS6detail27convert_result_type_wrapperIS8_S9_N2at6native12_GLOBAL__N_19CustomSumEEEEE10hipError_tPvRmT0_T1_jT2_SQ_T4_T3_P12ihipStream_tbEUlT_E_NS1_11comp_targetILNS1_3genE2ELNS1_11target_archE906ELNS1_3gpuE6ELNS1_3repE0EEENS1_30default_config_static_selectorELNS0_4arch9wavefront6targetE0EEEvSP_: ; @_ZN7rocprim17ROCPRIM_400000_NS6detail17trampoline_kernelINS0_14default_configENS1_32segmented_reduce_config_selectorIfEEZNS1_21segmented_reduce_implIS3_PKfPfPKifN6hipcub16HIPCUB_304000_NS6detail27convert_result_type_wrapperIS8_S9_N2at6native12_GLOBAL__N_19CustomSumEEEEE10hipError_tPvRmT0_T1_jT2_SQ_T4_T3_P12ihipStream_tbEUlT_E_NS1_11comp_targetILNS1_3genE2ELNS1_11target_archE906ELNS1_3gpuE6ELNS1_3repE0EEENS1_30default_config_static_selectorELNS0_4arch9wavefront6targetE0EEEvSP_
; %bb.0:
	.section	.rodata,"a",@progbits
	.p2align	6, 0x0
	.amdhsa_kernel _ZN7rocprim17ROCPRIM_400000_NS6detail17trampoline_kernelINS0_14default_configENS1_32segmented_reduce_config_selectorIfEEZNS1_21segmented_reduce_implIS3_PKfPfPKifN6hipcub16HIPCUB_304000_NS6detail27convert_result_type_wrapperIS8_S9_N2at6native12_GLOBAL__N_19CustomSumEEEEE10hipError_tPvRmT0_T1_jT2_SQ_T4_T3_P12ihipStream_tbEUlT_E_NS1_11comp_targetILNS1_3genE2ELNS1_11target_archE906ELNS1_3gpuE6ELNS1_3repE0EEENS1_30default_config_static_selectorELNS0_4arch9wavefront6targetE0EEEvSP_
		.amdhsa_group_segment_fixed_size 0
		.amdhsa_private_segment_fixed_size 0
		.amdhsa_kernarg_size 48
		.amdhsa_user_sgpr_count 2
		.amdhsa_user_sgpr_dispatch_ptr 0
		.amdhsa_user_sgpr_queue_ptr 0
		.amdhsa_user_sgpr_kernarg_segment_ptr 1
		.amdhsa_user_sgpr_dispatch_id 0
		.amdhsa_user_sgpr_kernarg_preload_length 0
		.amdhsa_user_sgpr_kernarg_preload_offset 0
		.amdhsa_user_sgpr_private_segment_size 0
		.amdhsa_wavefront_size32 1
		.amdhsa_uses_dynamic_stack 0
		.amdhsa_enable_private_segment 0
		.amdhsa_system_sgpr_workgroup_id_x 1
		.amdhsa_system_sgpr_workgroup_id_y 0
		.amdhsa_system_sgpr_workgroup_id_z 0
		.amdhsa_system_sgpr_workgroup_info 0
		.amdhsa_system_vgpr_workitem_id 0
		.amdhsa_next_free_vgpr 1
		.amdhsa_next_free_sgpr 1
		.amdhsa_named_barrier_count 0
		.amdhsa_reserve_vcc 0
		.amdhsa_float_round_mode_32 0
		.amdhsa_float_round_mode_16_64 0
		.amdhsa_float_denorm_mode_32 3
		.amdhsa_float_denorm_mode_16_64 3
		.amdhsa_fp16_overflow 0
		.amdhsa_memory_ordered 1
		.amdhsa_forward_progress 1
		.amdhsa_inst_pref_size 0
		.amdhsa_round_robin_scheduling 0
		.amdhsa_exception_fp_ieee_invalid_op 0
		.amdhsa_exception_fp_denorm_src 0
		.amdhsa_exception_fp_ieee_div_zero 0
		.amdhsa_exception_fp_ieee_overflow 0
		.amdhsa_exception_fp_ieee_underflow 0
		.amdhsa_exception_fp_ieee_inexact 0
		.amdhsa_exception_int_div_zero 0
	.end_amdhsa_kernel
	.section	.text._ZN7rocprim17ROCPRIM_400000_NS6detail17trampoline_kernelINS0_14default_configENS1_32segmented_reduce_config_selectorIfEEZNS1_21segmented_reduce_implIS3_PKfPfPKifN6hipcub16HIPCUB_304000_NS6detail27convert_result_type_wrapperIS8_S9_N2at6native12_GLOBAL__N_19CustomSumEEEEE10hipError_tPvRmT0_T1_jT2_SQ_T4_T3_P12ihipStream_tbEUlT_E_NS1_11comp_targetILNS1_3genE2ELNS1_11target_archE906ELNS1_3gpuE6ELNS1_3repE0EEENS1_30default_config_static_selectorELNS0_4arch9wavefront6targetE0EEEvSP_,"axG",@progbits,_ZN7rocprim17ROCPRIM_400000_NS6detail17trampoline_kernelINS0_14default_configENS1_32segmented_reduce_config_selectorIfEEZNS1_21segmented_reduce_implIS3_PKfPfPKifN6hipcub16HIPCUB_304000_NS6detail27convert_result_type_wrapperIS8_S9_N2at6native12_GLOBAL__N_19CustomSumEEEEE10hipError_tPvRmT0_T1_jT2_SQ_T4_T3_P12ihipStream_tbEUlT_E_NS1_11comp_targetILNS1_3genE2ELNS1_11target_archE906ELNS1_3gpuE6ELNS1_3repE0EEENS1_30default_config_static_selectorELNS0_4arch9wavefront6targetE0EEEvSP_,comdat
.Lfunc_end56:
	.size	_ZN7rocprim17ROCPRIM_400000_NS6detail17trampoline_kernelINS0_14default_configENS1_32segmented_reduce_config_selectorIfEEZNS1_21segmented_reduce_implIS3_PKfPfPKifN6hipcub16HIPCUB_304000_NS6detail27convert_result_type_wrapperIS8_S9_N2at6native12_GLOBAL__N_19CustomSumEEEEE10hipError_tPvRmT0_T1_jT2_SQ_T4_T3_P12ihipStream_tbEUlT_E_NS1_11comp_targetILNS1_3genE2ELNS1_11target_archE906ELNS1_3gpuE6ELNS1_3repE0EEENS1_30default_config_static_selectorELNS0_4arch9wavefront6targetE0EEEvSP_, .Lfunc_end56-_ZN7rocprim17ROCPRIM_400000_NS6detail17trampoline_kernelINS0_14default_configENS1_32segmented_reduce_config_selectorIfEEZNS1_21segmented_reduce_implIS3_PKfPfPKifN6hipcub16HIPCUB_304000_NS6detail27convert_result_type_wrapperIS8_S9_N2at6native12_GLOBAL__N_19CustomSumEEEEE10hipError_tPvRmT0_T1_jT2_SQ_T4_T3_P12ihipStream_tbEUlT_E_NS1_11comp_targetILNS1_3genE2ELNS1_11target_archE906ELNS1_3gpuE6ELNS1_3repE0EEENS1_30default_config_static_selectorELNS0_4arch9wavefront6targetE0EEEvSP_
                                        ; -- End function
	.set _ZN7rocprim17ROCPRIM_400000_NS6detail17trampoline_kernelINS0_14default_configENS1_32segmented_reduce_config_selectorIfEEZNS1_21segmented_reduce_implIS3_PKfPfPKifN6hipcub16HIPCUB_304000_NS6detail27convert_result_type_wrapperIS8_S9_N2at6native12_GLOBAL__N_19CustomSumEEEEE10hipError_tPvRmT0_T1_jT2_SQ_T4_T3_P12ihipStream_tbEUlT_E_NS1_11comp_targetILNS1_3genE2ELNS1_11target_archE906ELNS1_3gpuE6ELNS1_3repE0EEENS1_30default_config_static_selectorELNS0_4arch9wavefront6targetE0EEEvSP_.num_vgpr, 0
	.set _ZN7rocprim17ROCPRIM_400000_NS6detail17trampoline_kernelINS0_14default_configENS1_32segmented_reduce_config_selectorIfEEZNS1_21segmented_reduce_implIS3_PKfPfPKifN6hipcub16HIPCUB_304000_NS6detail27convert_result_type_wrapperIS8_S9_N2at6native12_GLOBAL__N_19CustomSumEEEEE10hipError_tPvRmT0_T1_jT2_SQ_T4_T3_P12ihipStream_tbEUlT_E_NS1_11comp_targetILNS1_3genE2ELNS1_11target_archE906ELNS1_3gpuE6ELNS1_3repE0EEENS1_30default_config_static_selectorELNS0_4arch9wavefront6targetE0EEEvSP_.num_agpr, 0
	.set _ZN7rocprim17ROCPRIM_400000_NS6detail17trampoline_kernelINS0_14default_configENS1_32segmented_reduce_config_selectorIfEEZNS1_21segmented_reduce_implIS3_PKfPfPKifN6hipcub16HIPCUB_304000_NS6detail27convert_result_type_wrapperIS8_S9_N2at6native12_GLOBAL__N_19CustomSumEEEEE10hipError_tPvRmT0_T1_jT2_SQ_T4_T3_P12ihipStream_tbEUlT_E_NS1_11comp_targetILNS1_3genE2ELNS1_11target_archE906ELNS1_3gpuE6ELNS1_3repE0EEENS1_30default_config_static_selectorELNS0_4arch9wavefront6targetE0EEEvSP_.numbered_sgpr, 0
	.set _ZN7rocprim17ROCPRIM_400000_NS6detail17trampoline_kernelINS0_14default_configENS1_32segmented_reduce_config_selectorIfEEZNS1_21segmented_reduce_implIS3_PKfPfPKifN6hipcub16HIPCUB_304000_NS6detail27convert_result_type_wrapperIS8_S9_N2at6native12_GLOBAL__N_19CustomSumEEEEE10hipError_tPvRmT0_T1_jT2_SQ_T4_T3_P12ihipStream_tbEUlT_E_NS1_11comp_targetILNS1_3genE2ELNS1_11target_archE906ELNS1_3gpuE6ELNS1_3repE0EEENS1_30default_config_static_selectorELNS0_4arch9wavefront6targetE0EEEvSP_.num_named_barrier, 0
	.set _ZN7rocprim17ROCPRIM_400000_NS6detail17trampoline_kernelINS0_14default_configENS1_32segmented_reduce_config_selectorIfEEZNS1_21segmented_reduce_implIS3_PKfPfPKifN6hipcub16HIPCUB_304000_NS6detail27convert_result_type_wrapperIS8_S9_N2at6native12_GLOBAL__N_19CustomSumEEEEE10hipError_tPvRmT0_T1_jT2_SQ_T4_T3_P12ihipStream_tbEUlT_E_NS1_11comp_targetILNS1_3genE2ELNS1_11target_archE906ELNS1_3gpuE6ELNS1_3repE0EEENS1_30default_config_static_selectorELNS0_4arch9wavefront6targetE0EEEvSP_.private_seg_size, 0
	.set _ZN7rocprim17ROCPRIM_400000_NS6detail17trampoline_kernelINS0_14default_configENS1_32segmented_reduce_config_selectorIfEEZNS1_21segmented_reduce_implIS3_PKfPfPKifN6hipcub16HIPCUB_304000_NS6detail27convert_result_type_wrapperIS8_S9_N2at6native12_GLOBAL__N_19CustomSumEEEEE10hipError_tPvRmT0_T1_jT2_SQ_T4_T3_P12ihipStream_tbEUlT_E_NS1_11comp_targetILNS1_3genE2ELNS1_11target_archE906ELNS1_3gpuE6ELNS1_3repE0EEENS1_30default_config_static_selectorELNS0_4arch9wavefront6targetE0EEEvSP_.uses_vcc, 0
	.set _ZN7rocprim17ROCPRIM_400000_NS6detail17trampoline_kernelINS0_14default_configENS1_32segmented_reduce_config_selectorIfEEZNS1_21segmented_reduce_implIS3_PKfPfPKifN6hipcub16HIPCUB_304000_NS6detail27convert_result_type_wrapperIS8_S9_N2at6native12_GLOBAL__N_19CustomSumEEEEE10hipError_tPvRmT0_T1_jT2_SQ_T4_T3_P12ihipStream_tbEUlT_E_NS1_11comp_targetILNS1_3genE2ELNS1_11target_archE906ELNS1_3gpuE6ELNS1_3repE0EEENS1_30default_config_static_selectorELNS0_4arch9wavefront6targetE0EEEvSP_.uses_flat_scratch, 0
	.set _ZN7rocprim17ROCPRIM_400000_NS6detail17trampoline_kernelINS0_14default_configENS1_32segmented_reduce_config_selectorIfEEZNS1_21segmented_reduce_implIS3_PKfPfPKifN6hipcub16HIPCUB_304000_NS6detail27convert_result_type_wrapperIS8_S9_N2at6native12_GLOBAL__N_19CustomSumEEEEE10hipError_tPvRmT0_T1_jT2_SQ_T4_T3_P12ihipStream_tbEUlT_E_NS1_11comp_targetILNS1_3genE2ELNS1_11target_archE906ELNS1_3gpuE6ELNS1_3repE0EEENS1_30default_config_static_selectorELNS0_4arch9wavefront6targetE0EEEvSP_.has_dyn_sized_stack, 0
	.set _ZN7rocprim17ROCPRIM_400000_NS6detail17trampoline_kernelINS0_14default_configENS1_32segmented_reduce_config_selectorIfEEZNS1_21segmented_reduce_implIS3_PKfPfPKifN6hipcub16HIPCUB_304000_NS6detail27convert_result_type_wrapperIS8_S9_N2at6native12_GLOBAL__N_19CustomSumEEEEE10hipError_tPvRmT0_T1_jT2_SQ_T4_T3_P12ihipStream_tbEUlT_E_NS1_11comp_targetILNS1_3genE2ELNS1_11target_archE906ELNS1_3gpuE6ELNS1_3repE0EEENS1_30default_config_static_selectorELNS0_4arch9wavefront6targetE0EEEvSP_.has_recursion, 0
	.set _ZN7rocprim17ROCPRIM_400000_NS6detail17trampoline_kernelINS0_14default_configENS1_32segmented_reduce_config_selectorIfEEZNS1_21segmented_reduce_implIS3_PKfPfPKifN6hipcub16HIPCUB_304000_NS6detail27convert_result_type_wrapperIS8_S9_N2at6native12_GLOBAL__N_19CustomSumEEEEE10hipError_tPvRmT0_T1_jT2_SQ_T4_T3_P12ihipStream_tbEUlT_E_NS1_11comp_targetILNS1_3genE2ELNS1_11target_archE906ELNS1_3gpuE6ELNS1_3repE0EEENS1_30default_config_static_selectorELNS0_4arch9wavefront6targetE0EEEvSP_.has_indirect_call, 0
	.section	.AMDGPU.csdata,"",@progbits
; Kernel info:
; codeLenInByte = 0
; TotalNumSgprs: 0
; NumVgprs: 0
; ScratchSize: 0
; MemoryBound: 0
; FloatMode: 240
; IeeeMode: 1
; LDSByteSize: 0 bytes/workgroup (compile time only)
; SGPRBlocks: 0
; VGPRBlocks: 0
; NumSGPRsForWavesPerEU: 1
; NumVGPRsForWavesPerEU: 1
; NamedBarCnt: 0
; Occupancy: 16
; WaveLimiterHint : 0
; COMPUTE_PGM_RSRC2:SCRATCH_EN: 0
; COMPUTE_PGM_RSRC2:USER_SGPR: 2
; COMPUTE_PGM_RSRC2:TRAP_HANDLER: 0
; COMPUTE_PGM_RSRC2:TGID_X_EN: 1
; COMPUTE_PGM_RSRC2:TGID_Y_EN: 0
; COMPUTE_PGM_RSRC2:TGID_Z_EN: 0
; COMPUTE_PGM_RSRC2:TIDIG_COMP_CNT: 0
	.section	.text._ZN7rocprim17ROCPRIM_400000_NS6detail17trampoline_kernelINS0_14default_configENS1_32segmented_reduce_config_selectorIfEEZNS1_21segmented_reduce_implIS3_PKfPfPKifN6hipcub16HIPCUB_304000_NS6detail27convert_result_type_wrapperIS8_S9_N2at6native12_GLOBAL__N_19CustomSumEEEEE10hipError_tPvRmT0_T1_jT2_SQ_T4_T3_P12ihipStream_tbEUlT_E_NS1_11comp_targetILNS1_3genE9ELNS1_11target_archE1100ELNS1_3gpuE3ELNS1_3repE0EEENS1_30default_config_static_selectorELNS0_4arch9wavefront6targetE0EEEvSP_,"axG",@progbits,_ZN7rocprim17ROCPRIM_400000_NS6detail17trampoline_kernelINS0_14default_configENS1_32segmented_reduce_config_selectorIfEEZNS1_21segmented_reduce_implIS3_PKfPfPKifN6hipcub16HIPCUB_304000_NS6detail27convert_result_type_wrapperIS8_S9_N2at6native12_GLOBAL__N_19CustomSumEEEEE10hipError_tPvRmT0_T1_jT2_SQ_T4_T3_P12ihipStream_tbEUlT_E_NS1_11comp_targetILNS1_3genE9ELNS1_11target_archE1100ELNS1_3gpuE3ELNS1_3repE0EEENS1_30default_config_static_selectorELNS0_4arch9wavefront6targetE0EEEvSP_,comdat
	.globl	_ZN7rocprim17ROCPRIM_400000_NS6detail17trampoline_kernelINS0_14default_configENS1_32segmented_reduce_config_selectorIfEEZNS1_21segmented_reduce_implIS3_PKfPfPKifN6hipcub16HIPCUB_304000_NS6detail27convert_result_type_wrapperIS8_S9_N2at6native12_GLOBAL__N_19CustomSumEEEEE10hipError_tPvRmT0_T1_jT2_SQ_T4_T3_P12ihipStream_tbEUlT_E_NS1_11comp_targetILNS1_3genE9ELNS1_11target_archE1100ELNS1_3gpuE3ELNS1_3repE0EEENS1_30default_config_static_selectorELNS0_4arch9wavefront6targetE0EEEvSP_ ; -- Begin function _ZN7rocprim17ROCPRIM_400000_NS6detail17trampoline_kernelINS0_14default_configENS1_32segmented_reduce_config_selectorIfEEZNS1_21segmented_reduce_implIS3_PKfPfPKifN6hipcub16HIPCUB_304000_NS6detail27convert_result_type_wrapperIS8_S9_N2at6native12_GLOBAL__N_19CustomSumEEEEE10hipError_tPvRmT0_T1_jT2_SQ_T4_T3_P12ihipStream_tbEUlT_E_NS1_11comp_targetILNS1_3genE9ELNS1_11target_archE1100ELNS1_3gpuE3ELNS1_3repE0EEENS1_30default_config_static_selectorELNS0_4arch9wavefront6targetE0EEEvSP_
	.p2align	8
	.type	_ZN7rocprim17ROCPRIM_400000_NS6detail17trampoline_kernelINS0_14default_configENS1_32segmented_reduce_config_selectorIfEEZNS1_21segmented_reduce_implIS3_PKfPfPKifN6hipcub16HIPCUB_304000_NS6detail27convert_result_type_wrapperIS8_S9_N2at6native12_GLOBAL__N_19CustomSumEEEEE10hipError_tPvRmT0_T1_jT2_SQ_T4_T3_P12ihipStream_tbEUlT_E_NS1_11comp_targetILNS1_3genE9ELNS1_11target_archE1100ELNS1_3gpuE3ELNS1_3repE0EEENS1_30default_config_static_selectorELNS0_4arch9wavefront6targetE0EEEvSP_,@function
_ZN7rocprim17ROCPRIM_400000_NS6detail17trampoline_kernelINS0_14default_configENS1_32segmented_reduce_config_selectorIfEEZNS1_21segmented_reduce_implIS3_PKfPfPKifN6hipcub16HIPCUB_304000_NS6detail27convert_result_type_wrapperIS8_S9_N2at6native12_GLOBAL__N_19CustomSumEEEEE10hipError_tPvRmT0_T1_jT2_SQ_T4_T3_P12ihipStream_tbEUlT_E_NS1_11comp_targetILNS1_3genE9ELNS1_11target_archE1100ELNS1_3gpuE3ELNS1_3repE0EEENS1_30default_config_static_selectorELNS0_4arch9wavefront6targetE0EEEvSP_: ; @_ZN7rocprim17ROCPRIM_400000_NS6detail17trampoline_kernelINS0_14default_configENS1_32segmented_reduce_config_selectorIfEEZNS1_21segmented_reduce_implIS3_PKfPfPKifN6hipcub16HIPCUB_304000_NS6detail27convert_result_type_wrapperIS8_S9_N2at6native12_GLOBAL__N_19CustomSumEEEEE10hipError_tPvRmT0_T1_jT2_SQ_T4_T3_P12ihipStream_tbEUlT_E_NS1_11comp_targetILNS1_3genE9ELNS1_11target_archE1100ELNS1_3gpuE3ELNS1_3repE0EEENS1_30default_config_static_selectorELNS0_4arch9wavefront6targetE0EEEvSP_
; %bb.0:
	.section	.rodata,"a",@progbits
	.p2align	6, 0x0
	.amdhsa_kernel _ZN7rocprim17ROCPRIM_400000_NS6detail17trampoline_kernelINS0_14default_configENS1_32segmented_reduce_config_selectorIfEEZNS1_21segmented_reduce_implIS3_PKfPfPKifN6hipcub16HIPCUB_304000_NS6detail27convert_result_type_wrapperIS8_S9_N2at6native12_GLOBAL__N_19CustomSumEEEEE10hipError_tPvRmT0_T1_jT2_SQ_T4_T3_P12ihipStream_tbEUlT_E_NS1_11comp_targetILNS1_3genE9ELNS1_11target_archE1100ELNS1_3gpuE3ELNS1_3repE0EEENS1_30default_config_static_selectorELNS0_4arch9wavefront6targetE0EEEvSP_
		.amdhsa_group_segment_fixed_size 0
		.amdhsa_private_segment_fixed_size 0
		.amdhsa_kernarg_size 48
		.amdhsa_user_sgpr_count 2
		.amdhsa_user_sgpr_dispatch_ptr 0
		.amdhsa_user_sgpr_queue_ptr 0
		.amdhsa_user_sgpr_kernarg_segment_ptr 1
		.amdhsa_user_sgpr_dispatch_id 0
		.amdhsa_user_sgpr_kernarg_preload_length 0
		.amdhsa_user_sgpr_kernarg_preload_offset 0
		.amdhsa_user_sgpr_private_segment_size 0
		.amdhsa_wavefront_size32 1
		.amdhsa_uses_dynamic_stack 0
		.amdhsa_enable_private_segment 0
		.amdhsa_system_sgpr_workgroup_id_x 1
		.amdhsa_system_sgpr_workgroup_id_y 0
		.amdhsa_system_sgpr_workgroup_id_z 0
		.amdhsa_system_sgpr_workgroup_info 0
		.amdhsa_system_vgpr_workitem_id 0
		.amdhsa_next_free_vgpr 1
		.amdhsa_next_free_sgpr 1
		.amdhsa_named_barrier_count 0
		.amdhsa_reserve_vcc 0
		.amdhsa_float_round_mode_32 0
		.amdhsa_float_round_mode_16_64 0
		.amdhsa_float_denorm_mode_32 3
		.amdhsa_float_denorm_mode_16_64 3
		.amdhsa_fp16_overflow 0
		.amdhsa_memory_ordered 1
		.amdhsa_forward_progress 1
		.amdhsa_inst_pref_size 0
		.amdhsa_round_robin_scheduling 0
		.amdhsa_exception_fp_ieee_invalid_op 0
		.amdhsa_exception_fp_denorm_src 0
		.amdhsa_exception_fp_ieee_div_zero 0
		.amdhsa_exception_fp_ieee_overflow 0
		.amdhsa_exception_fp_ieee_underflow 0
		.amdhsa_exception_fp_ieee_inexact 0
		.amdhsa_exception_int_div_zero 0
	.end_amdhsa_kernel
	.section	.text._ZN7rocprim17ROCPRIM_400000_NS6detail17trampoline_kernelINS0_14default_configENS1_32segmented_reduce_config_selectorIfEEZNS1_21segmented_reduce_implIS3_PKfPfPKifN6hipcub16HIPCUB_304000_NS6detail27convert_result_type_wrapperIS8_S9_N2at6native12_GLOBAL__N_19CustomSumEEEEE10hipError_tPvRmT0_T1_jT2_SQ_T4_T3_P12ihipStream_tbEUlT_E_NS1_11comp_targetILNS1_3genE9ELNS1_11target_archE1100ELNS1_3gpuE3ELNS1_3repE0EEENS1_30default_config_static_selectorELNS0_4arch9wavefront6targetE0EEEvSP_,"axG",@progbits,_ZN7rocprim17ROCPRIM_400000_NS6detail17trampoline_kernelINS0_14default_configENS1_32segmented_reduce_config_selectorIfEEZNS1_21segmented_reduce_implIS3_PKfPfPKifN6hipcub16HIPCUB_304000_NS6detail27convert_result_type_wrapperIS8_S9_N2at6native12_GLOBAL__N_19CustomSumEEEEE10hipError_tPvRmT0_T1_jT2_SQ_T4_T3_P12ihipStream_tbEUlT_E_NS1_11comp_targetILNS1_3genE9ELNS1_11target_archE1100ELNS1_3gpuE3ELNS1_3repE0EEENS1_30default_config_static_selectorELNS0_4arch9wavefront6targetE0EEEvSP_,comdat
.Lfunc_end57:
	.size	_ZN7rocprim17ROCPRIM_400000_NS6detail17trampoline_kernelINS0_14default_configENS1_32segmented_reduce_config_selectorIfEEZNS1_21segmented_reduce_implIS3_PKfPfPKifN6hipcub16HIPCUB_304000_NS6detail27convert_result_type_wrapperIS8_S9_N2at6native12_GLOBAL__N_19CustomSumEEEEE10hipError_tPvRmT0_T1_jT2_SQ_T4_T3_P12ihipStream_tbEUlT_E_NS1_11comp_targetILNS1_3genE9ELNS1_11target_archE1100ELNS1_3gpuE3ELNS1_3repE0EEENS1_30default_config_static_selectorELNS0_4arch9wavefront6targetE0EEEvSP_, .Lfunc_end57-_ZN7rocprim17ROCPRIM_400000_NS6detail17trampoline_kernelINS0_14default_configENS1_32segmented_reduce_config_selectorIfEEZNS1_21segmented_reduce_implIS3_PKfPfPKifN6hipcub16HIPCUB_304000_NS6detail27convert_result_type_wrapperIS8_S9_N2at6native12_GLOBAL__N_19CustomSumEEEEE10hipError_tPvRmT0_T1_jT2_SQ_T4_T3_P12ihipStream_tbEUlT_E_NS1_11comp_targetILNS1_3genE9ELNS1_11target_archE1100ELNS1_3gpuE3ELNS1_3repE0EEENS1_30default_config_static_selectorELNS0_4arch9wavefront6targetE0EEEvSP_
                                        ; -- End function
	.set _ZN7rocprim17ROCPRIM_400000_NS6detail17trampoline_kernelINS0_14default_configENS1_32segmented_reduce_config_selectorIfEEZNS1_21segmented_reduce_implIS3_PKfPfPKifN6hipcub16HIPCUB_304000_NS6detail27convert_result_type_wrapperIS8_S9_N2at6native12_GLOBAL__N_19CustomSumEEEEE10hipError_tPvRmT0_T1_jT2_SQ_T4_T3_P12ihipStream_tbEUlT_E_NS1_11comp_targetILNS1_3genE9ELNS1_11target_archE1100ELNS1_3gpuE3ELNS1_3repE0EEENS1_30default_config_static_selectorELNS0_4arch9wavefront6targetE0EEEvSP_.num_vgpr, 0
	.set _ZN7rocprim17ROCPRIM_400000_NS6detail17trampoline_kernelINS0_14default_configENS1_32segmented_reduce_config_selectorIfEEZNS1_21segmented_reduce_implIS3_PKfPfPKifN6hipcub16HIPCUB_304000_NS6detail27convert_result_type_wrapperIS8_S9_N2at6native12_GLOBAL__N_19CustomSumEEEEE10hipError_tPvRmT0_T1_jT2_SQ_T4_T3_P12ihipStream_tbEUlT_E_NS1_11comp_targetILNS1_3genE9ELNS1_11target_archE1100ELNS1_3gpuE3ELNS1_3repE0EEENS1_30default_config_static_selectorELNS0_4arch9wavefront6targetE0EEEvSP_.num_agpr, 0
	.set _ZN7rocprim17ROCPRIM_400000_NS6detail17trampoline_kernelINS0_14default_configENS1_32segmented_reduce_config_selectorIfEEZNS1_21segmented_reduce_implIS3_PKfPfPKifN6hipcub16HIPCUB_304000_NS6detail27convert_result_type_wrapperIS8_S9_N2at6native12_GLOBAL__N_19CustomSumEEEEE10hipError_tPvRmT0_T1_jT2_SQ_T4_T3_P12ihipStream_tbEUlT_E_NS1_11comp_targetILNS1_3genE9ELNS1_11target_archE1100ELNS1_3gpuE3ELNS1_3repE0EEENS1_30default_config_static_selectorELNS0_4arch9wavefront6targetE0EEEvSP_.numbered_sgpr, 0
	.set _ZN7rocprim17ROCPRIM_400000_NS6detail17trampoline_kernelINS0_14default_configENS1_32segmented_reduce_config_selectorIfEEZNS1_21segmented_reduce_implIS3_PKfPfPKifN6hipcub16HIPCUB_304000_NS6detail27convert_result_type_wrapperIS8_S9_N2at6native12_GLOBAL__N_19CustomSumEEEEE10hipError_tPvRmT0_T1_jT2_SQ_T4_T3_P12ihipStream_tbEUlT_E_NS1_11comp_targetILNS1_3genE9ELNS1_11target_archE1100ELNS1_3gpuE3ELNS1_3repE0EEENS1_30default_config_static_selectorELNS0_4arch9wavefront6targetE0EEEvSP_.num_named_barrier, 0
	.set _ZN7rocprim17ROCPRIM_400000_NS6detail17trampoline_kernelINS0_14default_configENS1_32segmented_reduce_config_selectorIfEEZNS1_21segmented_reduce_implIS3_PKfPfPKifN6hipcub16HIPCUB_304000_NS6detail27convert_result_type_wrapperIS8_S9_N2at6native12_GLOBAL__N_19CustomSumEEEEE10hipError_tPvRmT0_T1_jT2_SQ_T4_T3_P12ihipStream_tbEUlT_E_NS1_11comp_targetILNS1_3genE9ELNS1_11target_archE1100ELNS1_3gpuE3ELNS1_3repE0EEENS1_30default_config_static_selectorELNS0_4arch9wavefront6targetE0EEEvSP_.private_seg_size, 0
	.set _ZN7rocprim17ROCPRIM_400000_NS6detail17trampoline_kernelINS0_14default_configENS1_32segmented_reduce_config_selectorIfEEZNS1_21segmented_reduce_implIS3_PKfPfPKifN6hipcub16HIPCUB_304000_NS6detail27convert_result_type_wrapperIS8_S9_N2at6native12_GLOBAL__N_19CustomSumEEEEE10hipError_tPvRmT0_T1_jT2_SQ_T4_T3_P12ihipStream_tbEUlT_E_NS1_11comp_targetILNS1_3genE9ELNS1_11target_archE1100ELNS1_3gpuE3ELNS1_3repE0EEENS1_30default_config_static_selectorELNS0_4arch9wavefront6targetE0EEEvSP_.uses_vcc, 0
	.set _ZN7rocprim17ROCPRIM_400000_NS6detail17trampoline_kernelINS0_14default_configENS1_32segmented_reduce_config_selectorIfEEZNS1_21segmented_reduce_implIS3_PKfPfPKifN6hipcub16HIPCUB_304000_NS6detail27convert_result_type_wrapperIS8_S9_N2at6native12_GLOBAL__N_19CustomSumEEEEE10hipError_tPvRmT0_T1_jT2_SQ_T4_T3_P12ihipStream_tbEUlT_E_NS1_11comp_targetILNS1_3genE9ELNS1_11target_archE1100ELNS1_3gpuE3ELNS1_3repE0EEENS1_30default_config_static_selectorELNS0_4arch9wavefront6targetE0EEEvSP_.uses_flat_scratch, 0
	.set _ZN7rocprim17ROCPRIM_400000_NS6detail17trampoline_kernelINS0_14default_configENS1_32segmented_reduce_config_selectorIfEEZNS1_21segmented_reduce_implIS3_PKfPfPKifN6hipcub16HIPCUB_304000_NS6detail27convert_result_type_wrapperIS8_S9_N2at6native12_GLOBAL__N_19CustomSumEEEEE10hipError_tPvRmT0_T1_jT2_SQ_T4_T3_P12ihipStream_tbEUlT_E_NS1_11comp_targetILNS1_3genE9ELNS1_11target_archE1100ELNS1_3gpuE3ELNS1_3repE0EEENS1_30default_config_static_selectorELNS0_4arch9wavefront6targetE0EEEvSP_.has_dyn_sized_stack, 0
	.set _ZN7rocprim17ROCPRIM_400000_NS6detail17trampoline_kernelINS0_14default_configENS1_32segmented_reduce_config_selectorIfEEZNS1_21segmented_reduce_implIS3_PKfPfPKifN6hipcub16HIPCUB_304000_NS6detail27convert_result_type_wrapperIS8_S9_N2at6native12_GLOBAL__N_19CustomSumEEEEE10hipError_tPvRmT0_T1_jT2_SQ_T4_T3_P12ihipStream_tbEUlT_E_NS1_11comp_targetILNS1_3genE9ELNS1_11target_archE1100ELNS1_3gpuE3ELNS1_3repE0EEENS1_30default_config_static_selectorELNS0_4arch9wavefront6targetE0EEEvSP_.has_recursion, 0
	.set _ZN7rocprim17ROCPRIM_400000_NS6detail17trampoline_kernelINS0_14default_configENS1_32segmented_reduce_config_selectorIfEEZNS1_21segmented_reduce_implIS3_PKfPfPKifN6hipcub16HIPCUB_304000_NS6detail27convert_result_type_wrapperIS8_S9_N2at6native12_GLOBAL__N_19CustomSumEEEEE10hipError_tPvRmT0_T1_jT2_SQ_T4_T3_P12ihipStream_tbEUlT_E_NS1_11comp_targetILNS1_3genE9ELNS1_11target_archE1100ELNS1_3gpuE3ELNS1_3repE0EEENS1_30default_config_static_selectorELNS0_4arch9wavefront6targetE0EEEvSP_.has_indirect_call, 0
	.section	.AMDGPU.csdata,"",@progbits
; Kernel info:
; codeLenInByte = 0
; TotalNumSgprs: 0
; NumVgprs: 0
; ScratchSize: 0
; MemoryBound: 0
; FloatMode: 240
; IeeeMode: 1
; LDSByteSize: 0 bytes/workgroup (compile time only)
; SGPRBlocks: 0
; VGPRBlocks: 0
; NumSGPRsForWavesPerEU: 1
; NumVGPRsForWavesPerEU: 1
; NamedBarCnt: 0
; Occupancy: 16
; WaveLimiterHint : 0
; COMPUTE_PGM_RSRC2:SCRATCH_EN: 0
; COMPUTE_PGM_RSRC2:USER_SGPR: 2
; COMPUTE_PGM_RSRC2:TRAP_HANDLER: 0
; COMPUTE_PGM_RSRC2:TGID_X_EN: 1
; COMPUTE_PGM_RSRC2:TGID_Y_EN: 0
; COMPUTE_PGM_RSRC2:TGID_Z_EN: 0
; COMPUTE_PGM_RSRC2:TIDIG_COMP_CNT: 0
	.section	.text._ZN7rocprim17ROCPRIM_400000_NS6detail17trampoline_kernelINS0_14default_configENS1_32segmented_reduce_config_selectorIfEEZNS1_21segmented_reduce_implIS3_PKfPfPKifN6hipcub16HIPCUB_304000_NS6detail27convert_result_type_wrapperIS8_S9_N2at6native12_GLOBAL__N_19CustomSumEEEEE10hipError_tPvRmT0_T1_jT2_SQ_T4_T3_P12ihipStream_tbEUlT_E_NS1_11comp_targetILNS1_3genE8ELNS1_11target_archE1030ELNS1_3gpuE2ELNS1_3repE0EEENS1_30default_config_static_selectorELNS0_4arch9wavefront6targetE0EEEvSP_,"axG",@progbits,_ZN7rocprim17ROCPRIM_400000_NS6detail17trampoline_kernelINS0_14default_configENS1_32segmented_reduce_config_selectorIfEEZNS1_21segmented_reduce_implIS3_PKfPfPKifN6hipcub16HIPCUB_304000_NS6detail27convert_result_type_wrapperIS8_S9_N2at6native12_GLOBAL__N_19CustomSumEEEEE10hipError_tPvRmT0_T1_jT2_SQ_T4_T3_P12ihipStream_tbEUlT_E_NS1_11comp_targetILNS1_3genE8ELNS1_11target_archE1030ELNS1_3gpuE2ELNS1_3repE0EEENS1_30default_config_static_selectorELNS0_4arch9wavefront6targetE0EEEvSP_,comdat
	.globl	_ZN7rocprim17ROCPRIM_400000_NS6detail17trampoline_kernelINS0_14default_configENS1_32segmented_reduce_config_selectorIfEEZNS1_21segmented_reduce_implIS3_PKfPfPKifN6hipcub16HIPCUB_304000_NS6detail27convert_result_type_wrapperIS8_S9_N2at6native12_GLOBAL__N_19CustomSumEEEEE10hipError_tPvRmT0_T1_jT2_SQ_T4_T3_P12ihipStream_tbEUlT_E_NS1_11comp_targetILNS1_3genE8ELNS1_11target_archE1030ELNS1_3gpuE2ELNS1_3repE0EEENS1_30default_config_static_selectorELNS0_4arch9wavefront6targetE0EEEvSP_ ; -- Begin function _ZN7rocprim17ROCPRIM_400000_NS6detail17trampoline_kernelINS0_14default_configENS1_32segmented_reduce_config_selectorIfEEZNS1_21segmented_reduce_implIS3_PKfPfPKifN6hipcub16HIPCUB_304000_NS6detail27convert_result_type_wrapperIS8_S9_N2at6native12_GLOBAL__N_19CustomSumEEEEE10hipError_tPvRmT0_T1_jT2_SQ_T4_T3_P12ihipStream_tbEUlT_E_NS1_11comp_targetILNS1_3genE8ELNS1_11target_archE1030ELNS1_3gpuE2ELNS1_3repE0EEENS1_30default_config_static_selectorELNS0_4arch9wavefront6targetE0EEEvSP_
	.p2align	8
	.type	_ZN7rocprim17ROCPRIM_400000_NS6detail17trampoline_kernelINS0_14default_configENS1_32segmented_reduce_config_selectorIfEEZNS1_21segmented_reduce_implIS3_PKfPfPKifN6hipcub16HIPCUB_304000_NS6detail27convert_result_type_wrapperIS8_S9_N2at6native12_GLOBAL__N_19CustomSumEEEEE10hipError_tPvRmT0_T1_jT2_SQ_T4_T3_P12ihipStream_tbEUlT_E_NS1_11comp_targetILNS1_3genE8ELNS1_11target_archE1030ELNS1_3gpuE2ELNS1_3repE0EEENS1_30default_config_static_selectorELNS0_4arch9wavefront6targetE0EEEvSP_,@function
_ZN7rocprim17ROCPRIM_400000_NS6detail17trampoline_kernelINS0_14default_configENS1_32segmented_reduce_config_selectorIfEEZNS1_21segmented_reduce_implIS3_PKfPfPKifN6hipcub16HIPCUB_304000_NS6detail27convert_result_type_wrapperIS8_S9_N2at6native12_GLOBAL__N_19CustomSumEEEEE10hipError_tPvRmT0_T1_jT2_SQ_T4_T3_P12ihipStream_tbEUlT_E_NS1_11comp_targetILNS1_3genE8ELNS1_11target_archE1030ELNS1_3gpuE2ELNS1_3repE0EEENS1_30default_config_static_selectorELNS0_4arch9wavefront6targetE0EEEvSP_: ; @_ZN7rocprim17ROCPRIM_400000_NS6detail17trampoline_kernelINS0_14default_configENS1_32segmented_reduce_config_selectorIfEEZNS1_21segmented_reduce_implIS3_PKfPfPKifN6hipcub16HIPCUB_304000_NS6detail27convert_result_type_wrapperIS8_S9_N2at6native12_GLOBAL__N_19CustomSumEEEEE10hipError_tPvRmT0_T1_jT2_SQ_T4_T3_P12ihipStream_tbEUlT_E_NS1_11comp_targetILNS1_3genE8ELNS1_11target_archE1030ELNS1_3gpuE2ELNS1_3repE0EEENS1_30default_config_static_selectorELNS0_4arch9wavefront6targetE0EEEvSP_
; %bb.0:
	.section	.rodata,"a",@progbits
	.p2align	6, 0x0
	.amdhsa_kernel _ZN7rocprim17ROCPRIM_400000_NS6detail17trampoline_kernelINS0_14default_configENS1_32segmented_reduce_config_selectorIfEEZNS1_21segmented_reduce_implIS3_PKfPfPKifN6hipcub16HIPCUB_304000_NS6detail27convert_result_type_wrapperIS8_S9_N2at6native12_GLOBAL__N_19CustomSumEEEEE10hipError_tPvRmT0_T1_jT2_SQ_T4_T3_P12ihipStream_tbEUlT_E_NS1_11comp_targetILNS1_3genE8ELNS1_11target_archE1030ELNS1_3gpuE2ELNS1_3repE0EEENS1_30default_config_static_selectorELNS0_4arch9wavefront6targetE0EEEvSP_
		.amdhsa_group_segment_fixed_size 0
		.amdhsa_private_segment_fixed_size 0
		.amdhsa_kernarg_size 48
		.amdhsa_user_sgpr_count 2
		.amdhsa_user_sgpr_dispatch_ptr 0
		.amdhsa_user_sgpr_queue_ptr 0
		.amdhsa_user_sgpr_kernarg_segment_ptr 1
		.amdhsa_user_sgpr_dispatch_id 0
		.amdhsa_user_sgpr_kernarg_preload_length 0
		.amdhsa_user_sgpr_kernarg_preload_offset 0
		.amdhsa_user_sgpr_private_segment_size 0
		.amdhsa_wavefront_size32 1
		.amdhsa_uses_dynamic_stack 0
		.amdhsa_enable_private_segment 0
		.amdhsa_system_sgpr_workgroup_id_x 1
		.amdhsa_system_sgpr_workgroup_id_y 0
		.amdhsa_system_sgpr_workgroup_id_z 0
		.amdhsa_system_sgpr_workgroup_info 0
		.amdhsa_system_vgpr_workitem_id 0
		.amdhsa_next_free_vgpr 1
		.amdhsa_next_free_sgpr 1
		.amdhsa_named_barrier_count 0
		.amdhsa_reserve_vcc 0
		.amdhsa_float_round_mode_32 0
		.amdhsa_float_round_mode_16_64 0
		.amdhsa_float_denorm_mode_32 3
		.amdhsa_float_denorm_mode_16_64 3
		.amdhsa_fp16_overflow 0
		.amdhsa_memory_ordered 1
		.amdhsa_forward_progress 1
		.amdhsa_inst_pref_size 0
		.amdhsa_round_robin_scheduling 0
		.amdhsa_exception_fp_ieee_invalid_op 0
		.amdhsa_exception_fp_denorm_src 0
		.amdhsa_exception_fp_ieee_div_zero 0
		.amdhsa_exception_fp_ieee_overflow 0
		.amdhsa_exception_fp_ieee_underflow 0
		.amdhsa_exception_fp_ieee_inexact 0
		.amdhsa_exception_int_div_zero 0
	.end_amdhsa_kernel
	.section	.text._ZN7rocprim17ROCPRIM_400000_NS6detail17trampoline_kernelINS0_14default_configENS1_32segmented_reduce_config_selectorIfEEZNS1_21segmented_reduce_implIS3_PKfPfPKifN6hipcub16HIPCUB_304000_NS6detail27convert_result_type_wrapperIS8_S9_N2at6native12_GLOBAL__N_19CustomSumEEEEE10hipError_tPvRmT0_T1_jT2_SQ_T4_T3_P12ihipStream_tbEUlT_E_NS1_11comp_targetILNS1_3genE8ELNS1_11target_archE1030ELNS1_3gpuE2ELNS1_3repE0EEENS1_30default_config_static_selectorELNS0_4arch9wavefront6targetE0EEEvSP_,"axG",@progbits,_ZN7rocprim17ROCPRIM_400000_NS6detail17trampoline_kernelINS0_14default_configENS1_32segmented_reduce_config_selectorIfEEZNS1_21segmented_reduce_implIS3_PKfPfPKifN6hipcub16HIPCUB_304000_NS6detail27convert_result_type_wrapperIS8_S9_N2at6native12_GLOBAL__N_19CustomSumEEEEE10hipError_tPvRmT0_T1_jT2_SQ_T4_T3_P12ihipStream_tbEUlT_E_NS1_11comp_targetILNS1_3genE8ELNS1_11target_archE1030ELNS1_3gpuE2ELNS1_3repE0EEENS1_30default_config_static_selectorELNS0_4arch9wavefront6targetE0EEEvSP_,comdat
.Lfunc_end58:
	.size	_ZN7rocprim17ROCPRIM_400000_NS6detail17trampoline_kernelINS0_14default_configENS1_32segmented_reduce_config_selectorIfEEZNS1_21segmented_reduce_implIS3_PKfPfPKifN6hipcub16HIPCUB_304000_NS6detail27convert_result_type_wrapperIS8_S9_N2at6native12_GLOBAL__N_19CustomSumEEEEE10hipError_tPvRmT0_T1_jT2_SQ_T4_T3_P12ihipStream_tbEUlT_E_NS1_11comp_targetILNS1_3genE8ELNS1_11target_archE1030ELNS1_3gpuE2ELNS1_3repE0EEENS1_30default_config_static_selectorELNS0_4arch9wavefront6targetE0EEEvSP_, .Lfunc_end58-_ZN7rocprim17ROCPRIM_400000_NS6detail17trampoline_kernelINS0_14default_configENS1_32segmented_reduce_config_selectorIfEEZNS1_21segmented_reduce_implIS3_PKfPfPKifN6hipcub16HIPCUB_304000_NS6detail27convert_result_type_wrapperIS8_S9_N2at6native12_GLOBAL__N_19CustomSumEEEEE10hipError_tPvRmT0_T1_jT2_SQ_T4_T3_P12ihipStream_tbEUlT_E_NS1_11comp_targetILNS1_3genE8ELNS1_11target_archE1030ELNS1_3gpuE2ELNS1_3repE0EEENS1_30default_config_static_selectorELNS0_4arch9wavefront6targetE0EEEvSP_
                                        ; -- End function
	.set _ZN7rocprim17ROCPRIM_400000_NS6detail17trampoline_kernelINS0_14default_configENS1_32segmented_reduce_config_selectorIfEEZNS1_21segmented_reduce_implIS3_PKfPfPKifN6hipcub16HIPCUB_304000_NS6detail27convert_result_type_wrapperIS8_S9_N2at6native12_GLOBAL__N_19CustomSumEEEEE10hipError_tPvRmT0_T1_jT2_SQ_T4_T3_P12ihipStream_tbEUlT_E_NS1_11comp_targetILNS1_3genE8ELNS1_11target_archE1030ELNS1_3gpuE2ELNS1_3repE0EEENS1_30default_config_static_selectorELNS0_4arch9wavefront6targetE0EEEvSP_.num_vgpr, 0
	.set _ZN7rocprim17ROCPRIM_400000_NS6detail17trampoline_kernelINS0_14default_configENS1_32segmented_reduce_config_selectorIfEEZNS1_21segmented_reduce_implIS3_PKfPfPKifN6hipcub16HIPCUB_304000_NS6detail27convert_result_type_wrapperIS8_S9_N2at6native12_GLOBAL__N_19CustomSumEEEEE10hipError_tPvRmT0_T1_jT2_SQ_T4_T3_P12ihipStream_tbEUlT_E_NS1_11comp_targetILNS1_3genE8ELNS1_11target_archE1030ELNS1_3gpuE2ELNS1_3repE0EEENS1_30default_config_static_selectorELNS0_4arch9wavefront6targetE0EEEvSP_.num_agpr, 0
	.set _ZN7rocprim17ROCPRIM_400000_NS6detail17trampoline_kernelINS0_14default_configENS1_32segmented_reduce_config_selectorIfEEZNS1_21segmented_reduce_implIS3_PKfPfPKifN6hipcub16HIPCUB_304000_NS6detail27convert_result_type_wrapperIS8_S9_N2at6native12_GLOBAL__N_19CustomSumEEEEE10hipError_tPvRmT0_T1_jT2_SQ_T4_T3_P12ihipStream_tbEUlT_E_NS1_11comp_targetILNS1_3genE8ELNS1_11target_archE1030ELNS1_3gpuE2ELNS1_3repE0EEENS1_30default_config_static_selectorELNS0_4arch9wavefront6targetE0EEEvSP_.numbered_sgpr, 0
	.set _ZN7rocprim17ROCPRIM_400000_NS6detail17trampoline_kernelINS0_14default_configENS1_32segmented_reduce_config_selectorIfEEZNS1_21segmented_reduce_implIS3_PKfPfPKifN6hipcub16HIPCUB_304000_NS6detail27convert_result_type_wrapperIS8_S9_N2at6native12_GLOBAL__N_19CustomSumEEEEE10hipError_tPvRmT0_T1_jT2_SQ_T4_T3_P12ihipStream_tbEUlT_E_NS1_11comp_targetILNS1_3genE8ELNS1_11target_archE1030ELNS1_3gpuE2ELNS1_3repE0EEENS1_30default_config_static_selectorELNS0_4arch9wavefront6targetE0EEEvSP_.num_named_barrier, 0
	.set _ZN7rocprim17ROCPRIM_400000_NS6detail17trampoline_kernelINS0_14default_configENS1_32segmented_reduce_config_selectorIfEEZNS1_21segmented_reduce_implIS3_PKfPfPKifN6hipcub16HIPCUB_304000_NS6detail27convert_result_type_wrapperIS8_S9_N2at6native12_GLOBAL__N_19CustomSumEEEEE10hipError_tPvRmT0_T1_jT2_SQ_T4_T3_P12ihipStream_tbEUlT_E_NS1_11comp_targetILNS1_3genE8ELNS1_11target_archE1030ELNS1_3gpuE2ELNS1_3repE0EEENS1_30default_config_static_selectorELNS0_4arch9wavefront6targetE0EEEvSP_.private_seg_size, 0
	.set _ZN7rocprim17ROCPRIM_400000_NS6detail17trampoline_kernelINS0_14default_configENS1_32segmented_reduce_config_selectorIfEEZNS1_21segmented_reduce_implIS3_PKfPfPKifN6hipcub16HIPCUB_304000_NS6detail27convert_result_type_wrapperIS8_S9_N2at6native12_GLOBAL__N_19CustomSumEEEEE10hipError_tPvRmT0_T1_jT2_SQ_T4_T3_P12ihipStream_tbEUlT_E_NS1_11comp_targetILNS1_3genE8ELNS1_11target_archE1030ELNS1_3gpuE2ELNS1_3repE0EEENS1_30default_config_static_selectorELNS0_4arch9wavefront6targetE0EEEvSP_.uses_vcc, 0
	.set _ZN7rocprim17ROCPRIM_400000_NS6detail17trampoline_kernelINS0_14default_configENS1_32segmented_reduce_config_selectorIfEEZNS1_21segmented_reduce_implIS3_PKfPfPKifN6hipcub16HIPCUB_304000_NS6detail27convert_result_type_wrapperIS8_S9_N2at6native12_GLOBAL__N_19CustomSumEEEEE10hipError_tPvRmT0_T1_jT2_SQ_T4_T3_P12ihipStream_tbEUlT_E_NS1_11comp_targetILNS1_3genE8ELNS1_11target_archE1030ELNS1_3gpuE2ELNS1_3repE0EEENS1_30default_config_static_selectorELNS0_4arch9wavefront6targetE0EEEvSP_.uses_flat_scratch, 0
	.set _ZN7rocprim17ROCPRIM_400000_NS6detail17trampoline_kernelINS0_14default_configENS1_32segmented_reduce_config_selectorIfEEZNS1_21segmented_reduce_implIS3_PKfPfPKifN6hipcub16HIPCUB_304000_NS6detail27convert_result_type_wrapperIS8_S9_N2at6native12_GLOBAL__N_19CustomSumEEEEE10hipError_tPvRmT0_T1_jT2_SQ_T4_T3_P12ihipStream_tbEUlT_E_NS1_11comp_targetILNS1_3genE8ELNS1_11target_archE1030ELNS1_3gpuE2ELNS1_3repE0EEENS1_30default_config_static_selectorELNS0_4arch9wavefront6targetE0EEEvSP_.has_dyn_sized_stack, 0
	.set _ZN7rocprim17ROCPRIM_400000_NS6detail17trampoline_kernelINS0_14default_configENS1_32segmented_reduce_config_selectorIfEEZNS1_21segmented_reduce_implIS3_PKfPfPKifN6hipcub16HIPCUB_304000_NS6detail27convert_result_type_wrapperIS8_S9_N2at6native12_GLOBAL__N_19CustomSumEEEEE10hipError_tPvRmT0_T1_jT2_SQ_T4_T3_P12ihipStream_tbEUlT_E_NS1_11comp_targetILNS1_3genE8ELNS1_11target_archE1030ELNS1_3gpuE2ELNS1_3repE0EEENS1_30default_config_static_selectorELNS0_4arch9wavefront6targetE0EEEvSP_.has_recursion, 0
	.set _ZN7rocprim17ROCPRIM_400000_NS6detail17trampoline_kernelINS0_14default_configENS1_32segmented_reduce_config_selectorIfEEZNS1_21segmented_reduce_implIS3_PKfPfPKifN6hipcub16HIPCUB_304000_NS6detail27convert_result_type_wrapperIS8_S9_N2at6native12_GLOBAL__N_19CustomSumEEEEE10hipError_tPvRmT0_T1_jT2_SQ_T4_T3_P12ihipStream_tbEUlT_E_NS1_11comp_targetILNS1_3genE8ELNS1_11target_archE1030ELNS1_3gpuE2ELNS1_3repE0EEENS1_30default_config_static_selectorELNS0_4arch9wavefront6targetE0EEEvSP_.has_indirect_call, 0
	.section	.AMDGPU.csdata,"",@progbits
; Kernel info:
; codeLenInByte = 0
; TotalNumSgprs: 0
; NumVgprs: 0
; ScratchSize: 0
; MemoryBound: 0
; FloatMode: 240
; IeeeMode: 1
; LDSByteSize: 0 bytes/workgroup (compile time only)
; SGPRBlocks: 0
; VGPRBlocks: 0
; NumSGPRsForWavesPerEU: 1
; NumVGPRsForWavesPerEU: 1
; NamedBarCnt: 0
; Occupancy: 16
; WaveLimiterHint : 0
; COMPUTE_PGM_RSRC2:SCRATCH_EN: 0
; COMPUTE_PGM_RSRC2:USER_SGPR: 2
; COMPUTE_PGM_RSRC2:TRAP_HANDLER: 0
; COMPUTE_PGM_RSRC2:TGID_X_EN: 1
; COMPUTE_PGM_RSRC2:TGID_Y_EN: 0
; COMPUTE_PGM_RSRC2:TGID_Z_EN: 0
; COMPUTE_PGM_RSRC2:TIDIG_COMP_CNT: 0
	.section	.text._ZN2at6native12_GLOBAL__N_119post_sum_div_kernelIfiEEvPT_PKT0_lbS3_,"axG",@progbits,_ZN2at6native12_GLOBAL__N_119post_sum_div_kernelIfiEEvPT_PKT0_lbS3_,comdat
	.globl	_ZN2at6native12_GLOBAL__N_119post_sum_div_kernelIfiEEvPT_PKT0_lbS3_ ; -- Begin function _ZN2at6native12_GLOBAL__N_119post_sum_div_kernelIfiEEvPT_PKT0_lbS3_
	.p2align	8
	.type	_ZN2at6native12_GLOBAL__N_119post_sum_div_kernelIfiEEvPT_PKT0_lbS3_,@function
_ZN2at6native12_GLOBAL__N_119post_sum_div_kernelIfiEEvPT_PKT0_lbS3_: ; @_ZN2at6native12_GLOBAL__N_119post_sum_div_kernelIfiEEvPT_PKT0_lbS3_
; %bb.0:
	s_clause 0x1
	s_load_b32 s4, s[0:1], 0x2c
	s_load_b64 s[2:3], s[0:1], 0x10
	s_bfe_u32 s5, ttmp6, 0x4000c
	s_and_b32 s6, ttmp6, 15
	s_add_co_i32 s5, s5, 1
	s_getreg_b32 s7, hwreg(HW_REG_IB_STS2, 6, 4)
	s_mul_i32 s5, ttmp9, s5
	v_mov_b32_e32 v1, 0
	s_add_co_i32 s6, s6, s5
	s_mov_b32 s9, 0
	s_wait_kmcnt 0x0
	s_and_b32 s8, s4, 0xffff
	s_cmp_eq_u32 s7, 0
	s_cselect_b32 s4, ttmp9, s6
	s_delay_alu instid0(SALU_CYCLE_1) | instskip(SKIP_1) | instid1(VALU_DEP_1)
	v_mad_nc_u64_u32 v[2:3], s8, s4, v[0:1]
	s_mov_b32 s4, exec_lo
	v_cmpx_gt_i64_e64 s[2:3], v[2:3]
	s_cbranch_execz .LBB59_12
; %bb.1:
	s_add_nc_u64 s[10:11], s[0:1], 32
	s_load_b64 s[12:13], s[0:1], 0x18
	s_load_b32 s14, s[10:11], 0x0
	s_load_b128 s[4:7], s[0:1], 0x0
	v_dual_mov_b32 v0, v1 :: v_dual_mov_b32 v1, v2
	s_wait_xcnt 0x0
	s_mov_b32 s0, s9
	s_mov_b32 s11, s9
	s_wait_kmcnt 0x0
	s_bitcmp1_b32 s12, 0
	s_mul_i32 s8, s14, s8
	s_cselect_b32 s10, s13, 0x7fc00000
	s_mov_b32 s1, s8
                                        ; implicit-def: $sgpr12
                                        ; implicit-def: $sgpr14
                                        ; implicit-def: $sgpr13
.LBB59_2:                               ; =>This Inner Loop Header: Depth=1
	v_ashrrev_i64 v[4:5], 30, v[0:1]
	s_or_b32 s13, s13, exec_lo
	s_or_b32 s14, s14, exec_lo
	s_mov_b32 s15, exec_lo
	s_delay_alu instid0(VALU_DEP_1)
	v_add_nc_u64_e32 v[4:5], s[6:7], v[4:5]
	global_load_b32 v6, v[4:5], off
	s_wait_loadcnt 0x0
	s_wait_xcnt 0x0
	v_cmpx_lt_i32_e32 -1, v6
	s_cbranch_execz .LBB59_10
; %bb.3:                                ;   in Loop: Header=BB59_2 Depth=1
	v_dual_mov_b32 v4, v1 :: v_dual_ashrrev_i32 v5, 31, v1
	v_mov_b32_e32 v7, s10
	s_mov_b32 s17, -1
	s_mov_b32 s16, exec_lo
	s_delay_alu instid0(VALU_DEP_2)
	v_lshl_add_u64 v[4:5], v[4:5], 2, s[4:5]
	v_cmpx_ne_u32_e32 0, v6
	s_cbranch_execz .LBB59_7
; %bb.4:                                ;   in Loop: Header=BB59_2 Depth=1
	global_load_b32 v8, v[4:5], off
	s_mov_b32 s17, 0
	s_mov_b32 s18, exec_lo
                                        ; implicit-def: $vgpr7
	s_wait_loadcnt 0x0
	s_wait_xcnt 0x0
	v_cmpx_o_f32_e32 v8, v8
	s_cbranch_execz .LBB59_6
; %bb.5:                                ;   in Loop: Header=BB59_2 Depth=1
	v_cvt_f32_u32_e32 v6, v6
	s_mov_b32 s17, exec_lo
	s_delay_alu instid0(VALU_DEP_1) | instskip(NEXT) | instid1(VALU_DEP_1)
	v_div_scale_f32 v7, null, v6, v6, v8
	v_rcp_f32_e32 v9, v7
	v_nop
	s_delay_alu instid0(TRANS32_DEP_1) | instskip(NEXT) | instid1(VALU_DEP_1)
	v_fma_f32 v10, -v7, v9, 1.0
	v_fmac_f32_e32 v9, v10, v9
	v_div_scale_f32 v10, vcc_lo, v8, v6, v8
	s_delay_alu instid0(VALU_DEP_1) | instskip(NEXT) | instid1(VALU_DEP_1)
	v_mul_f32_e32 v11, v10, v9
	v_fma_f32 v12, -v7, v11, v10
	s_delay_alu instid0(VALU_DEP_1) | instskip(NEXT) | instid1(VALU_DEP_1)
	v_fmac_f32_e32 v11, v12, v9
	v_fma_f32 v7, -v7, v11, v10
	s_delay_alu instid0(VALU_DEP_1) | instskip(NEXT) | instid1(VALU_DEP_1)
	v_div_fmas_f32 v7, v7, v9, v11
	v_div_fixup_f32 v7, v7, v6, v8
.LBB59_6:                               ;   in Loop: Header=BB59_2 Depth=1
	s_or_b32 exec_lo, exec_lo, s18
	s_delay_alu instid0(SALU_CYCLE_1)
	s_or_not1_b32 s17, s17, exec_lo
.LBB59_7:                               ;   in Loop: Header=BB59_2 Depth=1
	s_or_b32 exec_lo, exec_lo, s16
	s_and_saveexec_b32 s16, s17
	s_cbranch_execz .LBB59_9
; %bb.8:                                ;   in Loop: Header=BB59_2 Depth=1
	global_store_b32 v[4:5], v7, off
.LBB59_9:                               ;   in Loop: Header=BB59_2 Depth=1
	s_wait_xcnt 0x0
	s_or_b32 exec_lo, exec_lo, s16
	v_add_nc_u64_e32 v[2:3], s[8:9], v[2:3]
	v_add_nc_u64_e32 v[0:1], s[0:1], v[0:1]
	s_and_not1_b32 s14, s14, exec_lo
	s_and_not1_b32 s13, s13, exec_lo
	s_delay_alu instid0(VALU_DEP_2) | instskip(SKIP_1) | instid1(SALU_CYCLE_1)
	v_cmp_le_i64_e32 vcc_lo, s[2:3], v[2:3]
	s_and_b32 s16, vcc_lo, exec_lo
	s_or_b32 s14, s14, s16
.LBB59_10:                              ;   in Loop: Header=BB59_2 Depth=1
	s_or_b32 exec_lo, exec_lo, s15
	s_delay_alu instid0(SALU_CYCLE_1) | instskip(NEXT) | instid1(SALU_CYCLE_1)
	s_and_b32 s15, exec_lo, s14
	s_or_b32 s11, s15, s11
	s_and_not1_b32 s12, s12, exec_lo
	s_and_b32 s15, s13, exec_lo
	s_delay_alu instid0(SALU_CYCLE_1)
	s_or_b32 s12, s12, s15
	s_and_not1_b32 exec_lo, exec_lo, s11
	s_cbranch_execnz .LBB59_2
; %bb.11:
	s_or_b32 exec_lo, exec_lo, s11
	s_and_saveexec_b32 s0, s12
	s_delay_alu instid0(SALU_CYCLE_1)
	s_xor_b32 s0, exec_lo, s0
	s_cbranch_execnz .LBB59_13
.LBB59_12:
	s_endpgm
.LBB59_13:
	s_trap 2
	; divergent unreachable
	s_endpgm
	.section	.rodata,"a",@progbits
	.p2align	6, 0x0
	.amdhsa_kernel _ZN2at6native12_GLOBAL__N_119post_sum_div_kernelIfiEEvPT_PKT0_lbS3_
		.amdhsa_group_segment_fixed_size 0
		.amdhsa_private_segment_fixed_size 0
		.amdhsa_kernarg_size 288
		.amdhsa_user_sgpr_count 2
		.amdhsa_user_sgpr_dispatch_ptr 0
		.amdhsa_user_sgpr_queue_ptr 0
		.amdhsa_user_sgpr_kernarg_segment_ptr 1
		.amdhsa_user_sgpr_dispatch_id 0
		.amdhsa_user_sgpr_kernarg_preload_length 0
		.amdhsa_user_sgpr_kernarg_preload_offset 0
		.amdhsa_user_sgpr_private_segment_size 0
		.amdhsa_wavefront_size32 1
		.amdhsa_uses_dynamic_stack 0
		.amdhsa_enable_private_segment 0
		.amdhsa_system_sgpr_workgroup_id_x 1
		.amdhsa_system_sgpr_workgroup_id_y 0
		.amdhsa_system_sgpr_workgroup_id_z 0
		.amdhsa_system_sgpr_workgroup_info 0
		.amdhsa_system_vgpr_workitem_id 0
		.amdhsa_next_free_vgpr 13
		.amdhsa_next_free_sgpr 19
		.amdhsa_named_barrier_count 0
		.amdhsa_reserve_vcc 1
		.amdhsa_float_round_mode_32 0
		.amdhsa_float_round_mode_16_64 0
		.amdhsa_float_denorm_mode_32 3
		.amdhsa_float_denorm_mode_16_64 3
		.amdhsa_fp16_overflow 0
		.amdhsa_memory_ordered 1
		.amdhsa_forward_progress 1
		.amdhsa_inst_pref_size 5
		.amdhsa_round_robin_scheduling 0
		.amdhsa_exception_fp_ieee_invalid_op 0
		.amdhsa_exception_fp_denorm_src 0
		.amdhsa_exception_fp_ieee_div_zero 0
		.amdhsa_exception_fp_ieee_overflow 0
		.amdhsa_exception_fp_ieee_underflow 0
		.amdhsa_exception_fp_ieee_inexact 0
		.amdhsa_exception_int_div_zero 0
	.end_amdhsa_kernel
	.section	.text._ZN2at6native12_GLOBAL__N_119post_sum_div_kernelIfiEEvPT_PKT0_lbS3_,"axG",@progbits,_ZN2at6native12_GLOBAL__N_119post_sum_div_kernelIfiEEvPT_PKT0_lbS3_,comdat
.Lfunc_end59:
	.size	_ZN2at6native12_GLOBAL__N_119post_sum_div_kernelIfiEEvPT_PKT0_lbS3_, .Lfunc_end59-_ZN2at6native12_GLOBAL__N_119post_sum_div_kernelIfiEEvPT_PKT0_lbS3_
                                        ; -- End function
	.set _ZN2at6native12_GLOBAL__N_119post_sum_div_kernelIfiEEvPT_PKT0_lbS3_.num_vgpr, 13
	.set _ZN2at6native12_GLOBAL__N_119post_sum_div_kernelIfiEEvPT_PKT0_lbS3_.num_agpr, 0
	.set _ZN2at6native12_GLOBAL__N_119post_sum_div_kernelIfiEEvPT_PKT0_lbS3_.numbered_sgpr, 19
	.set _ZN2at6native12_GLOBAL__N_119post_sum_div_kernelIfiEEvPT_PKT0_lbS3_.num_named_barrier, 0
	.set _ZN2at6native12_GLOBAL__N_119post_sum_div_kernelIfiEEvPT_PKT0_lbS3_.private_seg_size, 0
	.set _ZN2at6native12_GLOBAL__N_119post_sum_div_kernelIfiEEvPT_PKT0_lbS3_.uses_vcc, 1
	.set _ZN2at6native12_GLOBAL__N_119post_sum_div_kernelIfiEEvPT_PKT0_lbS3_.uses_flat_scratch, 0
	.set _ZN2at6native12_GLOBAL__N_119post_sum_div_kernelIfiEEvPT_PKT0_lbS3_.has_dyn_sized_stack, 0
	.set _ZN2at6native12_GLOBAL__N_119post_sum_div_kernelIfiEEvPT_PKT0_lbS3_.has_recursion, 0
	.set _ZN2at6native12_GLOBAL__N_119post_sum_div_kernelIfiEEvPT_PKT0_lbS3_.has_indirect_call, 0
	.section	.AMDGPU.csdata,"",@progbits
; Kernel info:
; codeLenInByte = 560
; TotalNumSgprs: 21
; NumVgprs: 13
; ScratchSize: 0
; MemoryBound: 0
; FloatMode: 240
; IeeeMode: 1
; LDSByteSize: 0 bytes/workgroup (compile time only)
; SGPRBlocks: 0
; VGPRBlocks: 0
; NumSGPRsForWavesPerEU: 21
; NumVGPRsForWavesPerEU: 13
; NamedBarCnt: 0
; Occupancy: 16
; WaveLimiterHint : 0
; COMPUTE_PGM_RSRC2:SCRATCH_EN: 0
; COMPUTE_PGM_RSRC2:USER_SGPR: 2
; COMPUTE_PGM_RSRC2:TRAP_HANDLER: 0
; COMPUTE_PGM_RSRC2:TGID_X_EN: 1
; COMPUTE_PGM_RSRC2:TGID_Y_EN: 0
; COMPUTE_PGM_RSRC2:TGID_Z_EN: 0
; COMPUTE_PGM_RSRC2:TIDIG_COMP_CNT: 0
	.section	.text._ZN7rocprim17ROCPRIM_400000_NS6detail17trampoline_kernelINS0_14default_configENS1_32segmented_reduce_config_selectorIfEEZNS1_21segmented_reduce_implIS3_PKfPfPKifN6hipcub16HIPCUB_304000_NS6detail27convert_result_type_wrapperIS8_S9_N2at6native12_GLOBAL__N_19CustomMinEEEEE10hipError_tPvRmT0_T1_jT2_SQ_T4_T3_P12ihipStream_tbEUlT_E_NS1_11comp_targetILNS1_3genE0ELNS1_11target_archE4294967295ELNS1_3gpuE0ELNS1_3repE0EEENS1_30default_config_static_selectorELNS0_4arch9wavefront6targetE0EEEvSP_,"axG",@progbits,_ZN7rocprim17ROCPRIM_400000_NS6detail17trampoline_kernelINS0_14default_configENS1_32segmented_reduce_config_selectorIfEEZNS1_21segmented_reduce_implIS3_PKfPfPKifN6hipcub16HIPCUB_304000_NS6detail27convert_result_type_wrapperIS8_S9_N2at6native12_GLOBAL__N_19CustomMinEEEEE10hipError_tPvRmT0_T1_jT2_SQ_T4_T3_P12ihipStream_tbEUlT_E_NS1_11comp_targetILNS1_3genE0ELNS1_11target_archE4294967295ELNS1_3gpuE0ELNS1_3repE0EEENS1_30default_config_static_selectorELNS0_4arch9wavefront6targetE0EEEvSP_,comdat
	.globl	_ZN7rocprim17ROCPRIM_400000_NS6detail17trampoline_kernelINS0_14default_configENS1_32segmented_reduce_config_selectorIfEEZNS1_21segmented_reduce_implIS3_PKfPfPKifN6hipcub16HIPCUB_304000_NS6detail27convert_result_type_wrapperIS8_S9_N2at6native12_GLOBAL__N_19CustomMinEEEEE10hipError_tPvRmT0_T1_jT2_SQ_T4_T3_P12ihipStream_tbEUlT_E_NS1_11comp_targetILNS1_3genE0ELNS1_11target_archE4294967295ELNS1_3gpuE0ELNS1_3repE0EEENS1_30default_config_static_selectorELNS0_4arch9wavefront6targetE0EEEvSP_ ; -- Begin function _ZN7rocprim17ROCPRIM_400000_NS6detail17trampoline_kernelINS0_14default_configENS1_32segmented_reduce_config_selectorIfEEZNS1_21segmented_reduce_implIS3_PKfPfPKifN6hipcub16HIPCUB_304000_NS6detail27convert_result_type_wrapperIS8_S9_N2at6native12_GLOBAL__N_19CustomMinEEEEE10hipError_tPvRmT0_T1_jT2_SQ_T4_T3_P12ihipStream_tbEUlT_E_NS1_11comp_targetILNS1_3genE0ELNS1_11target_archE4294967295ELNS1_3gpuE0ELNS1_3repE0EEENS1_30default_config_static_selectorELNS0_4arch9wavefront6targetE0EEEvSP_
	.p2align	8
	.type	_ZN7rocprim17ROCPRIM_400000_NS6detail17trampoline_kernelINS0_14default_configENS1_32segmented_reduce_config_selectorIfEEZNS1_21segmented_reduce_implIS3_PKfPfPKifN6hipcub16HIPCUB_304000_NS6detail27convert_result_type_wrapperIS8_S9_N2at6native12_GLOBAL__N_19CustomMinEEEEE10hipError_tPvRmT0_T1_jT2_SQ_T4_T3_P12ihipStream_tbEUlT_E_NS1_11comp_targetILNS1_3genE0ELNS1_11target_archE4294967295ELNS1_3gpuE0ELNS1_3repE0EEENS1_30default_config_static_selectorELNS0_4arch9wavefront6targetE0EEEvSP_,@function
_ZN7rocprim17ROCPRIM_400000_NS6detail17trampoline_kernelINS0_14default_configENS1_32segmented_reduce_config_selectorIfEEZNS1_21segmented_reduce_implIS3_PKfPfPKifN6hipcub16HIPCUB_304000_NS6detail27convert_result_type_wrapperIS8_S9_N2at6native12_GLOBAL__N_19CustomMinEEEEE10hipError_tPvRmT0_T1_jT2_SQ_T4_T3_P12ihipStream_tbEUlT_E_NS1_11comp_targetILNS1_3genE0ELNS1_11target_archE4294967295ELNS1_3gpuE0ELNS1_3repE0EEENS1_30default_config_static_selectorELNS0_4arch9wavefront6targetE0EEEvSP_: ; @_ZN7rocprim17ROCPRIM_400000_NS6detail17trampoline_kernelINS0_14default_configENS1_32segmented_reduce_config_selectorIfEEZNS1_21segmented_reduce_implIS3_PKfPfPKifN6hipcub16HIPCUB_304000_NS6detail27convert_result_type_wrapperIS8_S9_N2at6native12_GLOBAL__N_19CustomMinEEEEE10hipError_tPvRmT0_T1_jT2_SQ_T4_T3_P12ihipStream_tbEUlT_E_NS1_11comp_targetILNS1_3genE0ELNS1_11target_archE4294967295ELNS1_3gpuE0ELNS1_3repE0EEENS1_30default_config_static_selectorELNS0_4arch9wavefront6targetE0EEEvSP_
; %bb.0:
	s_clause 0x1
	s_load_b256 s[4:11], s[0:1], 0x0
	s_load_b64 s[14:15], s[0:1], 0x20
	s_bfe_u32 s2, ttmp6, 0x4000c
	s_and_b32 s3, ttmp6, 15
	s_add_co_i32 s2, s2, 1
	s_getreg_b32 s12, hwreg(HW_REG_IB_STS2, 6, 4)
	s_mul_i32 s2, ttmp9, s2
	s_load_b32 s13, s[0:1], 0x2c
	s_add_co_i32 s3, s3, s2
	v_cmp_eq_u32_e32 vcc_lo, 0, v0
	s_wait_kmcnt 0x0
	s_lshl_b64 s[8:9], s[8:9], 2
	s_cmp_eq_u32 s12, 0
	s_add_nc_u64 s[0:1], s[10:11], s[8:9]
	s_cselect_b32 s2, ttmp9, s3
	s_add_nc_u64 s[16:17], s[14:15], s[8:9]
	s_load_b32 s10, s[0:1], s2 offset:0x0 scale_offset
	s_load_b32 s14, s[16:17], s2 offset:0x0 scale_offset
	s_mov_b32 s3, 0
	s_wait_xcnt 0x0
	s_mov_b32 s0, -1
	s_mov_b32 s12, 0
	s_wait_kmcnt 0x0
	s_cmp_gt_i32 s14, s10
	s_cbranch_scc1 .LBB60_2
; %bb.1:
	s_mov_b32 s0, 0
	s_and_b32 s12, vcc_lo, exec_lo
.LBB60_2:
	s_and_not1_b32 vcc_lo, exec_lo, s0
	s_cbranch_vccnz .LBB60_131
; %bb.3:
	s_add_co_i32 s0, s10, 0x1000
	s_delay_alu instid0(SALU_CYCLE_1)
	s_cmp_le_i32 s0, s14
	s_cbranch_scc0 .LBB60_132
; %bb.4:
	s_ashr_i32 s11, s10, 31
	s_mov_b32 s1, exec_lo
	s_lshl_b64 s[16:17], s[10:11], 2
	s_delay_alu instid0(SALU_CYCLE_1)
	s_add_nc_u64 s[16:17], s[4:5], s[16:17]
	s_clause 0xf
	global_load_b32 v16, v0, s[16:17] scale_offset
	global_load_b32 v1, v0, s[16:17] offset:1024 scale_offset
	global_load_b32 v2, v0, s[16:17] offset:2048 scale_offset
	;; [unrolled: 1-line block ×15, first 2 shown]
	s_wait_loadcnt 0xf
	v_mov_b32_e32 v17, v16
	s_wait_xcnt 0x0
	v_cmpx_o_f32_e32 v16, v16
	s_cbranch_execz .LBB60_8
; %bb.5:
	s_wait_loadcnt 0xe
	v_mov_b32_e32 v17, v1
	s_mov_b32 s11, exec_lo
	v_cmpx_o_f32_e32 v1, v1
; %bb.6:
	v_cmp_lt_f32_e32 vcc_lo, v1, v16
	v_cndmask_b32_e32 v17, v16, v1, vcc_lo
; %bb.7:
	s_or_b32 exec_lo, exec_lo, s11
.LBB60_8:
	s_delay_alu instid0(SALU_CYCLE_1) | instskip(NEXT) | instid1(SALU_CYCLE_1)
	s_or_b32 exec_lo, exec_lo, s1
	s_mov_b32 s1, exec_lo
	s_delay_alu instid0(VALU_DEP_1)
	v_cmpx_o_f32_e32 v17, v17
	s_cbranch_execz .LBB60_12
; %bb.9:
	s_wait_loadcnt 0xd
	v_mov_b32_e32 v18, v2
	s_mov_b32 s11, exec_lo
	v_cmpx_o_f32_e32 v2, v2
; %bb.10:
	v_cmp_lt_f32_e32 vcc_lo, v2, v17
	v_cndmask_b32_e32 v18, v17, v2, vcc_lo
; %bb.11:
	s_or_b32 exec_lo, exec_lo, s11
	s_delay_alu instid0(VALU_DEP_1)
	v_mov_b32_e32 v17, v18
.LBB60_12:
	s_or_b32 exec_lo, exec_lo, s1
	s_delay_alu instid0(SALU_CYCLE_1) | instskip(NEXT) | instid1(VALU_DEP_1)
	s_mov_b32 s1, exec_lo
	v_cmpx_o_f32_e32 v17, v17
	s_cbranch_execz .LBB60_16
; %bb.13:
	s_wait_loadcnt 0xc
	v_mov_b32_e32 v18, v3
	s_mov_b32 s11, exec_lo
	v_cmpx_o_f32_e32 v3, v3
; %bb.14:
	v_cmp_lt_f32_e32 vcc_lo, v3, v17
	v_cndmask_b32_e32 v18, v17, v3, vcc_lo
; %bb.15:
	s_or_b32 exec_lo, exec_lo, s11
	s_delay_alu instid0(VALU_DEP_1)
	v_mov_b32_e32 v17, v18
.LBB60_16:
	s_or_b32 exec_lo, exec_lo, s1
	s_delay_alu instid0(SALU_CYCLE_1) | instskip(NEXT) | instid1(VALU_DEP_1)
	s_mov_b32 s1, exec_lo
	;; [unrolled: 18-line block ×13, first 2 shown]
	v_cmpx_o_f32_e32 v17, v17
	s_cbranch_execz .LBB60_64
; %bb.61:
	s_wait_loadcnt 0x0
	v_mov_b32_e32 v18, v15
	s_mov_b32 s11, exec_lo
	v_cmpx_o_f32_e32 v15, v15
; %bb.62:
	v_cmp_lt_f32_e32 vcc_lo, v15, v17
	v_cndmask_b32_e32 v18, v17, v15, vcc_lo
; %bb.63:
	s_or_b32 exec_lo, exec_lo, s11
	s_delay_alu instid0(VALU_DEP_1)
	v_mov_b32_e32 v17, v18
.LBB60_64:
	s_or_b32 exec_lo, exec_lo, s1
	s_add_co_i32 s1, s10, 0x2000
	s_delay_alu instid0(SALU_CYCLE_1)
	s_cmp_ge_i32 s1, s14
	s_cbranch_scc1 .LBB60_133
; %bb.65:
	s_wait_loadcnt 0xc
	v_dual_mov_b32 v3, 0 :: v_dual_lshlrev_b32 v2, 2, v0
	s_delay_alu instid0(VALU_DEP_1)
	v_add_nc_u64_e32 v[18:19], s[4:5], v[2:3]
	s_branch .LBB60_68
.LBB60_66:                              ;   in Loop: Header=BB60_68 Depth=1
	s_or_b32 exec_lo, exec_lo, s11
	s_delay_alu instid0(VALU_DEP_1)
	v_mov_b32_e32 v17, v20
.LBB60_67:                              ;   in Loop: Header=BB60_68 Depth=1
	s_or_b32 exec_lo, exec_lo, s1
	s_add_co_i32 s1, s0, 0x2000
	s_addk_co_i32 s0, 0x1000
	s_cmp_lt_i32 s1, s14
	s_cbranch_scc0 .LBB60_133
.LBB60_68:                              ; =>This Inner Loop Header: Depth=1
	s_ashr_i32 s1, s0, 31
	s_delay_alu instid0(VALU_DEP_1) | instid1(SALU_CYCLE_1)
	v_lshl_add_u64 v[20:21], s[0:1], 2, v[18:19]
	s_mov_b32 s1, exec_lo
	s_wait_loadcnt 0xf
	global_load_b32 v16, v[20:21], off
	s_wait_loadcnt 0xf
	global_load_b32 v1, v[20:21], off offset:1024
	s_wait_loadcnt 0xf
	global_load_b32 v2, v[20:21], off offset:2048
	s_wait_loadcnt 0xf
	global_load_b32 v3, v[20:21], off offset:3072
	s_wait_loadcnt 0xf
	global_load_b32 v4, v[20:21], off offset:4096
	s_wait_loadcnt 0xf
	global_load_b32 v5, v[20:21], off offset:5120
	s_wait_loadcnt 0xf
	global_load_b32 v6, v[20:21], off offset:6144
	s_wait_loadcnt 0xf
	global_load_b32 v7, v[20:21], off offset:7168
	s_wait_loadcnt 0xf
	global_load_b32 v8, v[20:21], off offset:8192
	s_wait_loadcnt 0xf
	global_load_b32 v9, v[20:21], off offset:9216
	s_wait_loadcnt 0xf
	global_load_b32 v10, v[20:21], off offset:10240
	s_wait_loadcnt 0xf
	global_load_b32 v11, v[20:21], off offset:11264
	s_wait_loadcnt 0xf
	global_load_b32 v12, v[20:21], off offset:12288
	s_wait_loadcnt 0xf
	global_load_b32 v13, v[20:21], off offset:13312
	s_wait_loadcnt 0xf
	global_load_b32 v14, v[20:21], off offset:14336
	s_wait_loadcnt 0xf
	global_load_b32 v15, v[20:21], off offset:15360
	s_wait_xcnt 0x0
	v_cmpx_o_f32_e32 v17, v17
	s_cbranch_execz .LBB60_72
; %bb.69:                               ;   in Loop: Header=BB60_68 Depth=1
	s_wait_loadcnt 0xf
	v_mov_b32_e32 v20, v16
	s_mov_b32 s11, exec_lo
	v_cmpx_o_f32_e32 v16, v16
; %bb.70:                               ;   in Loop: Header=BB60_68 Depth=1
	v_cmp_lt_f32_e32 vcc_lo, v16, v17
	v_cndmask_b32_e32 v20, v17, v16, vcc_lo
; %bb.71:                               ;   in Loop: Header=BB60_68 Depth=1
	s_or_b32 exec_lo, exec_lo, s11
	s_delay_alu instid0(VALU_DEP_1)
	v_mov_b32_e32 v17, v20
.LBB60_72:                              ;   in Loop: Header=BB60_68 Depth=1
	s_or_b32 exec_lo, exec_lo, s1
	s_delay_alu instid0(SALU_CYCLE_1) | instskip(NEXT) | instid1(VALU_DEP_1)
	s_mov_b32 s1, exec_lo
	v_cmpx_o_f32_e32 v17, v17
	s_cbranch_execz .LBB60_76
; %bb.73:                               ;   in Loop: Header=BB60_68 Depth=1
	s_wait_loadcnt 0xe
	v_mov_b32_e32 v20, v1
	s_mov_b32 s11, exec_lo
	v_cmpx_o_f32_e32 v1, v1
; %bb.74:                               ;   in Loop: Header=BB60_68 Depth=1
	v_cmp_lt_f32_e32 vcc_lo, v1, v17
	v_cndmask_b32_e32 v20, v17, v1, vcc_lo
; %bb.75:                               ;   in Loop: Header=BB60_68 Depth=1
	s_or_b32 exec_lo, exec_lo, s11
	s_delay_alu instid0(VALU_DEP_1)
	v_mov_b32_e32 v17, v20
.LBB60_76:                              ;   in Loop: Header=BB60_68 Depth=1
	s_or_b32 exec_lo, exec_lo, s1
	s_delay_alu instid0(SALU_CYCLE_1) | instskip(NEXT) | instid1(VALU_DEP_1)
	s_mov_b32 s1, exec_lo
	;; [unrolled: 18-line block ×7, first 2 shown]
	v_cmpx_o_f32_e32 v17, v17
	s_cbranch_execz .LBB60_100
; %bb.97:                               ;   in Loop: Header=BB60_68 Depth=1
	s_wait_loadcnt 0x8
	v_mov_b32_e32 v20, v7
	s_mov_b32 s11, exec_lo
	v_cmpx_o_f32_e32 v7, v7
; %bb.98:                               ;   in Loop: Header=BB60_68 Depth=1
	v_cmp_lt_f32_e32 vcc_lo, v7, v17
	v_cndmask_b32_e32 v20, v17, v7, vcc_lo
; %bb.99:                               ;   in Loop: Header=BB60_68 Depth=1
	s_or_b32 exec_lo, exec_lo, s11
	s_delay_alu instid0(VALU_DEP_1)
	v_mov_b32_e32 v17, v20
.LBB60_100:                             ;   in Loop: Header=BB60_68 Depth=1
	s_or_b32 exec_lo, exec_lo, s1
	s_delay_alu instid0(SALU_CYCLE_1) | instskip(NEXT) | instid1(VALU_DEP_1)
	s_mov_b32 s1, exec_lo
	v_cmpx_o_f32_e32 v17, v17
	s_cbranch_execz .LBB60_104
; %bb.101:                              ;   in Loop: Header=BB60_68 Depth=1
	s_wait_loadcnt 0x7
	v_mov_b32_e32 v20, v8
	s_mov_b32 s11, exec_lo
	v_cmpx_o_f32_e32 v8, v8
; %bb.102:                              ;   in Loop: Header=BB60_68 Depth=1
	v_cmp_lt_f32_e32 vcc_lo, v8, v17
	v_cndmask_b32_e32 v20, v17, v8, vcc_lo
; %bb.103:                              ;   in Loop: Header=BB60_68 Depth=1
	s_or_b32 exec_lo, exec_lo, s11
	s_delay_alu instid0(VALU_DEP_1)
	v_mov_b32_e32 v17, v20
.LBB60_104:                             ;   in Loop: Header=BB60_68 Depth=1
	s_or_b32 exec_lo, exec_lo, s1
	s_delay_alu instid0(SALU_CYCLE_1) | instskip(NEXT) | instid1(VALU_DEP_1)
	s_mov_b32 s1, exec_lo
	v_cmpx_o_f32_e32 v17, v17
	s_cbranch_execz .LBB60_108
; %bb.105:                              ;   in Loop: Header=BB60_68 Depth=1
	s_wait_loadcnt 0x6
	v_mov_b32_e32 v20, v9
	s_mov_b32 s11, exec_lo
	v_cmpx_o_f32_e32 v9, v9
; %bb.106:                              ;   in Loop: Header=BB60_68 Depth=1
	v_cmp_lt_f32_e32 vcc_lo, v9, v17
	v_cndmask_b32_e32 v20, v17, v9, vcc_lo
; %bb.107:                              ;   in Loop: Header=BB60_68 Depth=1
	s_or_b32 exec_lo, exec_lo, s11
	s_delay_alu instid0(VALU_DEP_1)
	v_mov_b32_e32 v17, v20
.LBB60_108:                             ;   in Loop: Header=BB60_68 Depth=1
	;; [unrolled: 18-line block ×7, first 2 shown]
	s_or_b32 exec_lo, exec_lo, s1
	s_delay_alu instid0(SALU_CYCLE_1) | instskip(NEXT) | instid1(VALU_DEP_1)
	s_mov_b32 s1, exec_lo
	v_cmpx_o_f32_e32 v17, v17
	s_cbranch_execz .LBB60_67
; %bb.129:                              ;   in Loop: Header=BB60_68 Depth=1
	s_wait_loadcnt 0x0
	v_mov_b32_e32 v20, v15
	s_mov_b32 s11, exec_lo
	v_cmpx_o_f32_e32 v15, v15
	s_cbranch_execz .LBB60_66
; %bb.130:                              ;   in Loop: Header=BB60_68 Depth=1
	v_cmp_lt_f32_e32 vcc_lo, v15, v17
	v_cndmask_b32_e32 v20, v17, v15, vcc_lo
	s_branch .LBB60_66
.LBB60_131:
	v_mov_b32_e32 v2, s13
	s_and_saveexec_b32 s0, s12
	s_cbranch_execnz .LBB60_371
	s_branch .LBB60_372
.LBB60_132:
                                        ; implicit-def: $vgpr1
	s_cbranch_execnz .LBB60_266
	s_branch .LBB60_364
.LBB60_133:
	s_ashr_i32 s1, s0, 31
	s_sub_co_i32 s11, s14, s0
	s_lshl_b64 s[0:1], s[0:1], 2
	s_mov_b32 s15, exec_lo
	s_add_nc_u64 s[0:1], s[4:5], s[0:1]
	v_cmpx_gt_u32_e64 s11, v0
	s_cbranch_execz .LBB60_135
; %bb.134:
	s_wait_loadcnt 0xf
	global_load_b32 v16, v0, s[0:1] scale_offset
.LBB60_135:
	s_wait_xcnt 0x0
	s_or_b32 exec_lo, exec_lo, s15
	v_or_b32_e32 v32, 0x100, v0
	s_mov_b32 s15, exec_lo
	s_delay_alu instid0(VALU_DEP_1)
	v_cmpx_gt_u32_e64 s11, v32
	s_cbranch_execz .LBB60_137
; %bb.136:
	s_wait_loadcnt 0xe
	global_load_b32 v1, v0, s[0:1] offset:1024 scale_offset
.LBB60_137:
	s_wait_xcnt 0x0
	s_or_b32 exec_lo, exec_lo, s15
	v_or_b32_e32 v31, 0x200, v0
	s_mov_b32 s15, exec_lo
	s_delay_alu instid0(VALU_DEP_1)
	v_cmpx_gt_u32_e64 s11, v31
	s_cbranch_execz .LBB60_139
; %bb.138:
	s_wait_loadcnt 0xd
	global_load_b32 v2, v0, s[0:1] offset:2048 scale_offset
.LBB60_139:
	;; [unrolled: 11-line block ×15, first 2 shown]
	s_wait_xcnt 0x0
	s_or_b32 exec_lo, exec_lo, s15
	v_cmp_gt_u32_e32 vcc_lo, s11, v0
	v_cmp_o_f32_e64 s0, v17, v17
	s_and_b32 s1, vcc_lo, s0
	s_delay_alu instid0(SALU_CYCLE_1)
	s_and_saveexec_b32 s0, s1
	s_cbranch_execz .LBB60_169
; %bb.166:
	s_mov_b32 s1, exec_lo
	s_wait_loadcnt 0x0
	v_cmpx_o_f32_e32 v16, v16
; %bb.167:
	v_cmp_lt_f32_e32 vcc_lo, v16, v17
	v_cndmask_b32_e32 v16, v17, v16, vcc_lo
; %bb.168:
	s_or_b32 exec_lo, exec_lo, s1
	s_delay_alu instid0(VALU_DEP_1)
	v_mov_b32_e32 v17, v16
.LBB60_169:
	s_or_b32 exec_lo, exec_lo, s0
	v_cmp_gt_u32_e32 vcc_lo, s11, v32
	s_delay_alu instid0(VALU_DEP_2) | instskip(SKIP_1) | instid1(SALU_CYCLE_1)
	v_cmp_o_f32_e64 s0, v17, v17
	s_and_b32 s1, vcc_lo, s0
	s_and_saveexec_b32 s0, s1
	s_cbranch_execz .LBB60_173
; %bb.170:
	s_mov_b32 s1, exec_lo
	s_wait_loadcnt 0x0
	v_cmpx_o_f32_e32 v1, v1
; %bb.171:
	v_cmp_lt_f32_e32 vcc_lo, v1, v17
	v_cndmask_b32_e32 v1, v17, v1, vcc_lo
; %bb.172:
	s_or_b32 exec_lo, exec_lo, s1
	s_delay_alu instid0(VALU_DEP_1)
	v_mov_b32_e32 v17, v1
.LBB60_173:
	s_or_b32 exec_lo, exec_lo, s0
	v_cmp_gt_u32_e32 vcc_lo, s11, v31
	s_delay_alu instid0(VALU_DEP_2) | instskip(SKIP_1) | instid1(SALU_CYCLE_1)
	v_cmp_o_f32_e64 s0, v17, v17
	s_and_b32 s1, vcc_lo, s0
	;; [unrolled: 19-line block ×15, first 2 shown]
	s_and_saveexec_b32 s0, s1
	s_cbranch_execz .LBB60_229
; %bb.226:
	s_mov_b32 s1, exec_lo
	s_wait_loadcnt 0x0
	v_cmpx_o_f32_e32 v15, v15
; %bb.227:
	v_cmp_lt_f32_e32 vcc_lo, v15, v17
	v_cndmask_b32_e32 v15, v17, v15, vcc_lo
; %bb.228:
	s_or_b32 exec_lo, exec_lo, s1
	s_delay_alu instid0(VALU_DEP_1)
	v_mov_b32_e32 v17, v15
.LBB60_229:
	s_or_b32 exec_lo, exec_lo, s0
	s_wait_loadcnt 0x0
	s_delay_alu instid0(VALU_DEP_1) | instskip(SKIP_1) | instid1(VALU_DEP_1)
	v_mov_b32_dpp v1, v17 quad_perm:[1,0,3,2] row_mask:0xf bank_mask:0xf
	s_mov_b32 s0, exec_lo
	v_cmpx_o_f32_e32 v1, v1
	s_xor_b32 s0, exec_lo, s0
	s_cbranch_execz .LBB60_233
; %bb.230:
	s_mov_b32 s1, exec_lo
	v_cmpx_o_f32_e32 v17, v17
; %bb.231:
	v_cmp_lt_f32_e32 vcc_lo, v17, v1
	v_cndmask_b32_e32 v17, v1, v17, vcc_lo
; %bb.232:
	s_or_b32 exec_lo, exec_lo, s1
	s_delay_alu instid0(VALU_DEP_1)
	v_mov_b32_e32 v1, v17
.LBB60_233:
	s_or_b32 exec_lo, exec_lo, s0
	s_delay_alu instid0(VALU_DEP_1) | instskip(SKIP_1) | instid1(VALU_DEP_1)
	v_mov_b32_dpp v2, v1 quad_perm:[2,3,0,1] row_mask:0xf bank_mask:0xf
	s_mov_b32 s0, exec_lo
	v_cmpx_o_f32_e32 v2, v2
	s_cbranch_execz .LBB60_237
; %bb.234:
	s_mov_b32 s1, exec_lo
	v_cmpx_o_f32_e32 v1, v1
; %bb.235:
	v_cmp_lt_f32_e32 vcc_lo, v1, v2
	v_cndmask_b32_e32 v1, v2, v1, vcc_lo
; %bb.236:
	s_or_b32 exec_lo, exec_lo, s1
	s_delay_alu instid0(VALU_DEP_1)
	v_mov_b32_e32 v2, v1
.LBB60_237:
	s_or_b32 exec_lo, exec_lo, s0
	s_delay_alu instid0(VALU_DEP_1) | instskip(SKIP_1) | instid1(VALU_DEP_1)
	v_mov_b32_dpp v1, v2 row_ror:4 row_mask:0xf bank_mask:0xf
	s_mov_b32 s0, exec_lo
	v_cmpx_o_f32_e32 v1, v1
	s_cbranch_execz .LBB60_241
; %bb.238:
	s_mov_b32 s1, exec_lo
	v_cmpx_o_f32_e32 v2, v2
; %bb.239:
	v_cmp_lt_f32_e32 vcc_lo, v2, v1
	v_cndmask_b32_e32 v2, v1, v2, vcc_lo
; %bb.240:
	s_or_b32 exec_lo, exec_lo, s1
	s_delay_alu instid0(VALU_DEP_1)
	v_mov_b32_e32 v1, v2
.LBB60_241:
	s_or_b32 exec_lo, exec_lo, s0
	s_delay_alu instid0(VALU_DEP_1) | instskip(SKIP_1) | instid1(VALU_DEP_1)
	v_mov_b32_dpp v2, v1 row_ror:8 row_mask:0xf bank_mask:0xf
	s_mov_b32 s0, exec_lo
	v_cmpx_o_f32_e32 v2, v2
	s_cbranch_execz .LBB60_245
; %bb.242:
	s_mov_b32 s1, exec_lo
	v_cmpx_o_f32_e32 v1, v1
; %bb.243:
	v_cmp_lt_f32_e32 vcc_lo, v1, v2
	v_cndmask_b32_e32 v1, v2, v1, vcc_lo
; %bb.244:
	s_or_b32 exec_lo, exec_lo, s1
	s_delay_alu instid0(VALU_DEP_1)
	v_mov_b32_e32 v2, v1
.LBB60_245:
	s_or_b32 exec_lo, exec_lo, s0
	ds_swizzle_b32 v1, v2 offset:swizzle(BROADCAST,32,15)
	s_mov_b32 s0, exec_lo
	s_wait_dscnt 0x0
	v_cmpx_o_f32_e32 v1, v1
	s_cbranch_execz .LBB60_249
; %bb.246:
	s_mov_b32 s1, exec_lo
	v_cmpx_o_f32_e32 v2, v2
; %bb.247:
	v_cmp_lt_f32_e32 vcc_lo, v2, v1
	v_cndmask_b32_e32 v2, v1, v2, vcc_lo
; %bb.248:
	s_or_b32 exec_lo, exec_lo, s1
	s_delay_alu instid0(VALU_DEP_1)
	v_mov_b32_e32 v1, v2
.LBB60_249:
	s_or_b32 exec_lo, exec_lo, s0
	v_mov_b32_e32 v2, 0
	s_mov_b32 s0, exec_lo
	ds_bpermute_b32 v1, v2, v1 offset:124
	v_mbcnt_lo_u32_b32 v2, -1, 0
	s_delay_alu instid0(VALU_DEP_1)
	v_cmpx_eq_u32_e32 0, v2
	s_cbranch_execz .LBB60_251
; %bb.250:
	v_lshrrev_b32_e32 v3, 3, v0
	s_delay_alu instid0(VALU_DEP_1)
	v_and_b32_e32 v3, 28, v3
	s_wait_dscnt 0x0
	ds_store_b32 v3, v1
.LBB60_251:
	s_or_b32 exec_lo, exec_lo, s0
	s_delay_alu instid0(SALU_CYCLE_1)
	s_mov_b32 s0, exec_lo
	s_wait_dscnt 0x0
	s_barrier_signal -1
	s_barrier_wait -1
	v_cmpx_gt_u32_e32 32, v0
	s_cbranch_execz .LBB60_265
; %bb.252:
	v_and_b32_e32 v3, 7, v2
	s_mov_b32 s1, exec_lo
	s_delay_alu instid0(VALU_DEP_1) | instskip(SKIP_1) | instid1(VALU_DEP_1)
	v_cmp_ne_u32_e32 vcc_lo, 7, v3
	v_add_co_ci_u32_e64 v4, null, 0, v2, vcc_lo
	v_dual_lshlrev_b32 v4, 2, v4 :: v_dual_lshlrev_b32 v1, 2, v3
	ds_load_b32 v1, v1
	s_wait_dscnt 0x0
	ds_bpermute_b32 v4, v4, v1
	v_cmpx_o_f32_e32 v1, v1
	s_cbranch_execz .LBB60_256
; %bb.253:
	s_mov_b32 s11, exec_lo
	s_wait_dscnt 0x0
	v_cmpx_o_f32_e32 v4, v4
; %bb.254:
	v_cmp_gt_f32_e32 vcc_lo, v1, v4
	v_cndmask_b32_e32 v4, v1, v4, vcc_lo
; %bb.255:
	s_or_b32 exec_lo, exec_lo, s11
	s_delay_alu instid0(VALU_DEP_1)
	v_mov_b32_e32 v1, v4
.LBB60_256:
	s_or_b32 exec_lo, exec_lo, s1
	v_cmp_gt_u32_e32 vcc_lo, 6, v3
	s_mov_b32 s1, exec_lo
	v_cndmask_b32_e64 v3, 0, 2, vcc_lo
	s_delay_alu instid0(VALU_DEP_1)
	v_add_lshl_u32 v3, v3, v2, 2
	v_lshlrev_b32_e32 v2, 2, v2
	ds_bpermute_b32 v3, v3, v1
	v_cmpx_o_f32_e32 v1, v1
	s_cbranch_execz .LBB60_260
; %bb.257:
	s_mov_b32 s11, exec_lo
	s_wait_dscnt 0x0
	v_cmpx_o_f32_e32 v3, v3
; %bb.258:
	v_cmp_gt_f32_e32 vcc_lo, v1, v3
	v_cndmask_b32_e32 v3, v1, v3, vcc_lo
; %bb.259:
	s_or_b32 exec_lo, exec_lo, s11
	s_delay_alu instid0(VALU_DEP_1)
	v_mov_b32_e32 v1, v3
.LBB60_260:
	s_or_b32 exec_lo, exec_lo, s1
	v_or_b32_e32 v2, 16, v2
	s_mov_b32 s1, exec_lo
	ds_bpermute_b32 v2, v2, v1
	v_cmpx_o_f32_e32 v1, v1
	s_cbranch_execz .LBB60_264
; %bb.261:
	s_mov_b32 s11, exec_lo
	s_wait_dscnt 0x0
	v_cmpx_o_f32_e32 v2, v2
; %bb.262:
	v_cmp_gt_f32_e32 vcc_lo, v1, v2
	v_cndmask_b32_e32 v2, v1, v2, vcc_lo
; %bb.263:
	s_or_b32 exec_lo, exec_lo, s11
	s_delay_alu instid0(VALU_DEP_1)
	v_mov_b32_e32 v1, v2
.LBB60_264:
	s_or_b32 exec_lo, exec_lo, s1
.LBB60_265:
	s_delay_alu instid0(SALU_CYCLE_1)
	s_or_b32 exec_lo, exec_lo, s0
	s_branch .LBB60_364
.LBB60_266:
	s_sub_co_i32 s1, s14, s10
	s_mov_b32 s0, exec_lo
                                        ; implicit-def: $vgpr4
	v_cmpx_gt_u32_e64 s1, v0
	s_cbranch_execz .LBB60_276
; %bb.267:
	v_add_nc_u32_e32 v1, s10, v0
	s_mov_b32 s10, exec_lo
	s_wait_dscnt 0x2
	global_load_b32 v4, v1, s[4:5] scale_offset
	s_wait_xcnt 0x0
	v_add_nc_u32_e32 v1, 0x100, v1
	s_delay_alu instid0(VALU_DEP_1)
	v_cmpx_gt_i32_e64 s14, v1
	s_cbranch_execz .LBB60_275
; %bb.268:
	s_mov_b32 s11, 0
	s_branch .LBB60_271
.LBB60_269:                             ;   in Loop: Header=BB60_271 Depth=1
	s_or_b32 exec_lo, exec_lo, s16
	s_delay_alu instid0(VALU_DEP_1)
	v_mov_b32_e32 v4, v2
.LBB60_270:                             ;   in Loop: Header=BB60_271 Depth=1
	s_or_b32 exec_lo, exec_lo, s15
	v_add_nc_u32_e32 v1, 0x100, v1
	s_delay_alu instid0(VALU_DEP_1) | instskip(SKIP_1) | instid1(SALU_CYCLE_1)
	v_cmp_le_i32_e32 vcc_lo, s14, v1
	s_or_b32 s11, vcc_lo, s11
	s_and_not1_b32 exec_lo, exec_lo, s11
	s_cbranch_execz .LBB60_274
.LBB60_271:                             ; =>This Inner Loop Header: Depth=1
	s_mov_b32 s15, exec_lo
	s_wait_loadcnt 0x0
	v_cmpx_o_f32_e32 v4, v4
	s_cbranch_execz .LBB60_270
; %bb.272:                              ;   in Loop: Header=BB60_271 Depth=1
	s_wait_dscnt 0x0
	global_load_b32 v2, v1, s[4:5] scale_offset
	s_mov_b32 s16, exec_lo
	s_wait_loadcnt 0x0
	v_cmpx_o_f32_e32 v2, v2
	s_cbranch_execz .LBB60_269
; %bb.273:                              ;   in Loop: Header=BB60_271 Depth=1
	v_cmp_lt_f32_e32 vcc_lo, v2, v4
	v_cndmask_b32_e32 v2, v4, v2, vcc_lo
	s_branch .LBB60_269
.LBB60_274:
	s_or_b32 exec_lo, exec_lo, s11
.LBB60_275:
	s_delay_alu instid0(SALU_CYCLE_1)
	s_or_b32 exec_lo, exec_lo, s10
.LBB60_276:
	s_delay_alu instid0(SALU_CYCLE_1)
	s_or_b32 exec_lo, exec_lo, s0
	s_wait_dscnt 0x1
	v_lshrrev_b32_e32 v3, 5, v0
	s_wait_dscnt 0x0
	v_mbcnt_lo_u32_b32 v2, -1, 0
	s_cmp_lt_u32 s1, 0x100
	s_mov_b32 s0, -1
                                        ; implicit-def: $vgpr1
	s_cbranch_scc0 .LBB60_326
; %bb.277:
	s_delay_alu instid0(VALU_DEP_1) | instskip(SKIP_1) | instid1(VALU_DEP_1)
	v_cmp_ne_u32_e32 vcc_lo, 31, v2
	v_add_co_ci_u32_e64 v1, null, 0, v2, vcc_lo
	v_lshlrev_b32_e32 v1, 2, v1
	s_wait_loadcnt 0x0
	ds_bpermute_b32 v6, v1, v4
	v_and_b32_e32 v1, 0xe0, v0
	s_delay_alu instid0(VALU_DEP_1) | instskip(SKIP_1) | instid1(VALU_DEP_1)
	v_sub_nc_u32_e64 v5, s1, v1 clamp
	v_add_nc_u32_e32 v1, 1, v2
	v_cmp_lt_u32_e32 vcc_lo, v1, v5
	v_mov_b32_e32 v1, v4
	s_and_saveexec_b32 s0, vcc_lo
	s_cbranch_execz .LBB60_283
; %bb.278:
	v_mov_b32_e32 v1, v4
	s_mov_b32 s4, exec_lo
	v_cmpx_o_f32_e32 v4, v4
	s_cbranch_execz .LBB60_282
; %bb.279:
	s_mov_b32 s5, exec_lo
	s_wait_dscnt 0x0
	v_cmpx_o_f32_e32 v6, v6
; %bb.280:
	v_cmp_gt_f32_e32 vcc_lo, v4, v6
	v_cndmask_b32_e32 v6, v4, v6, vcc_lo
; %bb.281:
	s_or_b32 exec_lo, exec_lo, s5
	s_delay_alu instid0(VALU_DEP_1)
	v_mov_b32_e32 v1, v6
.LBB60_282:
	s_or_b32 exec_lo, exec_lo, s4
.LBB60_283:
	s_delay_alu instid0(SALU_CYCLE_1)
	s_or_b32 exec_lo, exec_lo, s0
	v_cmp_gt_u32_e32 vcc_lo, 30, v2
	v_add_nc_u32_e32 v7, 2, v2
	s_mov_b32 s0, exec_lo
	s_wait_dscnt 0x0
	v_cndmask_b32_e64 v6, 0, 2, vcc_lo
	s_delay_alu instid0(VALU_DEP_1)
	v_add_lshl_u32 v6, v6, v2, 2
	ds_bpermute_b32 v6, v6, v1
	v_cmpx_lt_u32_e64 v7, v5
	s_cbranch_execz .LBB60_289
; %bb.284:
	s_mov_b32 s4, exec_lo
	v_cmpx_o_f32_e32 v1, v1
	s_cbranch_execz .LBB60_288
; %bb.285:
	s_mov_b32 s5, exec_lo
	s_wait_dscnt 0x0
	v_cmpx_o_f32_e32 v6, v6
; %bb.286:
	v_cmp_gt_f32_e32 vcc_lo, v1, v6
	v_cndmask_b32_e32 v6, v1, v6, vcc_lo
; %bb.287:
	s_or_b32 exec_lo, exec_lo, s5
	s_delay_alu instid0(VALU_DEP_1)
	v_mov_b32_e32 v1, v6
.LBB60_288:
	s_or_b32 exec_lo, exec_lo, s4
.LBB60_289:
	s_delay_alu instid0(SALU_CYCLE_1)
	s_or_b32 exec_lo, exec_lo, s0
	v_cmp_gt_u32_e32 vcc_lo, 28, v2
	v_add_nc_u32_e32 v7, 4, v2
	s_mov_b32 s0, exec_lo
	s_wait_dscnt 0x0
	v_cndmask_b32_e64 v6, 0, 4, vcc_lo
	s_delay_alu instid0(VALU_DEP_1)
	v_add_lshl_u32 v6, v6, v2, 2
	ds_bpermute_b32 v6, v6, v1
	v_cmpx_lt_u32_e64 v7, v5
	s_cbranch_execz .LBB60_295
; %bb.290:
	s_mov_b32 s4, exec_lo
	v_cmpx_o_f32_e32 v1, v1
	s_cbranch_execz .LBB60_294
; %bb.291:
	s_mov_b32 s5, exec_lo
	s_wait_dscnt 0x0
	v_cmpx_o_f32_e32 v6, v6
; %bb.292:
	v_cmp_gt_f32_e32 vcc_lo, v1, v6
	v_cndmask_b32_e32 v6, v1, v6, vcc_lo
; %bb.293:
	s_or_b32 exec_lo, exec_lo, s5
	s_delay_alu instid0(VALU_DEP_1)
	v_mov_b32_e32 v1, v6
.LBB60_294:
	s_or_b32 exec_lo, exec_lo, s4
.LBB60_295:
	;; [unrolled: 30-line block ×3, first 2 shown]
	s_delay_alu instid0(SALU_CYCLE_1) | instskip(SKIP_3) | instid1(VALU_DEP_2)
	s_or_b32 exec_lo, exec_lo, s0
	s_wait_dscnt 0x0
	v_dual_lshlrev_b32 v6, 2, v2 :: v_dual_add_nc_u32 v8, 16, v2
	v_cmp_o_f32_e64 s0, v1, v1
	v_or_b32_e32 v7, 64, v6
	s_delay_alu instid0(VALU_DEP_3) | instskip(SKIP_2) | instid1(SALU_CYCLE_1)
	v_cmp_lt_u32_e32 vcc_lo, v8, v5
	ds_bpermute_b32 v7, v7, v1
	s_and_b32 s4, vcc_lo, s0
	s_and_saveexec_b32 s0, s4
	s_cbranch_execz .LBB60_305
; %bb.302:
	s_mov_b32 s4, exec_lo
	s_wait_dscnt 0x0
	v_cmpx_o_f32_e32 v7, v7
; %bb.303:
	v_cmp_gt_f32_e32 vcc_lo, v1, v7
	v_cndmask_b32_e32 v7, v1, v7, vcc_lo
; %bb.304:
	s_or_b32 exec_lo, exec_lo, s4
	s_delay_alu instid0(VALU_DEP_1)
	v_mov_b32_e32 v1, v7
.LBB60_305:
	s_or_b32 exec_lo, exec_lo, s0
	s_delay_alu instid0(SALU_CYCLE_1)
	s_mov_b32 s0, exec_lo
	v_cmpx_eq_u32_e32 0, v2
; %bb.306:
	v_lshlrev_b32_e32 v5, 2, v3
	ds_store_b32 v5, v1
; %bb.307:
	s_or_b32 exec_lo, exec_lo, s0
	s_delay_alu instid0(SALU_CYCLE_1)
	s_mov_b32 s4, exec_lo
	s_wait_dscnt 0x0
	s_barrier_signal -1
	s_barrier_wait -1
	v_cmpx_gt_u32_e32 8, v0
	s_cbranch_execz .LBB60_325
; %bb.308:
	ds_load_b32 v1, v6
	v_and_b32_e32 v5, 7, v2
	s_add_co_i32 s1, s1, 31
	s_delay_alu instid0(SALU_CYCLE_1) | instskip(SKIP_1) | instid1(VALU_DEP_1)
	s_lshr_b32 s0, s1, 5
	s_mov_b32 s1, exec_lo
	v_cmp_ne_u32_e32 vcc_lo, 7, v5
	v_add_co_ci_u32_e64 v7, null, 0, v2, vcc_lo
	s_delay_alu instid0(VALU_DEP_1)
	v_dual_lshlrev_b32 v7, 2, v7 :: v_dual_add_nc_u32 v8, 1, v5
	s_wait_dscnt 0x0
	ds_bpermute_b32 v7, v7, v1
	v_cmpx_gt_u32_e64 s0, v8
	s_cbranch_execz .LBB60_314
; %bb.309:
	s_mov_b32 s5, exec_lo
	v_cmpx_o_f32_e32 v1, v1
	s_cbranch_execz .LBB60_313
; %bb.310:
	s_mov_b32 s10, exec_lo
	s_wait_dscnt 0x0
	v_cmpx_o_f32_e32 v7, v7
; %bb.311:
	v_cmp_gt_f32_e32 vcc_lo, v1, v7
	v_cndmask_b32_e32 v7, v1, v7, vcc_lo
; %bb.312:
	s_or_b32 exec_lo, exec_lo, s10
	s_delay_alu instid0(VALU_DEP_1)
	v_mov_b32_e32 v1, v7
.LBB60_313:
	s_or_b32 exec_lo, exec_lo, s5
.LBB60_314:
	s_delay_alu instid0(SALU_CYCLE_1)
	s_or_b32 exec_lo, exec_lo, s1
	v_cmp_gt_u32_e32 vcc_lo, 6, v5
	v_add_nc_u32_e32 v8, 2, v5
	s_mov_b32 s1, exec_lo
	s_wait_dscnt 0x0
	v_cndmask_b32_e64 v7, 0, 2, vcc_lo
	s_delay_alu instid0(VALU_DEP_1)
	v_add_lshl_u32 v7, v7, v2, 2
	ds_bpermute_b32 v7, v7, v1
	v_cmpx_gt_u32_e64 s0, v8
	s_cbranch_execz .LBB60_320
; %bb.315:
	s_mov_b32 s5, exec_lo
	v_cmpx_o_f32_e32 v1, v1
	s_cbranch_execz .LBB60_319
; %bb.316:
	s_mov_b32 s10, exec_lo
	s_wait_dscnt 0x0
	v_cmpx_o_f32_e32 v7, v7
; %bb.317:
	v_cmp_gt_f32_e32 vcc_lo, v1, v7
	v_cndmask_b32_e32 v7, v1, v7, vcc_lo
; %bb.318:
	s_or_b32 exec_lo, exec_lo, s10
	s_delay_alu instid0(VALU_DEP_1)
	v_mov_b32_e32 v1, v7
.LBB60_319:
	s_or_b32 exec_lo, exec_lo, s5
.LBB60_320:
	s_delay_alu instid0(SALU_CYCLE_1)
	s_or_b32 exec_lo, exec_lo, s1
	v_dual_add_nc_u32 v5, 4, v5 :: v_dual_bitop2_b32 v6, 16, v6 bitop3:0x54
	ds_bpermute_b32 v6, v6, v1
	v_cmp_gt_u32_e32 vcc_lo, s0, v5
	v_cmp_o_f32_e64 s0, v1, v1
	s_and_b32 s1, vcc_lo, s0
	s_delay_alu instid0(SALU_CYCLE_1)
	s_and_saveexec_b32 s0, s1
	s_cbranch_execz .LBB60_324
; %bb.321:
	s_mov_b32 s1, exec_lo
	s_wait_dscnt 0x0
	v_cmpx_o_f32_e32 v6, v6
; %bb.322:
	v_cmp_gt_f32_e32 vcc_lo, v1, v6
	v_cndmask_b32_e32 v6, v1, v6, vcc_lo
; %bb.323:
	s_or_b32 exec_lo, exec_lo, s1
	s_delay_alu instid0(VALU_DEP_1)
	v_mov_b32_e32 v1, v6
.LBB60_324:
	s_or_b32 exec_lo, exec_lo, s0
.LBB60_325:
	s_delay_alu instid0(SALU_CYCLE_1)
	s_or_b32 exec_lo, exec_lo, s4
	s_mov_b32 s0, 0
.LBB60_326:
	s_delay_alu instid0(SALU_CYCLE_1)
	s_and_b32 vcc_lo, exec_lo, s0
	s_cbranch_vccz .LBB60_364
; %bb.327:
	s_wait_loadcnt 0x0
	v_mov_b32_dpp v1, v4 quad_perm:[1,0,3,2] row_mask:0xf bank_mask:0xf
	s_mov_b32 s0, exec_lo
	s_delay_alu instid0(VALU_DEP_1)
	v_cmpx_o_f32_e32 v1, v1
	s_cbranch_execz .LBB60_331
; %bb.328:
	s_mov_b32 s1, exec_lo
	v_cmpx_o_f32_e32 v4, v4
; %bb.329:
	v_cmp_lt_f32_e32 vcc_lo, v4, v1
	v_cndmask_b32_e32 v4, v1, v4, vcc_lo
; %bb.330:
	s_or_b32 exec_lo, exec_lo, s1
	s_delay_alu instid0(VALU_DEP_1)
	v_mov_b32_e32 v1, v4
.LBB60_331:
	s_or_b32 exec_lo, exec_lo, s0
	s_delay_alu instid0(VALU_DEP_1) | instskip(SKIP_1) | instid1(VALU_DEP_1)
	v_mov_b32_dpp v4, v1 quad_perm:[2,3,0,1] row_mask:0xf bank_mask:0xf
	s_mov_b32 s0, exec_lo
	v_cmpx_o_f32_e32 v4, v4
	s_cbranch_execz .LBB60_335
; %bb.332:
	s_mov_b32 s1, exec_lo
	v_cmpx_o_f32_e32 v1, v1
; %bb.333:
	v_cmp_lt_f32_e32 vcc_lo, v1, v4
	v_cndmask_b32_e32 v1, v4, v1, vcc_lo
; %bb.334:
	s_or_b32 exec_lo, exec_lo, s1
	s_delay_alu instid0(VALU_DEP_1)
	v_mov_b32_e32 v4, v1
.LBB60_335:
	s_or_b32 exec_lo, exec_lo, s0
	s_delay_alu instid0(VALU_DEP_1) | instskip(SKIP_1) | instid1(VALU_DEP_1)
	v_mov_b32_dpp v1, v4 row_ror:4 row_mask:0xf bank_mask:0xf
	s_mov_b32 s0, exec_lo
	v_cmpx_o_f32_e32 v1, v1
	s_cbranch_execz .LBB60_339
; %bb.336:
	s_mov_b32 s1, exec_lo
	v_cmpx_o_f32_e32 v4, v4
; %bb.337:
	v_cmp_lt_f32_e32 vcc_lo, v4, v1
	v_cndmask_b32_e32 v4, v1, v4, vcc_lo
; %bb.338:
	s_or_b32 exec_lo, exec_lo, s1
	s_delay_alu instid0(VALU_DEP_1)
	v_mov_b32_e32 v1, v4
.LBB60_339:
	s_or_b32 exec_lo, exec_lo, s0
	s_delay_alu instid0(VALU_DEP_1) | instskip(SKIP_1) | instid1(VALU_DEP_1)
	v_mov_b32_dpp v4, v1 row_ror:8 row_mask:0xf bank_mask:0xf
	s_mov_b32 s0, exec_lo
	v_cmpx_o_f32_e32 v4, v4
	s_cbranch_execz .LBB60_343
; %bb.340:
	s_mov_b32 s1, exec_lo
	v_cmpx_o_f32_e32 v1, v1
; %bb.341:
	v_cmp_lt_f32_e32 vcc_lo, v1, v4
	v_cndmask_b32_e32 v1, v4, v1, vcc_lo
; %bb.342:
	s_or_b32 exec_lo, exec_lo, s1
	s_delay_alu instid0(VALU_DEP_1)
	v_mov_b32_e32 v4, v1
.LBB60_343:
	s_or_b32 exec_lo, exec_lo, s0
	ds_swizzle_b32 v1, v4 offset:swizzle(BROADCAST,32,15)
	s_mov_b32 s0, exec_lo
	s_wait_dscnt 0x0
	v_cmpx_o_f32_e32 v1, v1
	s_cbranch_execz .LBB60_347
; %bb.344:
	s_mov_b32 s1, exec_lo
	v_cmpx_o_f32_e32 v4, v4
; %bb.345:
	v_cmp_lt_f32_e32 vcc_lo, v4, v1
	v_cndmask_b32_e32 v4, v1, v4, vcc_lo
; %bb.346:
	s_or_b32 exec_lo, exec_lo, s1
	s_delay_alu instid0(VALU_DEP_1)
	v_mov_b32_e32 v1, v4
.LBB60_347:
	s_or_b32 exec_lo, exec_lo, s0
	v_mov_b32_e32 v4, 0
	s_mov_b32 s0, exec_lo
	ds_bpermute_b32 v1, v4, v1 offset:124
	v_cmpx_eq_u32_e32 0, v2
	s_cbranch_execz .LBB60_349
; %bb.348:
	v_lshlrev_b32_e32 v3, 2, v3
	s_wait_dscnt 0x0
	ds_store_b32 v3, v1
.LBB60_349:
	s_or_b32 exec_lo, exec_lo, s0
	s_delay_alu instid0(SALU_CYCLE_1)
	s_mov_b32 s0, exec_lo
	s_wait_dscnt 0x0
	s_barrier_signal -1
	s_barrier_wait -1
	v_cmpx_gt_u32_e32 32, v0
	s_cbranch_execz .LBB60_363
; %bb.350:
	v_and_b32_e32 v3, 7, v2
	s_mov_b32 s1, exec_lo
	s_delay_alu instid0(VALU_DEP_1) | instskip(SKIP_1) | instid1(VALU_DEP_1)
	v_cmp_ne_u32_e32 vcc_lo, 7, v3
	v_add_co_ci_u32_e64 v4, null, 0, v2, vcc_lo
	v_dual_lshlrev_b32 v4, 2, v4 :: v_dual_lshlrev_b32 v1, 2, v3
	ds_load_b32 v1, v1
	s_wait_dscnt 0x0
	ds_bpermute_b32 v4, v4, v1
	v_cmpx_o_f32_e32 v1, v1
	s_cbranch_execz .LBB60_354
; %bb.351:
	s_mov_b32 s4, exec_lo
	s_wait_dscnt 0x0
	v_cmpx_o_f32_e32 v4, v4
; %bb.352:
	v_cmp_gt_f32_e32 vcc_lo, v1, v4
	v_cndmask_b32_e32 v4, v1, v4, vcc_lo
; %bb.353:
	s_or_b32 exec_lo, exec_lo, s4
	s_delay_alu instid0(VALU_DEP_1)
	v_mov_b32_e32 v1, v4
.LBB60_354:
	s_or_b32 exec_lo, exec_lo, s1
	v_cmp_gt_u32_e32 vcc_lo, 6, v3
	s_mov_b32 s1, exec_lo
	v_cndmask_b32_e64 v3, 0, 2, vcc_lo
	s_delay_alu instid0(VALU_DEP_1)
	v_add_lshl_u32 v3, v3, v2, 2
	v_lshlrev_b32_e32 v2, 2, v2
	ds_bpermute_b32 v3, v3, v1
	v_cmpx_o_f32_e32 v1, v1
	s_cbranch_execz .LBB60_358
; %bb.355:
	s_mov_b32 s4, exec_lo
	s_wait_dscnt 0x0
	v_cmpx_o_f32_e32 v3, v3
; %bb.356:
	v_cmp_gt_f32_e32 vcc_lo, v1, v3
	v_cndmask_b32_e32 v3, v1, v3, vcc_lo
; %bb.357:
	s_or_b32 exec_lo, exec_lo, s4
	s_delay_alu instid0(VALU_DEP_1)
	v_mov_b32_e32 v1, v3
.LBB60_358:
	s_or_b32 exec_lo, exec_lo, s1
	v_or_b32_e32 v2, 16, v2
	s_mov_b32 s1, exec_lo
	ds_bpermute_b32 v2, v2, v1
	v_cmpx_o_f32_e32 v1, v1
	s_cbranch_execz .LBB60_362
; %bb.359:
	s_mov_b32 s4, exec_lo
	s_wait_dscnt 0x0
	v_cmpx_o_f32_e32 v2, v2
; %bb.360:
	v_cmp_gt_f32_e32 vcc_lo, v1, v2
	v_cndmask_b32_e32 v2, v1, v2, vcc_lo
; %bb.361:
	s_or_b32 exec_lo, exec_lo, s4
	s_delay_alu instid0(VALU_DEP_1)
	v_mov_b32_e32 v1, v2
.LBB60_362:
	s_or_b32 exec_lo, exec_lo, s1
.LBB60_363:
	s_delay_alu instid0(SALU_CYCLE_1)
	s_or_b32 exec_lo, exec_lo, s0
.LBB60_364:
	s_delay_alu instid0(SALU_CYCLE_1)
	s_mov_b32 s0, exec_lo
                                        ; implicit-def: $vgpr2
	v_cmpx_eq_u32_e32 0, v0
	s_cbranch_execz .LBB60_370
; %bb.365:
	s_wait_dscnt 0x0
	v_mov_b32_e32 v2, s13
	s_cmp_u_f32 s13, s13
	s_cbranch_scc1 .LBB60_369
; %bb.366:
	s_mov_b32 s1, exec_lo
	v_cmpx_o_f32_e32 v1, v1
; %bb.367:
	v_cmp_gt_f32_e32 vcc_lo, s13, v1
	v_cndmask_b32_e32 v1, s13, v1, vcc_lo
; %bb.368:
	s_or_b32 exec_lo, exec_lo, s1
	s_delay_alu instid0(VALU_DEP_1)
	v_mov_b32_e32 v2, v1
.LBB60_369:
	s_or_b32 s12, s12, exec_lo
.LBB60_370:
	s_or_b32 exec_lo, exec_lo, s0
	s_and_saveexec_b32 s0, s12
	s_cbranch_execz .LBB60_372
.LBB60_371:
	v_mov_b32_e32 v0, 0
	s_add_nc_u64 s[0:1], s[6:7], s[8:9]
	s_lshl_b64 s[2:3], s[2:3], 2
	s_delay_alu instid0(SALU_CYCLE_1)
	s_add_nc_u64 s[0:1], s[0:1], s[2:3]
	s_wait_dscnt 0x0
	global_store_b32 v0, v2, s[0:1]
.LBB60_372:
	s_endpgm
	.section	.rodata,"a",@progbits
	.p2align	6, 0x0
	.amdhsa_kernel _ZN7rocprim17ROCPRIM_400000_NS6detail17trampoline_kernelINS0_14default_configENS1_32segmented_reduce_config_selectorIfEEZNS1_21segmented_reduce_implIS3_PKfPfPKifN6hipcub16HIPCUB_304000_NS6detail27convert_result_type_wrapperIS8_S9_N2at6native12_GLOBAL__N_19CustomMinEEEEE10hipError_tPvRmT0_T1_jT2_SQ_T4_T3_P12ihipStream_tbEUlT_E_NS1_11comp_targetILNS1_3genE0ELNS1_11target_archE4294967295ELNS1_3gpuE0ELNS1_3repE0EEENS1_30default_config_static_selectorELNS0_4arch9wavefront6targetE0EEEvSP_
		.amdhsa_group_segment_fixed_size 32
		.amdhsa_private_segment_fixed_size 0
		.amdhsa_kernarg_size 48
		.amdhsa_user_sgpr_count 2
		.amdhsa_user_sgpr_dispatch_ptr 0
		.amdhsa_user_sgpr_queue_ptr 0
		.amdhsa_user_sgpr_kernarg_segment_ptr 1
		.amdhsa_user_sgpr_dispatch_id 0
		.amdhsa_user_sgpr_kernarg_preload_length 0
		.amdhsa_user_sgpr_kernarg_preload_offset 0
		.amdhsa_user_sgpr_private_segment_size 0
		.amdhsa_wavefront_size32 1
		.amdhsa_uses_dynamic_stack 0
		.amdhsa_enable_private_segment 0
		.amdhsa_system_sgpr_workgroup_id_x 1
		.amdhsa_system_sgpr_workgroup_id_y 0
		.amdhsa_system_sgpr_workgroup_id_z 0
		.amdhsa_system_sgpr_workgroup_info 0
		.amdhsa_system_vgpr_workitem_id 0
		.amdhsa_next_free_vgpr 33
		.amdhsa_next_free_sgpr 18
		.amdhsa_named_barrier_count 0
		.amdhsa_reserve_vcc 1
		.amdhsa_float_round_mode_32 0
		.amdhsa_float_round_mode_16_64 0
		.amdhsa_float_denorm_mode_32 3
		.amdhsa_float_denorm_mode_16_64 3
		.amdhsa_fp16_overflow 0
		.amdhsa_memory_ordered 1
		.amdhsa_forward_progress 1
		.amdhsa_inst_pref_size 55
		.amdhsa_round_robin_scheduling 0
		.amdhsa_exception_fp_ieee_invalid_op 0
		.amdhsa_exception_fp_denorm_src 0
		.amdhsa_exception_fp_ieee_div_zero 0
		.amdhsa_exception_fp_ieee_overflow 0
		.amdhsa_exception_fp_ieee_underflow 0
		.amdhsa_exception_fp_ieee_inexact 0
		.amdhsa_exception_int_div_zero 0
	.end_amdhsa_kernel
	.section	.text._ZN7rocprim17ROCPRIM_400000_NS6detail17trampoline_kernelINS0_14default_configENS1_32segmented_reduce_config_selectorIfEEZNS1_21segmented_reduce_implIS3_PKfPfPKifN6hipcub16HIPCUB_304000_NS6detail27convert_result_type_wrapperIS8_S9_N2at6native12_GLOBAL__N_19CustomMinEEEEE10hipError_tPvRmT0_T1_jT2_SQ_T4_T3_P12ihipStream_tbEUlT_E_NS1_11comp_targetILNS1_3genE0ELNS1_11target_archE4294967295ELNS1_3gpuE0ELNS1_3repE0EEENS1_30default_config_static_selectorELNS0_4arch9wavefront6targetE0EEEvSP_,"axG",@progbits,_ZN7rocprim17ROCPRIM_400000_NS6detail17trampoline_kernelINS0_14default_configENS1_32segmented_reduce_config_selectorIfEEZNS1_21segmented_reduce_implIS3_PKfPfPKifN6hipcub16HIPCUB_304000_NS6detail27convert_result_type_wrapperIS8_S9_N2at6native12_GLOBAL__N_19CustomMinEEEEE10hipError_tPvRmT0_T1_jT2_SQ_T4_T3_P12ihipStream_tbEUlT_E_NS1_11comp_targetILNS1_3genE0ELNS1_11target_archE4294967295ELNS1_3gpuE0ELNS1_3repE0EEENS1_30default_config_static_selectorELNS0_4arch9wavefront6targetE0EEEvSP_,comdat
.Lfunc_end60:
	.size	_ZN7rocprim17ROCPRIM_400000_NS6detail17trampoline_kernelINS0_14default_configENS1_32segmented_reduce_config_selectorIfEEZNS1_21segmented_reduce_implIS3_PKfPfPKifN6hipcub16HIPCUB_304000_NS6detail27convert_result_type_wrapperIS8_S9_N2at6native12_GLOBAL__N_19CustomMinEEEEE10hipError_tPvRmT0_T1_jT2_SQ_T4_T3_P12ihipStream_tbEUlT_E_NS1_11comp_targetILNS1_3genE0ELNS1_11target_archE4294967295ELNS1_3gpuE0ELNS1_3repE0EEENS1_30default_config_static_selectorELNS0_4arch9wavefront6targetE0EEEvSP_, .Lfunc_end60-_ZN7rocprim17ROCPRIM_400000_NS6detail17trampoline_kernelINS0_14default_configENS1_32segmented_reduce_config_selectorIfEEZNS1_21segmented_reduce_implIS3_PKfPfPKifN6hipcub16HIPCUB_304000_NS6detail27convert_result_type_wrapperIS8_S9_N2at6native12_GLOBAL__N_19CustomMinEEEEE10hipError_tPvRmT0_T1_jT2_SQ_T4_T3_P12ihipStream_tbEUlT_E_NS1_11comp_targetILNS1_3genE0ELNS1_11target_archE4294967295ELNS1_3gpuE0ELNS1_3repE0EEENS1_30default_config_static_selectorELNS0_4arch9wavefront6targetE0EEEvSP_
                                        ; -- End function
	.set _ZN7rocprim17ROCPRIM_400000_NS6detail17trampoline_kernelINS0_14default_configENS1_32segmented_reduce_config_selectorIfEEZNS1_21segmented_reduce_implIS3_PKfPfPKifN6hipcub16HIPCUB_304000_NS6detail27convert_result_type_wrapperIS8_S9_N2at6native12_GLOBAL__N_19CustomMinEEEEE10hipError_tPvRmT0_T1_jT2_SQ_T4_T3_P12ihipStream_tbEUlT_E_NS1_11comp_targetILNS1_3genE0ELNS1_11target_archE4294967295ELNS1_3gpuE0ELNS1_3repE0EEENS1_30default_config_static_selectorELNS0_4arch9wavefront6targetE0EEEvSP_.num_vgpr, 33
	.set _ZN7rocprim17ROCPRIM_400000_NS6detail17trampoline_kernelINS0_14default_configENS1_32segmented_reduce_config_selectorIfEEZNS1_21segmented_reduce_implIS3_PKfPfPKifN6hipcub16HIPCUB_304000_NS6detail27convert_result_type_wrapperIS8_S9_N2at6native12_GLOBAL__N_19CustomMinEEEEE10hipError_tPvRmT0_T1_jT2_SQ_T4_T3_P12ihipStream_tbEUlT_E_NS1_11comp_targetILNS1_3genE0ELNS1_11target_archE4294967295ELNS1_3gpuE0ELNS1_3repE0EEENS1_30default_config_static_selectorELNS0_4arch9wavefront6targetE0EEEvSP_.num_agpr, 0
	.set _ZN7rocprim17ROCPRIM_400000_NS6detail17trampoline_kernelINS0_14default_configENS1_32segmented_reduce_config_selectorIfEEZNS1_21segmented_reduce_implIS3_PKfPfPKifN6hipcub16HIPCUB_304000_NS6detail27convert_result_type_wrapperIS8_S9_N2at6native12_GLOBAL__N_19CustomMinEEEEE10hipError_tPvRmT0_T1_jT2_SQ_T4_T3_P12ihipStream_tbEUlT_E_NS1_11comp_targetILNS1_3genE0ELNS1_11target_archE4294967295ELNS1_3gpuE0ELNS1_3repE0EEENS1_30default_config_static_selectorELNS0_4arch9wavefront6targetE0EEEvSP_.numbered_sgpr, 18
	.set _ZN7rocprim17ROCPRIM_400000_NS6detail17trampoline_kernelINS0_14default_configENS1_32segmented_reduce_config_selectorIfEEZNS1_21segmented_reduce_implIS3_PKfPfPKifN6hipcub16HIPCUB_304000_NS6detail27convert_result_type_wrapperIS8_S9_N2at6native12_GLOBAL__N_19CustomMinEEEEE10hipError_tPvRmT0_T1_jT2_SQ_T4_T3_P12ihipStream_tbEUlT_E_NS1_11comp_targetILNS1_3genE0ELNS1_11target_archE4294967295ELNS1_3gpuE0ELNS1_3repE0EEENS1_30default_config_static_selectorELNS0_4arch9wavefront6targetE0EEEvSP_.num_named_barrier, 0
	.set _ZN7rocprim17ROCPRIM_400000_NS6detail17trampoline_kernelINS0_14default_configENS1_32segmented_reduce_config_selectorIfEEZNS1_21segmented_reduce_implIS3_PKfPfPKifN6hipcub16HIPCUB_304000_NS6detail27convert_result_type_wrapperIS8_S9_N2at6native12_GLOBAL__N_19CustomMinEEEEE10hipError_tPvRmT0_T1_jT2_SQ_T4_T3_P12ihipStream_tbEUlT_E_NS1_11comp_targetILNS1_3genE0ELNS1_11target_archE4294967295ELNS1_3gpuE0ELNS1_3repE0EEENS1_30default_config_static_selectorELNS0_4arch9wavefront6targetE0EEEvSP_.private_seg_size, 0
	.set _ZN7rocprim17ROCPRIM_400000_NS6detail17trampoline_kernelINS0_14default_configENS1_32segmented_reduce_config_selectorIfEEZNS1_21segmented_reduce_implIS3_PKfPfPKifN6hipcub16HIPCUB_304000_NS6detail27convert_result_type_wrapperIS8_S9_N2at6native12_GLOBAL__N_19CustomMinEEEEE10hipError_tPvRmT0_T1_jT2_SQ_T4_T3_P12ihipStream_tbEUlT_E_NS1_11comp_targetILNS1_3genE0ELNS1_11target_archE4294967295ELNS1_3gpuE0ELNS1_3repE0EEENS1_30default_config_static_selectorELNS0_4arch9wavefront6targetE0EEEvSP_.uses_vcc, 1
	.set _ZN7rocprim17ROCPRIM_400000_NS6detail17trampoline_kernelINS0_14default_configENS1_32segmented_reduce_config_selectorIfEEZNS1_21segmented_reduce_implIS3_PKfPfPKifN6hipcub16HIPCUB_304000_NS6detail27convert_result_type_wrapperIS8_S9_N2at6native12_GLOBAL__N_19CustomMinEEEEE10hipError_tPvRmT0_T1_jT2_SQ_T4_T3_P12ihipStream_tbEUlT_E_NS1_11comp_targetILNS1_3genE0ELNS1_11target_archE4294967295ELNS1_3gpuE0ELNS1_3repE0EEENS1_30default_config_static_selectorELNS0_4arch9wavefront6targetE0EEEvSP_.uses_flat_scratch, 0
	.set _ZN7rocprim17ROCPRIM_400000_NS6detail17trampoline_kernelINS0_14default_configENS1_32segmented_reduce_config_selectorIfEEZNS1_21segmented_reduce_implIS3_PKfPfPKifN6hipcub16HIPCUB_304000_NS6detail27convert_result_type_wrapperIS8_S9_N2at6native12_GLOBAL__N_19CustomMinEEEEE10hipError_tPvRmT0_T1_jT2_SQ_T4_T3_P12ihipStream_tbEUlT_E_NS1_11comp_targetILNS1_3genE0ELNS1_11target_archE4294967295ELNS1_3gpuE0ELNS1_3repE0EEENS1_30default_config_static_selectorELNS0_4arch9wavefront6targetE0EEEvSP_.has_dyn_sized_stack, 0
	.set _ZN7rocprim17ROCPRIM_400000_NS6detail17trampoline_kernelINS0_14default_configENS1_32segmented_reduce_config_selectorIfEEZNS1_21segmented_reduce_implIS3_PKfPfPKifN6hipcub16HIPCUB_304000_NS6detail27convert_result_type_wrapperIS8_S9_N2at6native12_GLOBAL__N_19CustomMinEEEEE10hipError_tPvRmT0_T1_jT2_SQ_T4_T3_P12ihipStream_tbEUlT_E_NS1_11comp_targetILNS1_3genE0ELNS1_11target_archE4294967295ELNS1_3gpuE0ELNS1_3repE0EEENS1_30default_config_static_selectorELNS0_4arch9wavefront6targetE0EEEvSP_.has_recursion, 0
	.set _ZN7rocprim17ROCPRIM_400000_NS6detail17trampoline_kernelINS0_14default_configENS1_32segmented_reduce_config_selectorIfEEZNS1_21segmented_reduce_implIS3_PKfPfPKifN6hipcub16HIPCUB_304000_NS6detail27convert_result_type_wrapperIS8_S9_N2at6native12_GLOBAL__N_19CustomMinEEEEE10hipError_tPvRmT0_T1_jT2_SQ_T4_T3_P12ihipStream_tbEUlT_E_NS1_11comp_targetILNS1_3genE0ELNS1_11target_archE4294967295ELNS1_3gpuE0ELNS1_3repE0EEENS1_30default_config_static_selectorELNS0_4arch9wavefront6targetE0EEEvSP_.has_indirect_call, 0
	.section	.AMDGPU.csdata,"",@progbits
; Kernel info:
; codeLenInByte = 6916
; TotalNumSgprs: 20
; NumVgprs: 33
; ScratchSize: 0
; MemoryBound: 0
; FloatMode: 240
; IeeeMode: 1
; LDSByteSize: 32 bytes/workgroup (compile time only)
; SGPRBlocks: 0
; VGPRBlocks: 2
; NumSGPRsForWavesPerEU: 20
; NumVGPRsForWavesPerEU: 33
; NamedBarCnt: 0
; Occupancy: 16
; WaveLimiterHint : 1
; COMPUTE_PGM_RSRC2:SCRATCH_EN: 0
; COMPUTE_PGM_RSRC2:USER_SGPR: 2
; COMPUTE_PGM_RSRC2:TRAP_HANDLER: 0
; COMPUTE_PGM_RSRC2:TGID_X_EN: 1
; COMPUTE_PGM_RSRC2:TGID_Y_EN: 0
; COMPUTE_PGM_RSRC2:TGID_Z_EN: 0
; COMPUTE_PGM_RSRC2:TIDIG_COMP_CNT: 0
	.section	.text._ZN7rocprim17ROCPRIM_400000_NS6detail17trampoline_kernelINS0_14default_configENS1_32segmented_reduce_config_selectorIfEEZNS1_21segmented_reduce_implIS3_PKfPfPKifN6hipcub16HIPCUB_304000_NS6detail27convert_result_type_wrapperIS8_S9_N2at6native12_GLOBAL__N_19CustomMinEEEEE10hipError_tPvRmT0_T1_jT2_SQ_T4_T3_P12ihipStream_tbEUlT_E_NS1_11comp_targetILNS1_3genE5ELNS1_11target_archE942ELNS1_3gpuE9ELNS1_3repE0EEENS1_30default_config_static_selectorELNS0_4arch9wavefront6targetE0EEEvSP_,"axG",@progbits,_ZN7rocprim17ROCPRIM_400000_NS6detail17trampoline_kernelINS0_14default_configENS1_32segmented_reduce_config_selectorIfEEZNS1_21segmented_reduce_implIS3_PKfPfPKifN6hipcub16HIPCUB_304000_NS6detail27convert_result_type_wrapperIS8_S9_N2at6native12_GLOBAL__N_19CustomMinEEEEE10hipError_tPvRmT0_T1_jT2_SQ_T4_T3_P12ihipStream_tbEUlT_E_NS1_11comp_targetILNS1_3genE5ELNS1_11target_archE942ELNS1_3gpuE9ELNS1_3repE0EEENS1_30default_config_static_selectorELNS0_4arch9wavefront6targetE0EEEvSP_,comdat
	.globl	_ZN7rocprim17ROCPRIM_400000_NS6detail17trampoline_kernelINS0_14default_configENS1_32segmented_reduce_config_selectorIfEEZNS1_21segmented_reduce_implIS3_PKfPfPKifN6hipcub16HIPCUB_304000_NS6detail27convert_result_type_wrapperIS8_S9_N2at6native12_GLOBAL__N_19CustomMinEEEEE10hipError_tPvRmT0_T1_jT2_SQ_T4_T3_P12ihipStream_tbEUlT_E_NS1_11comp_targetILNS1_3genE5ELNS1_11target_archE942ELNS1_3gpuE9ELNS1_3repE0EEENS1_30default_config_static_selectorELNS0_4arch9wavefront6targetE0EEEvSP_ ; -- Begin function _ZN7rocprim17ROCPRIM_400000_NS6detail17trampoline_kernelINS0_14default_configENS1_32segmented_reduce_config_selectorIfEEZNS1_21segmented_reduce_implIS3_PKfPfPKifN6hipcub16HIPCUB_304000_NS6detail27convert_result_type_wrapperIS8_S9_N2at6native12_GLOBAL__N_19CustomMinEEEEE10hipError_tPvRmT0_T1_jT2_SQ_T4_T3_P12ihipStream_tbEUlT_E_NS1_11comp_targetILNS1_3genE5ELNS1_11target_archE942ELNS1_3gpuE9ELNS1_3repE0EEENS1_30default_config_static_selectorELNS0_4arch9wavefront6targetE0EEEvSP_
	.p2align	8
	.type	_ZN7rocprim17ROCPRIM_400000_NS6detail17trampoline_kernelINS0_14default_configENS1_32segmented_reduce_config_selectorIfEEZNS1_21segmented_reduce_implIS3_PKfPfPKifN6hipcub16HIPCUB_304000_NS6detail27convert_result_type_wrapperIS8_S9_N2at6native12_GLOBAL__N_19CustomMinEEEEE10hipError_tPvRmT0_T1_jT2_SQ_T4_T3_P12ihipStream_tbEUlT_E_NS1_11comp_targetILNS1_3genE5ELNS1_11target_archE942ELNS1_3gpuE9ELNS1_3repE0EEENS1_30default_config_static_selectorELNS0_4arch9wavefront6targetE0EEEvSP_,@function
_ZN7rocprim17ROCPRIM_400000_NS6detail17trampoline_kernelINS0_14default_configENS1_32segmented_reduce_config_selectorIfEEZNS1_21segmented_reduce_implIS3_PKfPfPKifN6hipcub16HIPCUB_304000_NS6detail27convert_result_type_wrapperIS8_S9_N2at6native12_GLOBAL__N_19CustomMinEEEEE10hipError_tPvRmT0_T1_jT2_SQ_T4_T3_P12ihipStream_tbEUlT_E_NS1_11comp_targetILNS1_3genE5ELNS1_11target_archE942ELNS1_3gpuE9ELNS1_3repE0EEENS1_30default_config_static_selectorELNS0_4arch9wavefront6targetE0EEEvSP_: ; @_ZN7rocprim17ROCPRIM_400000_NS6detail17trampoline_kernelINS0_14default_configENS1_32segmented_reduce_config_selectorIfEEZNS1_21segmented_reduce_implIS3_PKfPfPKifN6hipcub16HIPCUB_304000_NS6detail27convert_result_type_wrapperIS8_S9_N2at6native12_GLOBAL__N_19CustomMinEEEEE10hipError_tPvRmT0_T1_jT2_SQ_T4_T3_P12ihipStream_tbEUlT_E_NS1_11comp_targetILNS1_3genE5ELNS1_11target_archE942ELNS1_3gpuE9ELNS1_3repE0EEENS1_30default_config_static_selectorELNS0_4arch9wavefront6targetE0EEEvSP_
; %bb.0:
	.section	.rodata,"a",@progbits
	.p2align	6, 0x0
	.amdhsa_kernel _ZN7rocprim17ROCPRIM_400000_NS6detail17trampoline_kernelINS0_14default_configENS1_32segmented_reduce_config_selectorIfEEZNS1_21segmented_reduce_implIS3_PKfPfPKifN6hipcub16HIPCUB_304000_NS6detail27convert_result_type_wrapperIS8_S9_N2at6native12_GLOBAL__N_19CustomMinEEEEE10hipError_tPvRmT0_T1_jT2_SQ_T4_T3_P12ihipStream_tbEUlT_E_NS1_11comp_targetILNS1_3genE5ELNS1_11target_archE942ELNS1_3gpuE9ELNS1_3repE0EEENS1_30default_config_static_selectorELNS0_4arch9wavefront6targetE0EEEvSP_
		.amdhsa_group_segment_fixed_size 0
		.amdhsa_private_segment_fixed_size 0
		.amdhsa_kernarg_size 48
		.amdhsa_user_sgpr_count 2
		.amdhsa_user_sgpr_dispatch_ptr 0
		.amdhsa_user_sgpr_queue_ptr 0
		.amdhsa_user_sgpr_kernarg_segment_ptr 1
		.amdhsa_user_sgpr_dispatch_id 0
		.amdhsa_user_sgpr_kernarg_preload_length 0
		.amdhsa_user_sgpr_kernarg_preload_offset 0
		.amdhsa_user_sgpr_private_segment_size 0
		.amdhsa_wavefront_size32 1
		.amdhsa_uses_dynamic_stack 0
		.amdhsa_enable_private_segment 0
		.amdhsa_system_sgpr_workgroup_id_x 1
		.amdhsa_system_sgpr_workgroup_id_y 0
		.amdhsa_system_sgpr_workgroup_id_z 0
		.amdhsa_system_sgpr_workgroup_info 0
		.amdhsa_system_vgpr_workitem_id 0
		.amdhsa_next_free_vgpr 1
		.amdhsa_next_free_sgpr 1
		.amdhsa_named_barrier_count 0
		.amdhsa_reserve_vcc 0
		.amdhsa_float_round_mode_32 0
		.amdhsa_float_round_mode_16_64 0
		.amdhsa_float_denorm_mode_32 3
		.amdhsa_float_denorm_mode_16_64 3
		.amdhsa_fp16_overflow 0
		.amdhsa_memory_ordered 1
		.amdhsa_forward_progress 1
		.amdhsa_inst_pref_size 0
		.amdhsa_round_robin_scheduling 0
		.amdhsa_exception_fp_ieee_invalid_op 0
		.amdhsa_exception_fp_denorm_src 0
		.amdhsa_exception_fp_ieee_div_zero 0
		.amdhsa_exception_fp_ieee_overflow 0
		.amdhsa_exception_fp_ieee_underflow 0
		.amdhsa_exception_fp_ieee_inexact 0
		.amdhsa_exception_int_div_zero 0
	.end_amdhsa_kernel
	.section	.text._ZN7rocprim17ROCPRIM_400000_NS6detail17trampoline_kernelINS0_14default_configENS1_32segmented_reduce_config_selectorIfEEZNS1_21segmented_reduce_implIS3_PKfPfPKifN6hipcub16HIPCUB_304000_NS6detail27convert_result_type_wrapperIS8_S9_N2at6native12_GLOBAL__N_19CustomMinEEEEE10hipError_tPvRmT0_T1_jT2_SQ_T4_T3_P12ihipStream_tbEUlT_E_NS1_11comp_targetILNS1_3genE5ELNS1_11target_archE942ELNS1_3gpuE9ELNS1_3repE0EEENS1_30default_config_static_selectorELNS0_4arch9wavefront6targetE0EEEvSP_,"axG",@progbits,_ZN7rocprim17ROCPRIM_400000_NS6detail17trampoline_kernelINS0_14default_configENS1_32segmented_reduce_config_selectorIfEEZNS1_21segmented_reduce_implIS3_PKfPfPKifN6hipcub16HIPCUB_304000_NS6detail27convert_result_type_wrapperIS8_S9_N2at6native12_GLOBAL__N_19CustomMinEEEEE10hipError_tPvRmT0_T1_jT2_SQ_T4_T3_P12ihipStream_tbEUlT_E_NS1_11comp_targetILNS1_3genE5ELNS1_11target_archE942ELNS1_3gpuE9ELNS1_3repE0EEENS1_30default_config_static_selectorELNS0_4arch9wavefront6targetE0EEEvSP_,comdat
.Lfunc_end61:
	.size	_ZN7rocprim17ROCPRIM_400000_NS6detail17trampoline_kernelINS0_14default_configENS1_32segmented_reduce_config_selectorIfEEZNS1_21segmented_reduce_implIS3_PKfPfPKifN6hipcub16HIPCUB_304000_NS6detail27convert_result_type_wrapperIS8_S9_N2at6native12_GLOBAL__N_19CustomMinEEEEE10hipError_tPvRmT0_T1_jT2_SQ_T4_T3_P12ihipStream_tbEUlT_E_NS1_11comp_targetILNS1_3genE5ELNS1_11target_archE942ELNS1_3gpuE9ELNS1_3repE0EEENS1_30default_config_static_selectorELNS0_4arch9wavefront6targetE0EEEvSP_, .Lfunc_end61-_ZN7rocprim17ROCPRIM_400000_NS6detail17trampoline_kernelINS0_14default_configENS1_32segmented_reduce_config_selectorIfEEZNS1_21segmented_reduce_implIS3_PKfPfPKifN6hipcub16HIPCUB_304000_NS6detail27convert_result_type_wrapperIS8_S9_N2at6native12_GLOBAL__N_19CustomMinEEEEE10hipError_tPvRmT0_T1_jT2_SQ_T4_T3_P12ihipStream_tbEUlT_E_NS1_11comp_targetILNS1_3genE5ELNS1_11target_archE942ELNS1_3gpuE9ELNS1_3repE0EEENS1_30default_config_static_selectorELNS0_4arch9wavefront6targetE0EEEvSP_
                                        ; -- End function
	.set _ZN7rocprim17ROCPRIM_400000_NS6detail17trampoline_kernelINS0_14default_configENS1_32segmented_reduce_config_selectorIfEEZNS1_21segmented_reduce_implIS3_PKfPfPKifN6hipcub16HIPCUB_304000_NS6detail27convert_result_type_wrapperIS8_S9_N2at6native12_GLOBAL__N_19CustomMinEEEEE10hipError_tPvRmT0_T1_jT2_SQ_T4_T3_P12ihipStream_tbEUlT_E_NS1_11comp_targetILNS1_3genE5ELNS1_11target_archE942ELNS1_3gpuE9ELNS1_3repE0EEENS1_30default_config_static_selectorELNS0_4arch9wavefront6targetE0EEEvSP_.num_vgpr, 0
	.set _ZN7rocprim17ROCPRIM_400000_NS6detail17trampoline_kernelINS0_14default_configENS1_32segmented_reduce_config_selectorIfEEZNS1_21segmented_reduce_implIS3_PKfPfPKifN6hipcub16HIPCUB_304000_NS6detail27convert_result_type_wrapperIS8_S9_N2at6native12_GLOBAL__N_19CustomMinEEEEE10hipError_tPvRmT0_T1_jT2_SQ_T4_T3_P12ihipStream_tbEUlT_E_NS1_11comp_targetILNS1_3genE5ELNS1_11target_archE942ELNS1_3gpuE9ELNS1_3repE0EEENS1_30default_config_static_selectorELNS0_4arch9wavefront6targetE0EEEvSP_.num_agpr, 0
	.set _ZN7rocprim17ROCPRIM_400000_NS6detail17trampoline_kernelINS0_14default_configENS1_32segmented_reduce_config_selectorIfEEZNS1_21segmented_reduce_implIS3_PKfPfPKifN6hipcub16HIPCUB_304000_NS6detail27convert_result_type_wrapperIS8_S9_N2at6native12_GLOBAL__N_19CustomMinEEEEE10hipError_tPvRmT0_T1_jT2_SQ_T4_T3_P12ihipStream_tbEUlT_E_NS1_11comp_targetILNS1_3genE5ELNS1_11target_archE942ELNS1_3gpuE9ELNS1_3repE0EEENS1_30default_config_static_selectorELNS0_4arch9wavefront6targetE0EEEvSP_.numbered_sgpr, 0
	.set _ZN7rocprim17ROCPRIM_400000_NS6detail17trampoline_kernelINS0_14default_configENS1_32segmented_reduce_config_selectorIfEEZNS1_21segmented_reduce_implIS3_PKfPfPKifN6hipcub16HIPCUB_304000_NS6detail27convert_result_type_wrapperIS8_S9_N2at6native12_GLOBAL__N_19CustomMinEEEEE10hipError_tPvRmT0_T1_jT2_SQ_T4_T3_P12ihipStream_tbEUlT_E_NS1_11comp_targetILNS1_3genE5ELNS1_11target_archE942ELNS1_3gpuE9ELNS1_3repE0EEENS1_30default_config_static_selectorELNS0_4arch9wavefront6targetE0EEEvSP_.num_named_barrier, 0
	.set _ZN7rocprim17ROCPRIM_400000_NS6detail17trampoline_kernelINS0_14default_configENS1_32segmented_reduce_config_selectorIfEEZNS1_21segmented_reduce_implIS3_PKfPfPKifN6hipcub16HIPCUB_304000_NS6detail27convert_result_type_wrapperIS8_S9_N2at6native12_GLOBAL__N_19CustomMinEEEEE10hipError_tPvRmT0_T1_jT2_SQ_T4_T3_P12ihipStream_tbEUlT_E_NS1_11comp_targetILNS1_3genE5ELNS1_11target_archE942ELNS1_3gpuE9ELNS1_3repE0EEENS1_30default_config_static_selectorELNS0_4arch9wavefront6targetE0EEEvSP_.private_seg_size, 0
	.set _ZN7rocprim17ROCPRIM_400000_NS6detail17trampoline_kernelINS0_14default_configENS1_32segmented_reduce_config_selectorIfEEZNS1_21segmented_reduce_implIS3_PKfPfPKifN6hipcub16HIPCUB_304000_NS6detail27convert_result_type_wrapperIS8_S9_N2at6native12_GLOBAL__N_19CustomMinEEEEE10hipError_tPvRmT0_T1_jT2_SQ_T4_T3_P12ihipStream_tbEUlT_E_NS1_11comp_targetILNS1_3genE5ELNS1_11target_archE942ELNS1_3gpuE9ELNS1_3repE0EEENS1_30default_config_static_selectorELNS0_4arch9wavefront6targetE0EEEvSP_.uses_vcc, 0
	.set _ZN7rocprim17ROCPRIM_400000_NS6detail17trampoline_kernelINS0_14default_configENS1_32segmented_reduce_config_selectorIfEEZNS1_21segmented_reduce_implIS3_PKfPfPKifN6hipcub16HIPCUB_304000_NS6detail27convert_result_type_wrapperIS8_S9_N2at6native12_GLOBAL__N_19CustomMinEEEEE10hipError_tPvRmT0_T1_jT2_SQ_T4_T3_P12ihipStream_tbEUlT_E_NS1_11comp_targetILNS1_3genE5ELNS1_11target_archE942ELNS1_3gpuE9ELNS1_3repE0EEENS1_30default_config_static_selectorELNS0_4arch9wavefront6targetE0EEEvSP_.uses_flat_scratch, 0
	.set _ZN7rocprim17ROCPRIM_400000_NS6detail17trampoline_kernelINS0_14default_configENS1_32segmented_reduce_config_selectorIfEEZNS1_21segmented_reduce_implIS3_PKfPfPKifN6hipcub16HIPCUB_304000_NS6detail27convert_result_type_wrapperIS8_S9_N2at6native12_GLOBAL__N_19CustomMinEEEEE10hipError_tPvRmT0_T1_jT2_SQ_T4_T3_P12ihipStream_tbEUlT_E_NS1_11comp_targetILNS1_3genE5ELNS1_11target_archE942ELNS1_3gpuE9ELNS1_3repE0EEENS1_30default_config_static_selectorELNS0_4arch9wavefront6targetE0EEEvSP_.has_dyn_sized_stack, 0
	.set _ZN7rocprim17ROCPRIM_400000_NS6detail17trampoline_kernelINS0_14default_configENS1_32segmented_reduce_config_selectorIfEEZNS1_21segmented_reduce_implIS3_PKfPfPKifN6hipcub16HIPCUB_304000_NS6detail27convert_result_type_wrapperIS8_S9_N2at6native12_GLOBAL__N_19CustomMinEEEEE10hipError_tPvRmT0_T1_jT2_SQ_T4_T3_P12ihipStream_tbEUlT_E_NS1_11comp_targetILNS1_3genE5ELNS1_11target_archE942ELNS1_3gpuE9ELNS1_3repE0EEENS1_30default_config_static_selectorELNS0_4arch9wavefront6targetE0EEEvSP_.has_recursion, 0
	.set _ZN7rocprim17ROCPRIM_400000_NS6detail17trampoline_kernelINS0_14default_configENS1_32segmented_reduce_config_selectorIfEEZNS1_21segmented_reduce_implIS3_PKfPfPKifN6hipcub16HIPCUB_304000_NS6detail27convert_result_type_wrapperIS8_S9_N2at6native12_GLOBAL__N_19CustomMinEEEEE10hipError_tPvRmT0_T1_jT2_SQ_T4_T3_P12ihipStream_tbEUlT_E_NS1_11comp_targetILNS1_3genE5ELNS1_11target_archE942ELNS1_3gpuE9ELNS1_3repE0EEENS1_30default_config_static_selectorELNS0_4arch9wavefront6targetE0EEEvSP_.has_indirect_call, 0
	.section	.AMDGPU.csdata,"",@progbits
; Kernel info:
; codeLenInByte = 0
; TotalNumSgprs: 0
; NumVgprs: 0
; ScratchSize: 0
; MemoryBound: 0
; FloatMode: 240
; IeeeMode: 1
; LDSByteSize: 0 bytes/workgroup (compile time only)
; SGPRBlocks: 0
; VGPRBlocks: 0
; NumSGPRsForWavesPerEU: 1
; NumVGPRsForWavesPerEU: 1
; NamedBarCnt: 0
; Occupancy: 16
; WaveLimiterHint : 0
; COMPUTE_PGM_RSRC2:SCRATCH_EN: 0
; COMPUTE_PGM_RSRC2:USER_SGPR: 2
; COMPUTE_PGM_RSRC2:TRAP_HANDLER: 0
; COMPUTE_PGM_RSRC2:TGID_X_EN: 1
; COMPUTE_PGM_RSRC2:TGID_Y_EN: 0
; COMPUTE_PGM_RSRC2:TGID_Z_EN: 0
; COMPUTE_PGM_RSRC2:TIDIG_COMP_CNT: 0
	.section	.text._ZN7rocprim17ROCPRIM_400000_NS6detail17trampoline_kernelINS0_14default_configENS1_32segmented_reduce_config_selectorIfEEZNS1_21segmented_reduce_implIS3_PKfPfPKifN6hipcub16HIPCUB_304000_NS6detail27convert_result_type_wrapperIS8_S9_N2at6native12_GLOBAL__N_19CustomMinEEEEE10hipError_tPvRmT0_T1_jT2_SQ_T4_T3_P12ihipStream_tbEUlT_E_NS1_11comp_targetILNS1_3genE10ELNS1_11target_archE1201ELNS1_3gpuE5ELNS1_3repE0EEENS1_30default_config_static_selectorELNS0_4arch9wavefront6targetE0EEEvSP_,"axG",@progbits,_ZN7rocprim17ROCPRIM_400000_NS6detail17trampoline_kernelINS0_14default_configENS1_32segmented_reduce_config_selectorIfEEZNS1_21segmented_reduce_implIS3_PKfPfPKifN6hipcub16HIPCUB_304000_NS6detail27convert_result_type_wrapperIS8_S9_N2at6native12_GLOBAL__N_19CustomMinEEEEE10hipError_tPvRmT0_T1_jT2_SQ_T4_T3_P12ihipStream_tbEUlT_E_NS1_11comp_targetILNS1_3genE10ELNS1_11target_archE1201ELNS1_3gpuE5ELNS1_3repE0EEENS1_30default_config_static_selectorELNS0_4arch9wavefront6targetE0EEEvSP_,comdat
	.globl	_ZN7rocprim17ROCPRIM_400000_NS6detail17trampoline_kernelINS0_14default_configENS1_32segmented_reduce_config_selectorIfEEZNS1_21segmented_reduce_implIS3_PKfPfPKifN6hipcub16HIPCUB_304000_NS6detail27convert_result_type_wrapperIS8_S9_N2at6native12_GLOBAL__N_19CustomMinEEEEE10hipError_tPvRmT0_T1_jT2_SQ_T4_T3_P12ihipStream_tbEUlT_E_NS1_11comp_targetILNS1_3genE10ELNS1_11target_archE1201ELNS1_3gpuE5ELNS1_3repE0EEENS1_30default_config_static_selectorELNS0_4arch9wavefront6targetE0EEEvSP_ ; -- Begin function _ZN7rocprim17ROCPRIM_400000_NS6detail17trampoline_kernelINS0_14default_configENS1_32segmented_reduce_config_selectorIfEEZNS1_21segmented_reduce_implIS3_PKfPfPKifN6hipcub16HIPCUB_304000_NS6detail27convert_result_type_wrapperIS8_S9_N2at6native12_GLOBAL__N_19CustomMinEEEEE10hipError_tPvRmT0_T1_jT2_SQ_T4_T3_P12ihipStream_tbEUlT_E_NS1_11comp_targetILNS1_3genE10ELNS1_11target_archE1201ELNS1_3gpuE5ELNS1_3repE0EEENS1_30default_config_static_selectorELNS0_4arch9wavefront6targetE0EEEvSP_
	.p2align	8
	.type	_ZN7rocprim17ROCPRIM_400000_NS6detail17trampoline_kernelINS0_14default_configENS1_32segmented_reduce_config_selectorIfEEZNS1_21segmented_reduce_implIS3_PKfPfPKifN6hipcub16HIPCUB_304000_NS6detail27convert_result_type_wrapperIS8_S9_N2at6native12_GLOBAL__N_19CustomMinEEEEE10hipError_tPvRmT0_T1_jT2_SQ_T4_T3_P12ihipStream_tbEUlT_E_NS1_11comp_targetILNS1_3genE10ELNS1_11target_archE1201ELNS1_3gpuE5ELNS1_3repE0EEENS1_30default_config_static_selectorELNS0_4arch9wavefront6targetE0EEEvSP_,@function
_ZN7rocprim17ROCPRIM_400000_NS6detail17trampoline_kernelINS0_14default_configENS1_32segmented_reduce_config_selectorIfEEZNS1_21segmented_reduce_implIS3_PKfPfPKifN6hipcub16HIPCUB_304000_NS6detail27convert_result_type_wrapperIS8_S9_N2at6native12_GLOBAL__N_19CustomMinEEEEE10hipError_tPvRmT0_T1_jT2_SQ_T4_T3_P12ihipStream_tbEUlT_E_NS1_11comp_targetILNS1_3genE10ELNS1_11target_archE1201ELNS1_3gpuE5ELNS1_3repE0EEENS1_30default_config_static_selectorELNS0_4arch9wavefront6targetE0EEEvSP_: ; @_ZN7rocprim17ROCPRIM_400000_NS6detail17trampoline_kernelINS0_14default_configENS1_32segmented_reduce_config_selectorIfEEZNS1_21segmented_reduce_implIS3_PKfPfPKifN6hipcub16HIPCUB_304000_NS6detail27convert_result_type_wrapperIS8_S9_N2at6native12_GLOBAL__N_19CustomMinEEEEE10hipError_tPvRmT0_T1_jT2_SQ_T4_T3_P12ihipStream_tbEUlT_E_NS1_11comp_targetILNS1_3genE10ELNS1_11target_archE1201ELNS1_3gpuE5ELNS1_3repE0EEENS1_30default_config_static_selectorELNS0_4arch9wavefront6targetE0EEEvSP_
; %bb.0:
	.section	.rodata,"a",@progbits
	.p2align	6, 0x0
	.amdhsa_kernel _ZN7rocprim17ROCPRIM_400000_NS6detail17trampoline_kernelINS0_14default_configENS1_32segmented_reduce_config_selectorIfEEZNS1_21segmented_reduce_implIS3_PKfPfPKifN6hipcub16HIPCUB_304000_NS6detail27convert_result_type_wrapperIS8_S9_N2at6native12_GLOBAL__N_19CustomMinEEEEE10hipError_tPvRmT0_T1_jT2_SQ_T4_T3_P12ihipStream_tbEUlT_E_NS1_11comp_targetILNS1_3genE10ELNS1_11target_archE1201ELNS1_3gpuE5ELNS1_3repE0EEENS1_30default_config_static_selectorELNS0_4arch9wavefront6targetE0EEEvSP_
		.amdhsa_group_segment_fixed_size 0
		.amdhsa_private_segment_fixed_size 0
		.amdhsa_kernarg_size 48
		.amdhsa_user_sgpr_count 2
		.amdhsa_user_sgpr_dispatch_ptr 0
		.amdhsa_user_sgpr_queue_ptr 0
		.amdhsa_user_sgpr_kernarg_segment_ptr 1
		.amdhsa_user_sgpr_dispatch_id 0
		.amdhsa_user_sgpr_kernarg_preload_length 0
		.amdhsa_user_sgpr_kernarg_preload_offset 0
		.amdhsa_user_sgpr_private_segment_size 0
		.amdhsa_wavefront_size32 1
		.amdhsa_uses_dynamic_stack 0
		.amdhsa_enable_private_segment 0
		.amdhsa_system_sgpr_workgroup_id_x 1
		.amdhsa_system_sgpr_workgroup_id_y 0
		.amdhsa_system_sgpr_workgroup_id_z 0
		.amdhsa_system_sgpr_workgroup_info 0
		.amdhsa_system_vgpr_workitem_id 0
		.amdhsa_next_free_vgpr 1
		.amdhsa_next_free_sgpr 1
		.amdhsa_named_barrier_count 0
		.amdhsa_reserve_vcc 0
		.amdhsa_float_round_mode_32 0
		.amdhsa_float_round_mode_16_64 0
		.amdhsa_float_denorm_mode_32 3
		.amdhsa_float_denorm_mode_16_64 3
		.amdhsa_fp16_overflow 0
		.amdhsa_memory_ordered 1
		.amdhsa_forward_progress 1
		.amdhsa_inst_pref_size 0
		.amdhsa_round_robin_scheduling 0
		.amdhsa_exception_fp_ieee_invalid_op 0
		.amdhsa_exception_fp_denorm_src 0
		.amdhsa_exception_fp_ieee_div_zero 0
		.amdhsa_exception_fp_ieee_overflow 0
		.amdhsa_exception_fp_ieee_underflow 0
		.amdhsa_exception_fp_ieee_inexact 0
		.amdhsa_exception_int_div_zero 0
	.end_amdhsa_kernel
	.section	.text._ZN7rocprim17ROCPRIM_400000_NS6detail17trampoline_kernelINS0_14default_configENS1_32segmented_reduce_config_selectorIfEEZNS1_21segmented_reduce_implIS3_PKfPfPKifN6hipcub16HIPCUB_304000_NS6detail27convert_result_type_wrapperIS8_S9_N2at6native12_GLOBAL__N_19CustomMinEEEEE10hipError_tPvRmT0_T1_jT2_SQ_T4_T3_P12ihipStream_tbEUlT_E_NS1_11comp_targetILNS1_3genE10ELNS1_11target_archE1201ELNS1_3gpuE5ELNS1_3repE0EEENS1_30default_config_static_selectorELNS0_4arch9wavefront6targetE0EEEvSP_,"axG",@progbits,_ZN7rocprim17ROCPRIM_400000_NS6detail17trampoline_kernelINS0_14default_configENS1_32segmented_reduce_config_selectorIfEEZNS1_21segmented_reduce_implIS3_PKfPfPKifN6hipcub16HIPCUB_304000_NS6detail27convert_result_type_wrapperIS8_S9_N2at6native12_GLOBAL__N_19CustomMinEEEEE10hipError_tPvRmT0_T1_jT2_SQ_T4_T3_P12ihipStream_tbEUlT_E_NS1_11comp_targetILNS1_3genE10ELNS1_11target_archE1201ELNS1_3gpuE5ELNS1_3repE0EEENS1_30default_config_static_selectorELNS0_4arch9wavefront6targetE0EEEvSP_,comdat
.Lfunc_end62:
	.size	_ZN7rocprim17ROCPRIM_400000_NS6detail17trampoline_kernelINS0_14default_configENS1_32segmented_reduce_config_selectorIfEEZNS1_21segmented_reduce_implIS3_PKfPfPKifN6hipcub16HIPCUB_304000_NS6detail27convert_result_type_wrapperIS8_S9_N2at6native12_GLOBAL__N_19CustomMinEEEEE10hipError_tPvRmT0_T1_jT2_SQ_T4_T3_P12ihipStream_tbEUlT_E_NS1_11comp_targetILNS1_3genE10ELNS1_11target_archE1201ELNS1_3gpuE5ELNS1_3repE0EEENS1_30default_config_static_selectorELNS0_4arch9wavefront6targetE0EEEvSP_, .Lfunc_end62-_ZN7rocprim17ROCPRIM_400000_NS6detail17trampoline_kernelINS0_14default_configENS1_32segmented_reduce_config_selectorIfEEZNS1_21segmented_reduce_implIS3_PKfPfPKifN6hipcub16HIPCUB_304000_NS6detail27convert_result_type_wrapperIS8_S9_N2at6native12_GLOBAL__N_19CustomMinEEEEE10hipError_tPvRmT0_T1_jT2_SQ_T4_T3_P12ihipStream_tbEUlT_E_NS1_11comp_targetILNS1_3genE10ELNS1_11target_archE1201ELNS1_3gpuE5ELNS1_3repE0EEENS1_30default_config_static_selectorELNS0_4arch9wavefront6targetE0EEEvSP_
                                        ; -- End function
	.set _ZN7rocprim17ROCPRIM_400000_NS6detail17trampoline_kernelINS0_14default_configENS1_32segmented_reduce_config_selectorIfEEZNS1_21segmented_reduce_implIS3_PKfPfPKifN6hipcub16HIPCUB_304000_NS6detail27convert_result_type_wrapperIS8_S9_N2at6native12_GLOBAL__N_19CustomMinEEEEE10hipError_tPvRmT0_T1_jT2_SQ_T4_T3_P12ihipStream_tbEUlT_E_NS1_11comp_targetILNS1_3genE10ELNS1_11target_archE1201ELNS1_3gpuE5ELNS1_3repE0EEENS1_30default_config_static_selectorELNS0_4arch9wavefront6targetE0EEEvSP_.num_vgpr, 0
	.set _ZN7rocprim17ROCPRIM_400000_NS6detail17trampoline_kernelINS0_14default_configENS1_32segmented_reduce_config_selectorIfEEZNS1_21segmented_reduce_implIS3_PKfPfPKifN6hipcub16HIPCUB_304000_NS6detail27convert_result_type_wrapperIS8_S9_N2at6native12_GLOBAL__N_19CustomMinEEEEE10hipError_tPvRmT0_T1_jT2_SQ_T4_T3_P12ihipStream_tbEUlT_E_NS1_11comp_targetILNS1_3genE10ELNS1_11target_archE1201ELNS1_3gpuE5ELNS1_3repE0EEENS1_30default_config_static_selectorELNS0_4arch9wavefront6targetE0EEEvSP_.num_agpr, 0
	.set _ZN7rocprim17ROCPRIM_400000_NS6detail17trampoline_kernelINS0_14default_configENS1_32segmented_reduce_config_selectorIfEEZNS1_21segmented_reduce_implIS3_PKfPfPKifN6hipcub16HIPCUB_304000_NS6detail27convert_result_type_wrapperIS8_S9_N2at6native12_GLOBAL__N_19CustomMinEEEEE10hipError_tPvRmT0_T1_jT2_SQ_T4_T3_P12ihipStream_tbEUlT_E_NS1_11comp_targetILNS1_3genE10ELNS1_11target_archE1201ELNS1_3gpuE5ELNS1_3repE0EEENS1_30default_config_static_selectorELNS0_4arch9wavefront6targetE0EEEvSP_.numbered_sgpr, 0
	.set _ZN7rocprim17ROCPRIM_400000_NS6detail17trampoline_kernelINS0_14default_configENS1_32segmented_reduce_config_selectorIfEEZNS1_21segmented_reduce_implIS3_PKfPfPKifN6hipcub16HIPCUB_304000_NS6detail27convert_result_type_wrapperIS8_S9_N2at6native12_GLOBAL__N_19CustomMinEEEEE10hipError_tPvRmT0_T1_jT2_SQ_T4_T3_P12ihipStream_tbEUlT_E_NS1_11comp_targetILNS1_3genE10ELNS1_11target_archE1201ELNS1_3gpuE5ELNS1_3repE0EEENS1_30default_config_static_selectorELNS0_4arch9wavefront6targetE0EEEvSP_.num_named_barrier, 0
	.set _ZN7rocprim17ROCPRIM_400000_NS6detail17trampoline_kernelINS0_14default_configENS1_32segmented_reduce_config_selectorIfEEZNS1_21segmented_reduce_implIS3_PKfPfPKifN6hipcub16HIPCUB_304000_NS6detail27convert_result_type_wrapperIS8_S9_N2at6native12_GLOBAL__N_19CustomMinEEEEE10hipError_tPvRmT0_T1_jT2_SQ_T4_T3_P12ihipStream_tbEUlT_E_NS1_11comp_targetILNS1_3genE10ELNS1_11target_archE1201ELNS1_3gpuE5ELNS1_3repE0EEENS1_30default_config_static_selectorELNS0_4arch9wavefront6targetE0EEEvSP_.private_seg_size, 0
	.set _ZN7rocprim17ROCPRIM_400000_NS6detail17trampoline_kernelINS0_14default_configENS1_32segmented_reduce_config_selectorIfEEZNS1_21segmented_reduce_implIS3_PKfPfPKifN6hipcub16HIPCUB_304000_NS6detail27convert_result_type_wrapperIS8_S9_N2at6native12_GLOBAL__N_19CustomMinEEEEE10hipError_tPvRmT0_T1_jT2_SQ_T4_T3_P12ihipStream_tbEUlT_E_NS1_11comp_targetILNS1_3genE10ELNS1_11target_archE1201ELNS1_3gpuE5ELNS1_3repE0EEENS1_30default_config_static_selectorELNS0_4arch9wavefront6targetE0EEEvSP_.uses_vcc, 0
	.set _ZN7rocprim17ROCPRIM_400000_NS6detail17trampoline_kernelINS0_14default_configENS1_32segmented_reduce_config_selectorIfEEZNS1_21segmented_reduce_implIS3_PKfPfPKifN6hipcub16HIPCUB_304000_NS6detail27convert_result_type_wrapperIS8_S9_N2at6native12_GLOBAL__N_19CustomMinEEEEE10hipError_tPvRmT0_T1_jT2_SQ_T4_T3_P12ihipStream_tbEUlT_E_NS1_11comp_targetILNS1_3genE10ELNS1_11target_archE1201ELNS1_3gpuE5ELNS1_3repE0EEENS1_30default_config_static_selectorELNS0_4arch9wavefront6targetE0EEEvSP_.uses_flat_scratch, 0
	.set _ZN7rocprim17ROCPRIM_400000_NS6detail17trampoline_kernelINS0_14default_configENS1_32segmented_reduce_config_selectorIfEEZNS1_21segmented_reduce_implIS3_PKfPfPKifN6hipcub16HIPCUB_304000_NS6detail27convert_result_type_wrapperIS8_S9_N2at6native12_GLOBAL__N_19CustomMinEEEEE10hipError_tPvRmT0_T1_jT2_SQ_T4_T3_P12ihipStream_tbEUlT_E_NS1_11comp_targetILNS1_3genE10ELNS1_11target_archE1201ELNS1_3gpuE5ELNS1_3repE0EEENS1_30default_config_static_selectorELNS0_4arch9wavefront6targetE0EEEvSP_.has_dyn_sized_stack, 0
	.set _ZN7rocprim17ROCPRIM_400000_NS6detail17trampoline_kernelINS0_14default_configENS1_32segmented_reduce_config_selectorIfEEZNS1_21segmented_reduce_implIS3_PKfPfPKifN6hipcub16HIPCUB_304000_NS6detail27convert_result_type_wrapperIS8_S9_N2at6native12_GLOBAL__N_19CustomMinEEEEE10hipError_tPvRmT0_T1_jT2_SQ_T4_T3_P12ihipStream_tbEUlT_E_NS1_11comp_targetILNS1_3genE10ELNS1_11target_archE1201ELNS1_3gpuE5ELNS1_3repE0EEENS1_30default_config_static_selectorELNS0_4arch9wavefront6targetE0EEEvSP_.has_recursion, 0
	.set _ZN7rocprim17ROCPRIM_400000_NS6detail17trampoline_kernelINS0_14default_configENS1_32segmented_reduce_config_selectorIfEEZNS1_21segmented_reduce_implIS3_PKfPfPKifN6hipcub16HIPCUB_304000_NS6detail27convert_result_type_wrapperIS8_S9_N2at6native12_GLOBAL__N_19CustomMinEEEEE10hipError_tPvRmT0_T1_jT2_SQ_T4_T3_P12ihipStream_tbEUlT_E_NS1_11comp_targetILNS1_3genE10ELNS1_11target_archE1201ELNS1_3gpuE5ELNS1_3repE0EEENS1_30default_config_static_selectorELNS0_4arch9wavefront6targetE0EEEvSP_.has_indirect_call, 0
	.section	.AMDGPU.csdata,"",@progbits
; Kernel info:
; codeLenInByte = 0
; TotalNumSgprs: 0
; NumVgprs: 0
; ScratchSize: 0
; MemoryBound: 0
; FloatMode: 240
; IeeeMode: 1
; LDSByteSize: 0 bytes/workgroup (compile time only)
; SGPRBlocks: 0
; VGPRBlocks: 0
; NumSGPRsForWavesPerEU: 1
; NumVGPRsForWavesPerEU: 1
; NamedBarCnt: 0
; Occupancy: 16
; WaveLimiterHint : 0
; COMPUTE_PGM_RSRC2:SCRATCH_EN: 0
; COMPUTE_PGM_RSRC2:USER_SGPR: 2
; COMPUTE_PGM_RSRC2:TRAP_HANDLER: 0
; COMPUTE_PGM_RSRC2:TGID_X_EN: 1
; COMPUTE_PGM_RSRC2:TGID_Y_EN: 0
; COMPUTE_PGM_RSRC2:TGID_Z_EN: 0
; COMPUTE_PGM_RSRC2:TIDIG_COMP_CNT: 0
	.section	.text._ZN7rocprim17ROCPRIM_400000_NS6detail17trampoline_kernelINS0_14default_configENS1_32segmented_reduce_config_selectorIfEEZNS1_21segmented_reduce_implIS3_PKfPfPKifN6hipcub16HIPCUB_304000_NS6detail27convert_result_type_wrapperIS8_S9_N2at6native12_GLOBAL__N_19CustomMinEEEEE10hipError_tPvRmT0_T1_jT2_SQ_T4_T3_P12ihipStream_tbEUlT_E_NS1_11comp_targetILNS1_3genE4ELNS1_11target_archE910ELNS1_3gpuE8ELNS1_3repE0EEENS1_30default_config_static_selectorELNS0_4arch9wavefront6targetE0EEEvSP_,"axG",@progbits,_ZN7rocprim17ROCPRIM_400000_NS6detail17trampoline_kernelINS0_14default_configENS1_32segmented_reduce_config_selectorIfEEZNS1_21segmented_reduce_implIS3_PKfPfPKifN6hipcub16HIPCUB_304000_NS6detail27convert_result_type_wrapperIS8_S9_N2at6native12_GLOBAL__N_19CustomMinEEEEE10hipError_tPvRmT0_T1_jT2_SQ_T4_T3_P12ihipStream_tbEUlT_E_NS1_11comp_targetILNS1_3genE4ELNS1_11target_archE910ELNS1_3gpuE8ELNS1_3repE0EEENS1_30default_config_static_selectorELNS0_4arch9wavefront6targetE0EEEvSP_,comdat
	.globl	_ZN7rocprim17ROCPRIM_400000_NS6detail17trampoline_kernelINS0_14default_configENS1_32segmented_reduce_config_selectorIfEEZNS1_21segmented_reduce_implIS3_PKfPfPKifN6hipcub16HIPCUB_304000_NS6detail27convert_result_type_wrapperIS8_S9_N2at6native12_GLOBAL__N_19CustomMinEEEEE10hipError_tPvRmT0_T1_jT2_SQ_T4_T3_P12ihipStream_tbEUlT_E_NS1_11comp_targetILNS1_3genE4ELNS1_11target_archE910ELNS1_3gpuE8ELNS1_3repE0EEENS1_30default_config_static_selectorELNS0_4arch9wavefront6targetE0EEEvSP_ ; -- Begin function _ZN7rocprim17ROCPRIM_400000_NS6detail17trampoline_kernelINS0_14default_configENS1_32segmented_reduce_config_selectorIfEEZNS1_21segmented_reduce_implIS3_PKfPfPKifN6hipcub16HIPCUB_304000_NS6detail27convert_result_type_wrapperIS8_S9_N2at6native12_GLOBAL__N_19CustomMinEEEEE10hipError_tPvRmT0_T1_jT2_SQ_T4_T3_P12ihipStream_tbEUlT_E_NS1_11comp_targetILNS1_3genE4ELNS1_11target_archE910ELNS1_3gpuE8ELNS1_3repE0EEENS1_30default_config_static_selectorELNS0_4arch9wavefront6targetE0EEEvSP_
	.p2align	8
	.type	_ZN7rocprim17ROCPRIM_400000_NS6detail17trampoline_kernelINS0_14default_configENS1_32segmented_reduce_config_selectorIfEEZNS1_21segmented_reduce_implIS3_PKfPfPKifN6hipcub16HIPCUB_304000_NS6detail27convert_result_type_wrapperIS8_S9_N2at6native12_GLOBAL__N_19CustomMinEEEEE10hipError_tPvRmT0_T1_jT2_SQ_T4_T3_P12ihipStream_tbEUlT_E_NS1_11comp_targetILNS1_3genE4ELNS1_11target_archE910ELNS1_3gpuE8ELNS1_3repE0EEENS1_30default_config_static_selectorELNS0_4arch9wavefront6targetE0EEEvSP_,@function
_ZN7rocprim17ROCPRIM_400000_NS6detail17trampoline_kernelINS0_14default_configENS1_32segmented_reduce_config_selectorIfEEZNS1_21segmented_reduce_implIS3_PKfPfPKifN6hipcub16HIPCUB_304000_NS6detail27convert_result_type_wrapperIS8_S9_N2at6native12_GLOBAL__N_19CustomMinEEEEE10hipError_tPvRmT0_T1_jT2_SQ_T4_T3_P12ihipStream_tbEUlT_E_NS1_11comp_targetILNS1_3genE4ELNS1_11target_archE910ELNS1_3gpuE8ELNS1_3repE0EEENS1_30default_config_static_selectorELNS0_4arch9wavefront6targetE0EEEvSP_: ; @_ZN7rocprim17ROCPRIM_400000_NS6detail17trampoline_kernelINS0_14default_configENS1_32segmented_reduce_config_selectorIfEEZNS1_21segmented_reduce_implIS3_PKfPfPKifN6hipcub16HIPCUB_304000_NS6detail27convert_result_type_wrapperIS8_S9_N2at6native12_GLOBAL__N_19CustomMinEEEEE10hipError_tPvRmT0_T1_jT2_SQ_T4_T3_P12ihipStream_tbEUlT_E_NS1_11comp_targetILNS1_3genE4ELNS1_11target_archE910ELNS1_3gpuE8ELNS1_3repE0EEENS1_30default_config_static_selectorELNS0_4arch9wavefront6targetE0EEEvSP_
; %bb.0:
	.section	.rodata,"a",@progbits
	.p2align	6, 0x0
	.amdhsa_kernel _ZN7rocprim17ROCPRIM_400000_NS6detail17trampoline_kernelINS0_14default_configENS1_32segmented_reduce_config_selectorIfEEZNS1_21segmented_reduce_implIS3_PKfPfPKifN6hipcub16HIPCUB_304000_NS6detail27convert_result_type_wrapperIS8_S9_N2at6native12_GLOBAL__N_19CustomMinEEEEE10hipError_tPvRmT0_T1_jT2_SQ_T4_T3_P12ihipStream_tbEUlT_E_NS1_11comp_targetILNS1_3genE4ELNS1_11target_archE910ELNS1_3gpuE8ELNS1_3repE0EEENS1_30default_config_static_selectorELNS0_4arch9wavefront6targetE0EEEvSP_
		.amdhsa_group_segment_fixed_size 0
		.amdhsa_private_segment_fixed_size 0
		.amdhsa_kernarg_size 48
		.amdhsa_user_sgpr_count 2
		.amdhsa_user_sgpr_dispatch_ptr 0
		.amdhsa_user_sgpr_queue_ptr 0
		.amdhsa_user_sgpr_kernarg_segment_ptr 1
		.amdhsa_user_sgpr_dispatch_id 0
		.amdhsa_user_sgpr_kernarg_preload_length 0
		.amdhsa_user_sgpr_kernarg_preload_offset 0
		.amdhsa_user_sgpr_private_segment_size 0
		.amdhsa_wavefront_size32 1
		.amdhsa_uses_dynamic_stack 0
		.amdhsa_enable_private_segment 0
		.amdhsa_system_sgpr_workgroup_id_x 1
		.amdhsa_system_sgpr_workgroup_id_y 0
		.amdhsa_system_sgpr_workgroup_id_z 0
		.amdhsa_system_sgpr_workgroup_info 0
		.amdhsa_system_vgpr_workitem_id 0
		.amdhsa_next_free_vgpr 1
		.amdhsa_next_free_sgpr 1
		.amdhsa_named_barrier_count 0
		.amdhsa_reserve_vcc 0
		.amdhsa_float_round_mode_32 0
		.amdhsa_float_round_mode_16_64 0
		.amdhsa_float_denorm_mode_32 3
		.amdhsa_float_denorm_mode_16_64 3
		.amdhsa_fp16_overflow 0
		.amdhsa_memory_ordered 1
		.amdhsa_forward_progress 1
		.amdhsa_inst_pref_size 0
		.amdhsa_round_robin_scheduling 0
		.amdhsa_exception_fp_ieee_invalid_op 0
		.amdhsa_exception_fp_denorm_src 0
		.amdhsa_exception_fp_ieee_div_zero 0
		.amdhsa_exception_fp_ieee_overflow 0
		.amdhsa_exception_fp_ieee_underflow 0
		.amdhsa_exception_fp_ieee_inexact 0
		.amdhsa_exception_int_div_zero 0
	.end_amdhsa_kernel
	.section	.text._ZN7rocprim17ROCPRIM_400000_NS6detail17trampoline_kernelINS0_14default_configENS1_32segmented_reduce_config_selectorIfEEZNS1_21segmented_reduce_implIS3_PKfPfPKifN6hipcub16HIPCUB_304000_NS6detail27convert_result_type_wrapperIS8_S9_N2at6native12_GLOBAL__N_19CustomMinEEEEE10hipError_tPvRmT0_T1_jT2_SQ_T4_T3_P12ihipStream_tbEUlT_E_NS1_11comp_targetILNS1_3genE4ELNS1_11target_archE910ELNS1_3gpuE8ELNS1_3repE0EEENS1_30default_config_static_selectorELNS0_4arch9wavefront6targetE0EEEvSP_,"axG",@progbits,_ZN7rocprim17ROCPRIM_400000_NS6detail17trampoline_kernelINS0_14default_configENS1_32segmented_reduce_config_selectorIfEEZNS1_21segmented_reduce_implIS3_PKfPfPKifN6hipcub16HIPCUB_304000_NS6detail27convert_result_type_wrapperIS8_S9_N2at6native12_GLOBAL__N_19CustomMinEEEEE10hipError_tPvRmT0_T1_jT2_SQ_T4_T3_P12ihipStream_tbEUlT_E_NS1_11comp_targetILNS1_3genE4ELNS1_11target_archE910ELNS1_3gpuE8ELNS1_3repE0EEENS1_30default_config_static_selectorELNS0_4arch9wavefront6targetE0EEEvSP_,comdat
.Lfunc_end63:
	.size	_ZN7rocprim17ROCPRIM_400000_NS6detail17trampoline_kernelINS0_14default_configENS1_32segmented_reduce_config_selectorIfEEZNS1_21segmented_reduce_implIS3_PKfPfPKifN6hipcub16HIPCUB_304000_NS6detail27convert_result_type_wrapperIS8_S9_N2at6native12_GLOBAL__N_19CustomMinEEEEE10hipError_tPvRmT0_T1_jT2_SQ_T4_T3_P12ihipStream_tbEUlT_E_NS1_11comp_targetILNS1_3genE4ELNS1_11target_archE910ELNS1_3gpuE8ELNS1_3repE0EEENS1_30default_config_static_selectorELNS0_4arch9wavefront6targetE0EEEvSP_, .Lfunc_end63-_ZN7rocprim17ROCPRIM_400000_NS6detail17trampoline_kernelINS0_14default_configENS1_32segmented_reduce_config_selectorIfEEZNS1_21segmented_reduce_implIS3_PKfPfPKifN6hipcub16HIPCUB_304000_NS6detail27convert_result_type_wrapperIS8_S9_N2at6native12_GLOBAL__N_19CustomMinEEEEE10hipError_tPvRmT0_T1_jT2_SQ_T4_T3_P12ihipStream_tbEUlT_E_NS1_11comp_targetILNS1_3genE4ELNS1_11target_archE910ELNS1_3gpuE8ELNS1_3repE0EEENS1_30default_config_static_selectorELNS0_4arch9wavefront6targetE0EEEvSP_
                                        ; -- End function
	.set _ZN7rocprim17ROCPRIM_400000_NS6detail17trampoline_kernelINS0_14default_configENS1_32segmented_reduce_config_selectorIfEEZNS1_21segmented_reduce_implIS3_PKfPfPKifN6hipcub16HIPCUB_304000_NS6detail27convert_result_type_wrapperIS8_S9_N2at6native12_GLOBAL__N_19CustomMinEEEEE10hipError_tPvRmT0_T1_jT2_SQ_T4_T3_P12ihipStream_tbEUlT_E_NS1_11comp_targetILNS1_3genE4ELNS1_11target_archE910ELNS1_3gpuE8ELNS1_3repE0EEENS1_30default_config_static_selectorELNS0_4arch9wavefront6targetE0EEEvSP_.num_vgpr, 0
	.set _ZN7rocprim17ROCPRIM_400000_NS6detail17trampoline_kernelINS0_14default_configENS1_32segmented_reduce_config_selectorIfEEZNS1_21segmented_reduce_implIS3_PKfPfPKifN6hipcub16HIPCUB_304000_NS6detail27convert_result_type_wrapperIS8_S9_N2at6native12_GLOBAL__N_19CustomMinEEEEE10hipError_tPvRmT0_T1_jT2_SQ_T4_T3_P12ihipStream_tbEUlT_E_NS1_11comp_targetILNS1_3genE4ELNS1_11target_archE910ELNS1_3gpuE8ELNS1_3repE0EEENS1_30default_config_static_selectorELNS0_4arch9wavefront6targetE0EEEvSP_.num_agpr, 0
	.set _ZN7rocprim17ROCPRIM_400000_NS6detail17trampoline_kernelINS0_14default_configENS1_32segmented_reduce_config_selectorIfEEZNS1_21segmented_reduce_implIS3_PKfPfPKifN6hipcub16HIPCUB_304000_NS6detail27convert_result_type_wrapperIS8_S9_N2at6native12_GLOBAL__N_19CustomMinEEEEE10hipError_tPvRmT0_T1_jT2_SQ_T4_T3_P12ihipStream_tbEUlT_E_NS1_11comp_targetILNS1_3genE4ELNS1_11target_archE910ELNS1_3gpuE8ELNS1_3repE0EEENS1_30default_config_static_selectorELNS0_4arch9wavefront6targetE0EEEvSP_.numbered_sgpr, 0
	.set _ZN7rocprim17ROCPRIM_400000_NS6detail17trampoline_kernelINS0_14default_configENS1_32segmented_reduce_config_selectorIfEEZNS1_21segmented_reduce_implIS3_PKfPfPKifN6hipcub16HIPCUB_304000_NS6detail27convert_result_type_wrapperIS8_S9_N2at6native12_GLOBAL__N_19CustomMinEEEEE10hipError_tPvRmT0_T1_jT2_SQ_T4_T3_P12ihipStream_tbEUlT_E_NS1_11comp_targetILNS1_3genE4ELNS1_11target_archE910ELNS1_3gpuE8ELNS1_3repE0EEENS1_30default_config_static_selectorELNS0_4arch9wavefront6targetE0EEEvSP_.num_named_barrier, 0
	.set _ZN7rocprim17ROCPRIM_400000_NS6detail17trampoline_kernelINS0_14default_configENS1_32segmented_reduce_config_selectorIfEEZNS1_21segmented_reduce_implIS3_PKfPfPKifN6hipcub16HIPCUB_304000_NS6detail27convert_result_type_wrapperIS8_S9_N2at6native12_GLOBAL__N_19CustomMinEEEEE10hipError_tPvRmT0_T1_jT2_SQ_T4_T3_P12ihipStream_tbEUlT_E_NS1_11comp_targetILNS1_3genE4ELNS1_11target_archE910ELNS1_3gpuE8ELNS1_3repE0EEENS1_30default_config_static_selectorELNS0_4arch9wavefront6targetE0EEEvSP_.private_seg_size, 0
	.set _ZN7rocprim17ROCPRIM_400000_NS6detail17trampoline_kernelINS0_14default_configENS1_32segmented_reduce_config_selectorIfEEZNS1_21segmented_reduce_implIS3_PKfPfPKifN6hipcub16HIPCUB_304000_NS6detail27convert_result_type_wrapperIS8_S9_N2at6native12_GLOBAL__N_19CustomMinEEEEE10hipError_tPvRmT0_T1_jT2_SQ_T4_T3_P12ihipStream_tbEUlT_E_NS1_11comp_targetILNS1_3genE4ELNS1_11target_archE910ELNS1_3gpuE8ELNS1_3repE0EEENS1_30default_config_static_selectorELNS0_4arch9wavefront6targetE0EEEvSP_.uses_vcc, 0
	.set _ZN7rocprim17ROCPRIM_400000_NS6detail17trampoline_kernelINS0_14default_configENS1_32segmented_reduce_config_selectorIfEEZNS1_21segmented_reduce_implIS3_PKfPfPKifN6hipcub16HIPCUB_304000_NS6detail27convert_result_type_wrapperIS8_S9_N2at6native12_GLOBAL__N_19CustomMinEEEEE10hipError_tPvRmT0_T1_jT2_SQ_T4_T3_P12ihipStream_tbEUlT_E_NS1_11comp_targetILNS1_3genE4ELNS1_11target_archE910ELNS1_3gpuE8ELNS1_3repE0EEENS1_30default_config_static_selectorELNS0_4arch9wavefront6targetE0EEEvSP_.uses_flat_scratch, 0
	.set _ZN7rocprim17ROCPRIM_400000_NS6detail17trampoline_kernelINS0_14default_configENS1_32segmented_reduce_config_selectorIfEEZNS1_21segmented_reduce_implIS3_PKfPfPKifN6hipcub16HIPCUB_304000_NS6detail27convert_result_type_wrapperIS8_S9_N2at6native12_GLOBAL__N_19CustomMinEEEEE10hipError_tPvRmT0_T1_jT2_SQ_T4_T3_P12ihipStream_tbEUlT_E_NS1_11comp_targetILNS1_3genE4ELNS1_11target_archE910ELNS1_3gpuE8ELNS1_3repE0EEENS1_30default_config_static_selectorELNS0_4arch9wavefront6targetE0EEEvSP_.has_dyn_sized_stack, 0
	.set _ZN7rocprim17ROCPRIM_400000_NS6detail17trampoline_kernelINS0_14default_configENS1_32segmented_reduce_config_selectorIfEEZNS1_21segmented_reduce_implIS3_PKfPfPKifN6hipcub16HIPCUB_304000_NS6detail27convert_result_type_wrapperIS8_S9_N2at6native12_GLOBAL__N_19CustomMinEEEEE10hipError_tPvRmT0_T1_jT2_SQ_T4_T3_P12ihipStream_tbEUlT_E_NS1_11comp_targetILNS1_3genE4ELNS1_11target_archE910ELNS1_3gpuE8ELNS1_3repE0EEENS1_30default_config_static_selectorELNS0_4arch9wavefront6targetE0EEEvSP_.has_recursion, 0
	.set _ZN7rocprim17ROCPRIM_400000_NS6detail17trampoline_kernelINS0_14default_configENS1_32segmented_reduce_config_selectorIfEEZNS1_21segmented_reduce_implIS3_PKfPfPKifN6hipcub16HIPCUB_304000_NS6detail27convert_result_type_wrapperIS8_S9_N2at6native12_GLOBAL__N_19CustomMinEEEEE10hipError_tPvRmT0_T1_jT2_SQ_T4_T3_P12ihipStream_tbEUlT_E_NS1_11comp_targetILNS1_3genE4ELNS1_11target_archE910ELNS1_3gpuE8ELNS1_3repE0EEENS1_30default_config_static_selectorELNS0_4arch9wavefront6targetE0EEEvSP_.has_indirect_call, 0
	.section	.AMDGPU.csdata,"",@progbits
; Kernel info:
; codeLenInByte = 0
; TotalNumSgprs: 0
; NumVgprs: 0
; ScratchSize: 0
; MemoryBound: 0
; FloatMode: 240
; IeeeMode: 1
; LDSByteSize: 0 bytes/workgroup (compile time only)
; SGPRBlocks: 0
; VGPRBlocks: 0
; NumSGPRsForWavesPerEU: 1
; NumVGPRsForWavesPerEU: 1
; NamedBarCnt: 0
; Occupancy: 16
; WaveLimiterHint : 0
; COMPUTE_PGM_RSRC2:SCRATCH_EN: 0
; COMPUTE_PGM_RSRC2:USER_SGPR: 2
; COMPUTE_PGM_RSRC2:TRAP_HANDLER: 0
; COMPUTE_PGM_RSRC2:TGID_X_EN: 1
; COMPUTE_PGM_RSRC2:TGID_Y_EN: 0
; COMPUTE_PGM_RSRC2:TGID_Z_EN: 0
; COMPUTE_PGM_RSRC2:TIDIG_COMP_CNT: 0
	.section	.text._ZN7rocprim17ROCPRIM_400000_NS6detail17trampoline_kernelINS0_14default_configENS1_32segmented_reduce_config_selectorIfEEZNS1_21segmented_reduce_implIS3_PKfPfPKifN6hipcub16HIPCUB_304000_NS6detail27convert_result_type_wrapperIS8_S9_N2at6native12_GLOBAL__N_19CustomMinEEEEE10hipError_tPvRmT0_T1_jT2_SQ_T4_T3_P12ihipStream_tbEUlT_E_NS1_11comp_targetILNS1_3genE3ELNS1_11target_archE908ELNS1_3gpuE7ELNS1_3repE0EEENS1_30default_config_static_selectorELNS0_4arch9wavefront6targetE0EEEvSP_,"axG",@progbits,_ZN7rocprim17ROCPRIM_400000_NS6detail17trampoline_kernelINS0_14default_configENS1_32segmented_reduce_config_selectorIfEEZNS1_21segmented_reduce_implIS3_PKfPfPKifN6hipcub16HIPCUB_304000_NS6detail27convert_result_type_wrapperIS8_S9_N2at6native12_GLOBAL__N_19CustomMinEEEEE10hipError_tPvRmT0_T1_jT2_SQ_T4_T3_P12ihipStream_tbEUlT_E_NS1_11comp_targetILNS1_3genE3ELNS1_11target_archE908ELNS1_3gpuE7ELNS1_3repE0EEENS1_30default_config_static_selectorELNS0_4arch9wavefront6targetE0EEEvSP_,comdat
	.globl	_ZN7rocprim17ROCPRIM_400000_NS6detail17trampoline_kernelINS0_14default_configENS1_32segmented_reduce_config_selectorIfEEZNS1_21segmented_reduce_implIS3_PKfPfPKifN6hipcub16HIPCUB_304000_NS6detail27convert_result_type_wrapperIS8_S9_N2at6native12_GLOBAL__N_19CustomMinEEEEE10hipError_tPvRmT0_T1_jT2_SQ_T4_T3_P12ihipStream_tbEUlT_E_NS1_11comp_targetILNS1_3genE3ELNS1_11target_archE908ELNS1_3gpuE7ELNS1_3repE0EEENS1_30default_config_static_selectorELNS0_4arch9wavefront6targetE0EEEvSP_ ; -- Begin function _ZN7rocprim17ROCPRIM_400000_NS6detail17trampoline_kernelINS0_14default_configENS1_32segmented_reduce_config_selectorIfEEZNS1_21segmented_reduce_implIS3_PKfPfPKifN6hipcub16HIPCUB_304000_NS6detail27convert_result_type_wrapperIS8_S9_N2at6native12_GLOBAL__N_19CustomMinEEEEE10hipError_tPvRmT0_T1_jT2_SQ_T4_T3_P12ihipStream_tbEUlT_E_NS1_11comp_targetILNS1_3genE3ELNS1_11target_archE908ELNS1_3gpuE7ELNS1_3repE0EEENS1_30default_config_static_selectorELNS0_4arch9wavefront6targetE0EEEvSP_
	.p2align	8
	.type	_ZN7rocprim17ROCPRIM_400000_NS6detail17trampoline_kernelINS0_14default_configENS1_32segmented_reduce_config_selectorIfEEZNS1_21segmented_reduce_implIS3_PKfPfPKifN6hipcub16HIPCUB_304000_NS6detail27convert_result_type_wrapperIS8_S9_N2at6native12_GLOBAL__N_19CustomMinEEEEE10hipError_tPvRmT0_T1_jT2_SQ_T4_T3_P12ihipStream_tbEUlT_E_NS1_11comp_targetILNS1_3genE3ELNS1_11target_archE908ELNS1_3gpuE7ELNS1_3repE0EEENS1_30default_config_static_selectorELNS0_4arch9wavefront6targetE0EEEvSP_,@function
_ZN7rocprim17ROCPRIM_400000_NS6detail17trampoline_kernelINS0_14default_configENS1_32segmented_reduce_config_selectorIfEEZNS1_21segmented_reduce_implIS3_PKfPfPKifN6hipcub16HIPCUB_304000_NS6detail27convert_result_type_wrapperIS8_S9_N2at6native12_GLOBAL__N_19CustomMinEEEEE10hipError_tPvRmT0_T1_jT2_SQ_T4_T3_P12ihipStream_tbEUlT_E_NS1_11comp_targetILNS1_3genE3ELNS1_11target_archE908ELNS1_3gpuE7ELNS1_3repE0EEENS1_30default_config_static_selectorELNS0_4arch9wavefront6targetE0EEEvSP_: ; @_ZN7rocprim17ROCPRIM_400000_NS6detail17trampoline_kernelINS0_14default_configENS1_32segmented_reduce_config_selectorIfEEZNS1_21segmented_reduce_implIS3_PKfPfPKifN6hipcub16HIPCUB_304000_NS6detail27convert_result_type_wrapperIS8_S9_N2at6native12_GLOBAL__N_19CustomMinEEEEE10hipError_tPvRmT0_T1_jT2_SQ_T4_T3_P12ihipStream_tbEUlT_E_NS1_11comp_targetILNS1_3genE3ELNS1_11target_archE908ELNS1_3gpuE7ELNS1_3repE0EEENS1_30default_config_static_selectorELNS0_4arch9wavefront6targetE0EEEvSP_
; %bb.0:
	.section	.rodata,"a",@progbits
	.p2align	6, 0x0
	.amdhsa_kernel _ZN7rocprim17ROCPRIM_400000_NS6detail17trampoline_kernelINS0_14default_configENS1_32segmented_reduce_config_selectorIfEEZNS1_21segmented_reduce_implIS3_PKfPfPKifN6hipcub16HIPCUB_304000_NS6detail27convert_result_type_wrapperIS8_S9_N2at6native12_GLOBAL__N_19CustomMinEEEEE10hipError_tPvRmT0_T1_jT2_SQ_T4_T3_P12ihipStream_tbEUlT_E_NS1_11comp_targetILNS1_3genE3ELNS1_11target_archE908ELNS1_3gpuE7ELNS1_3repE0EEENS1_30default_config_static_selectorELNS0_4arch9wavefront6targetE0EEEvSP_
		.amdhsa_group_segment_fixed_size 0
		.amdhsa_private_segment_fixed_size 0
		.amdhsa_kernarg_size 48
		.amdhsa_user_sgpr_count 2
		.amdhsa_user_sgpr_dispatch_ptr 0
		.amdhsa_user_sgpr_queue_ptr 0
		.amdhsa_user_sgpr_kernarg_segment_ptr 1
		.amdhsa_user_sgpr_dispatch_id 0
		.amdhsa_user_sgpr_kernarg_preload_length 0
		.amdhsa_user_sgpr_kernarg_preload_offset 0
		.amdhsa_user_sgpr_private_segment_size 0
		.amdhsa_wavefront_size32 1
		.amdhsa_uses_dynamic_stack 0
		.amdhsa_enable_private_segment 0
		.amdhsa_system_sgpr_workgroup_id_x 1
		.amdhsa_system_sgpr_workgroup_id_y 0
		.amdhsa_system_sgpr_workgroup_id_z 0
		.amdhsa_system_sgpr_workgroup_info 0
		.amdhsa_system_vgpr_workitem_id 0
		.amdhsa_next_free_vgpr 1
		.amdhsa_next_free_sgpr 1
		.amdhsa_named_barrier_count 0
		.amdhsa_reserve_vcc 0
		.amdhsa_float_round_mode_32 0
		.amdhsa_float_round_mode_16_64 0
		.amdhsa_float_denorm_mode_32 3
		.amdhsa_float_denorm_mode_16_64 3
		.amdhsa_fp16_overflow 0
		.amdhsa_memory_ordered 1
		.amdhsa_forward_progress 1
		.amdhsa_inst_pref_size 0
		.amdhsa_round_robin_scheduling 0
		.amdhsa_exception_fp_ieee_invalid_op 0
		.amdhsa_exception_fp_denorm_src 0
		.amdhsa_exception_fp_ieee_div_zero 0
		.amdhsa_exception_fp_ieee_overflow 0
		.amdhsa_exception_fp_ieee_underflow 0
		.amdhsa_exception_fp_ieee_inexact 0
		.amdhsa_exception_int_div_zero 0
	.end_amdhsa_kernel
	.section	.text._ZN7rocprim17ROCPRIM_400000_NS6detail17trampoline_kernelINS0_14default_configENS1_32segmented_reduce_config_selectorIfEEZNS1_21segmented_reduce_implIS3_PKfPfPKifN6hipcub16HIPCUB_304000_NS6detail27convert_result_type_wrapperIS8_S9_N2at6native12_GLOBAL__N_19CustomMinEEEEE10hipError_tPvRmT0_T1_jT2_SQ_T4_T3_P12ihipStream_tbEUlT_E_NS1_11comp_targetILNS1_3genE3ELNS1_11target_archE908ELNS1_3gpuE7ELNS1_3repE0EEENS1_30default_config_static_selectorELNS0_4arch9wavefront6targetE0EEEvSP_,"axG",@progbits,_ZN7rocprim17ROCPRIM_400000_NS6detail17trampoline_kernelINS0_14default_configENS1_32segmented_reduce_config_selectorIfEEZNS1_21segmented_reduce_implIS3_PKfPfPKifN6hipcub16HIPCUB_304000_NS6detail27convert_result_type_wrapperIS8_S9_N2at6native12_GLOBAL__N_19CustomMinEEEEE10hipError_tPvRmT0_T1_jT2_SQ_T4_T3_P12ihipStream_tbEUlT_E_NS1_11comp_targetILNS1_3genE3ELNS1_11target_archE908ELNS1_3gpuE7ELNS1_3repE0EEENS1_30default_config_static_selectorELNS0_4arch9wavefront6targetE0EEEvSP_,comdat
.Lfunc_end64:
	.size	_ZN7rocprim17ROCPRIM_400000_NS6detail17trampoline_kernelINS0_14default_configENS1_32segmented_reduce_config_selectorIfEEZNS1_21segmented_reduce_implIS3_PKfPfPKifN6hipcub16HIPCUB_304000_NS6detail27convert_result_type_wrapperIS8_S9_N2at6native12_GLOBAL__N_19CustomMinEEEEE10hipError_tPvRmT0_T1_jT2_SQ_T4_T3_P12ihipStream_tbEUlT_E_NS1_11comp_targetILNS1_3genE3ELNS1_11target_archE908ELNS1_3gpuE7ELNS1_3repE0EEENS1_30default_config_static_selectorELNS0_4arch9wavefront6targetE0EEEvSP_, .Lfunc_end64-_ZN7rocprim17ROCPRIM_400000_NS6detail17trampoline_kernelINS0_14default_configENS1_32segmented_reduce_config_selectorIfEEZNS1_21segmented_reduce_implIS3_PKfPfPKifN6hipcub16HIPCUB_304000_NS6detail27convert_result_type_wrapperIS8_S9_N2at6native12_GLOBAL__N_19CustomMinEEEEE10hipError_tPvRmT0_T1_jT2_SQ_T4_T3_P12ihipStream_tbEUlT_E_NS1_11comp_targetILNS1_3genE3ELNS1_11target_archE908ELNS1_3gpuE7ELNS1_3repE0EEENS1_30default_config_static_selectorELNS0_4arch9wavefront6targetE0EEEvSP_
                                        ; -- End function
	.set _ZN7rocprim17ROCPRIM_400000_NS6detail17trampoline_kernelINS0_14default_configENS1_32segmented_reduce_config_selectorIfEEZNS1_21segmented_reduce_implIS3_PKfPfPKifN6hipcub16HIPCUB_304000_NS6detail27convert_result_type_wrapperIS8_S9_N2at6native12_GLOBAL__N_19CustomMinEEEEE10hipError_tPvRmT0_T1_jT2_SQ_T4_T3_P12ihipStream_tbEUlT_E_NS1_11comp_targetILNS1_3genE3ELNS1_11target_archE908ELNS1_3gpuE7ELNS1_3repE0EEENS1_30default_config_static_selectorELNS0_4arch9wavefront6targetE0EEEvSP_.num_vgpr, 0
	.set _ZN7rocprim17ROCPRIM_400000_NS6detail17trampoline_kernelINS0_14default_configENS1_32segmented_reduce_config_selectorIfEEZNS1_21segmented_reduce_implIS3_PKfPfPKifN6hipcub16HIPCUB_304000_NS6detail27convert_result_type_wrapperIS8_S9_N2at6native12_GLOBAL__N_19CustomMinEEEEE10hipError_tPvRmT0_T1_jT2_SQ_T4_T3_P12ihipStream_tbEUlT_E_NS1_11comp_targetILNS1_3genE3ELNS1_11target_archE908ELNS1_3gpuE7ELNS1_3repE0EEENS1_30default_config_static_selectorELNS0_4arch9wavefront6targetE0EEEvSP_.num_agpr, 0
	.set _ZN7rocprim17ROCPRIM_400000_NS6detail17trampoline_kernelINS0_14default_configENS1_32segmented_reduce_config_selectorIfEEZNS1_21segmented_reduce_implIS3_PKfPfPKifN6hipcub16HIPCUB_304000_NS6detail27convert_result_type_wrapperIS8_S9_N2at6native12_GLOBAL__N_19CustomMinEEEEE10hipError_tPvRmT0_T1_jT2_SQ_T4_T3_P12ihipStream_tbEUlT_E_NS1_11comp_targetILNS1_3genE3ELNS1_11target_archE908ELNS1_3gpuE7ELNS1_3repE0EEENS1_30default_config_static_selectorELNS0_4arch9wavefront6targetE0EEEvSP_.numbered_sgpr, 0
	.set _ZN7rocprim17ROCPRIM_400000_NS6detail17trampoline_kernelINS0_14default_configENS1_32segmented_reduce_config_selectorIfEEZNS1_21segmented_reduce_implIS3_PKfPfPKifN6hipcub16HIPCUB_304000_NS6detail27convert_result_type_wrapperIS8_S9_N2at6native12_GLOBAL__N_19CustomMinEEEEE10hipError_tPvRmT0_T1_jT2_SQ_T4_T3_P12ihipStream_tbEUlT_E_NS1_11comp_targetILNS1_3genE3ELNS1_11target_archE908ELNS1_3gpuE7ELNS1_3repE0EEENS1_30default_config_static_selectorELNS0_4arch9wavefront6targetE0EEEvSP_.num_named_barrier, 0
	.set _ZN7rocprim17ROCPRIM_400000_NS6detail17trampoline_kernelINS0_14default_configENS1_32segmented_reduce_config_selectorIfEEZNS1_21segmented_reduce_implIS3_PKfPfPKifN6hipcub16HIPCUB_304000_NS6detail27convert_result_type_wrapperIS8_S9_N2at6native12_GLOBAL__N_19CustomMinEEEEE10hipError_tPvRmT0_T1_jT2_SQ_T4_T3_P12ihipStream_tbEUlT_E_NS1_11comp_targetILNS1_3genE3ELNS1_11target_archE908ELNS1_3gpuE7ELNS1_3repE0EEENS1_30default_config_static_selectorELNS0_4arch9wavefront6targetE0EEEvSP_.private_seg_size, 0
	.set _ZN7rocprim17ROCPRIM_400000_NS6detail17trampoline_kernelINS0_14default_configENS1_32segmented_reduce_config_selectorIfEEZNS1_21segmented_reduce_implIS3_PKfPfPKifN6hipcub16HIPCUB_304000_NS6detail27convert_result_type_wrapperIS8_S9_N2at6native12_GLOBAL__N_19CustomMinEEEEE10hipError_tPvRmT0_T1_jT2_SQ_T4_T3_P12ihipStream_tbEUlT_E_NS1_11comp_targetILNS1_3genE3ELNS1_11target_archE908ELNS1_3gpuE7ELNS1_3repE0EEENS1_30default_config_static_selectorELNS0_4arch9wavefront6targetE0EEEvSP_.uses_vcc, 0
	.set _ZN7rocprim17ROCPRIM_400000_NS6detail17trampoline_kernelINS0_14default_configENS1_32segmented_reduce_config_selectorIfEEZNS1_21segmented_reduce_implIS3_PKfPfPKifN6hipcub16HIPCUB_304000_NS6detail27convert_result_type_wrapperIS8_S9_N2at6native12_GLOBAL__N_19CustomMinEEEEE10hipError_tPvRmT0_T1_jT2_SQ_T4_T3_P12ihipStream_tbEUlT_E_NS1_11comp_targetILNS1_3genE3ELNS1_11target_archE908ELNS1_3gpuE7ELNS1_3repE0EEENS1_30default_config_static_selectorELNS0_4arch9wavefront6targetE0EEEvSP_.uses_flat_scratch, 0
	.set _ZN7rocprim17ROCPRIM_400000_NS6detail17trampoline_kernelINS0_14default_configENS1_32segmented_reduce_config_selectorIfEEZNS1_21segmented_reduce_implIS3_PKfPfPKifN6hipcub16HIPCUB_304000_NS6detail27convert_result_type_wrapperIS8_S9_N2at6native12_GLOBAL__N_19CustomMinEEEEE10hipError_tPvRmT0_T1_jT2_SQ_T4_T3_P12ihipStream_tbEUlT_E_NS1_11comp_targetILNS1_3genE3ELNS1_11target_archE908ELNS1_3gpuE7ELNS1_3repE0EEENS1_30default_config_static_selectorELNS0_4arch9wavefront6targetE0EEEvSP_.has_dyn_sized_stack, 0
	.set _ZN7rocprim17ROCPRIM_400000_NS6detail17trampoline_kernelINS0_14default_configENS1_32segmented_reduce_config_selectorIfEEZNS1_21segmented_reduce_implIS3_PKfPfPKifN6hipcub16HIPCUB_304000_NS6detail27convert_result_type_wrapperIS8_S9_N2at6native12_GLOBAL__N_19CustomMinEEEEE10hipError_tPvRmT0_T1_jT2_SQ_T4_T3_P12ihipStream_tbEUlT_E_NS1_11comp_targetILNS1_3genE3ELNS1_11target_archE908ELNS1_3gpuE7ELNS1_3repE0EEENS1_30default_config_static_selectorELNS0_4arch9wavefront6targetE0EEEvSP_.has_recursion, 0
	.set _ZN7rocprim17ROCPRIM_400000_NS6detail17trampoline_kernelINS0_14default_configENS1_32segmented_reduce_config_selectorIfEEZNS1_21segmented_reduce_implIS3_PKfPfPKifN6hipcub16HIPCUB_304000_NS6detail27convert_result_type_wrapperIS8_S9_N2at6native12_GLOBAL__N_19CustomMinEEEEE10hipError_tPvRmT0_T1_jT2_SQ_T4_T3_P12ihipStream_tbEUlT_E_NS1_11comp_targetILNS1_3genE3ELNS1_11target_archE908ELNS1_3gpuE7ELNS1_3repE0EEENS1_30default_config_static_selectorELNS0_4arch9wavefront6targetE0EEEvSP_.has_indirect_call, 0
	.section	.AMDGPU.csdata,"",@progbits
; Kernel info:
; codeLenInByte = 0
; TotalNumSgprs: 0
; NumVgprs: 0
; ScratchSize: 0
; MemoryBound: 0
; FloatMode: 240
; IeeeMode: 1
; LDSByteSize: 0 bytes/workgroup (compile time only)
; SGPRBlocks: 0
; VGPRBlocks: 0
; NumSGPRsForWavesPerEU: 1
; NumVGPRsForWavesPerEU: 1
; NamedBarCnt: 0
; Occupancy: 16
; WaveLimiterHint : 0
; COMPUTE_PGM_RSRC2:SCRATCH_EN: 0
; COMPUTE_PGM_RSRC2:USER_SGPR: 2
; COMPUTE_PGM_RSRC2:TRAP_HANDLER: 0
; COMPUTE_PGM_RSRC2:TGID_X_EN: 1
; COMPUTE_PGM_RSRC2:TGID_Y_EN: 0
; COMPUTE_PGM_RSRC2:TGID_Z_EN: 0
; COMPUTE_PGM_RSRC2:TIDIG_COMP_CNT: 0
	.section	.text._ZN7rocprim17ROCPRIM_400000_NS6detail17trampoline_kernelINS0_14default_configENS1_32segmented_reduce_config_selectorIfEEZNS1_21segmented_reduce_implIS3_PKfPfPKifN6hipcub16HIPCUB_304000_NS6detail27convert_result_type_wrapperIS8_S9_N2at6native12_GLOBAL__N_19CustomMinEEEEE10hipError_tPvRmT0_T1_jT2_SQ_T4_T3_P12ihipStream_tbEUlT_E_NS1_11comp_targetILNS1_3genE2ELNS1_11target_archE906ELNS1_3gpuE6ELNS1_3repE0EEENS1_30default_config_static_selectorELNS0_4arch9wavefront6targetE0EEEvSP_,"axG",@progbits,_ZN7rocprim17ROCPRIM_400000_NS6detail17trampoline_kernelINS0_14default_configENS1_32segmented_reduce_config_selectorIfEEZNS1_21segmented_reduce_implIS3_PKfPfPKifN6hipcub16HIPCUB_304000_NS6detail27convert_result_type_wrapperIS8_S9_N2at6native12_GLOBAL__N_19CustomMinEEEEE10hipError_tPvRmT0_T1_jT2_SQ_T4_T3_P12ihipStream_tbEUlT_E_NS1_11comp_targetILNS1_3genE2ELNS1_11target_archE906ELNS1_3gpuE6ELNS1_3repE0EEENS1_30default_config_static_selectorELNS0_4arch9wavefront6targetE0EEEvSP_,comdat
	.globl	_ZN7rocprim17ROCPRIM_400000_NS6detail17trampoline_kernelINS0_14default_configENS1_32segmented_reduce_config_selectorIfEEZNS1_21segmented_reduce_implIS3_PKfPfPKifN6hipcub16HIPCUB_304000_NS6detail27convert_result_type_wrapperIS8_S9_N2at6native12_GLOBAL__N_19CustomMinEEEEE10hipError_tPvRmT0_T1_jT2_SQ_T4_T3_P12ihipStream_tbEUlT_E_NS1_11comp_targetILNS1_3genE2ELNS1_11target_archE906ELNS1_3gpuE6ELNS1_3repE0EEENS1_30default_config_static_selectorELNS0_4arch9wavefront6targetE0EEEvSP_ ; -- Begin function _ZN7rocprim17ROCPRIM_400000_NS6detail17trampoline_kernelINS0_14default_configENS1_32segmented_reduce_config_selectorIfEEZNS1_21segmented_reduce_implIS3_PKfPfPKifN6hipcub16HIPCUB_304000_NS6detail27convert_result_type_wrapperIS8_S9_N2at6native12_GLOBAL__N_19CustomMinEEEEE10hipError_tPvRmT0_T1_jT2_SQ_T4_T3_P12ihipStream_tbEUlT_E_NS1_11comp_targetILNS1_3genE2ELNS1_11target_archE906ELNS1_3gpuE6ELNS1_3repE0EEENS1_30default_config_static_selectorELNS0_4arch9wavefront6targetE0EEEvSP_
	.p2align	8
	.type	_ZN7rocprim17ROCPRIM_400000_NS6detail17trampoline_kernelINS0_14default_configENS1_32segmented_reduce_config_selectorIfEEZNS1_21segmented_reduce_implIS3_PKfPfPKifN6hipcub16HIPCUB_304000_NS6detail27convert_result_type_wrapperIS8_S9_N2at6native12_GLOBAL__N_19CustomMinEEEEE10hipError_tPvRmT0_T1_jT2_SQ_T4_T3_P12ihipStream_tbEUlT_E_NS1_11comp_targetILNS1_3genE2ELNS1_11target_archE906ELNS1_3gpuE6ELNS1_3repE0EEENS1_30default_config_static_selectorELNS0_4arch9wavefront6targetE0EEEvSP_,@function
_ZN7rocprim17ROCPRIM_400000_NS6detail17trampoline_kernelINS0_14default_configENS1_32segmented_reduce_config_selectorIfEEZNS1_21segmented_reduce_implIS3_PKfPfPKifN6hipcub16HIPCUB_304000_NS6detail27convert_result_type_wrapperIS8_S9_N2at6native12_GLOBAL__N_19CustomMinEEEEE10hipError_tPvRmT0_T1_jT2_SQ_T4_T3_P12ihipStream_tbEUlT_E_NS1_11comp_targetILNS1_3genE2ELNS1_11target_archE906ELNS1_3gpuE6ELNS1_3repE0EEENS1_30default_config_static_selectorELNS0_4arch9wavefront6targetE0EEEvSP_: ; @_ZN7rocprim17ROCPRIM_400000_NS6detail17trampoline_kernelINS0_14default_configENS1_32segmented_reduce_config_selectorIfEEZNS1_21segmented_reduce_implIS3_PKfPfPKifN6hipcub16HIPCUB_304000_NS6detail27convert_result_type_wrapperIS8_S9_N2at6native12_GLOBAL__N_19CustomMinEEEEE10hipError_tPvRmT0_T1_jT2_SQ_T4_T3_P12ihipStream_tbEUlT_E_NS1_11comp_targetILNS1_3genE2ELNS1_11target_archE906ELNS1_3gpuE6ELNS1_3repE0EEENS1_30default_config_static_selectorELNS0_4arch9wavefront6targetE0EEEvSP_
; %bb.0:
	.section	.rodata,"a",@progbits
	.p2align	6, 0x0
	.amdhsa_kernel _ZN7rocprim17ROCPRIM_400000_NS6detail17trampoline_kernelINS0_14default_configENS1_32segmented_reduce_config_selectorIfEEZNS1_21segmented_reduce_implIS3_PKfPfPKifN6hipcub16HIPCUB_304000_NS6detail27convert_result_type_wrapperIS8_S9_N2at6native12_GLOBAL__N_19CustomMinEEEEE10hipError_tPvRmT0_T1_jT2_SQ_T4_T3_P12ihipStream_tbEUlT_E_NS1_11comp_targetILNS1_3genE2ELNS1_11target_archE906ELNS1_3gpuE6ELNS1_3repE0EEENS1_30default_config_static_selectorELNS0_4arch9wavefront6targetE0EEEvSP_
		.amdhsa_group_segment_fixed_size 0
		.amdhsa_private_segment_fixed_size 0
		.amdhsa_kernarg_size 48
		.amdhsa_user_sgpr_count 2
		.amdhsa_user_sgpr_dispatch_ptr 0
		.amdhsa_user_sgpr_queue_ptr 0
		.amdhsa_user_sgpr_kernarg_segment_ptr 1
		.amdhsa_user_sgpr_dispatch_id 0
		.amdhsa_user_sgpr_kernarg_preload_length 0
		.amdhsa_user_sgpr_kernarg_preload_offset 0
		.amdhsa_user_sgpr_private_segment_size 0
		.amdhsa_wavefront_size32 1
		.amdhsa_uses_dynamic_stack 0
		.amdhsa_enable_private_segment 0
		.amdhsa_system_sgpr_workgroup_id_x 1
		.amdhsa_system_sgpr_workgroup_id_y 0
		.amdhsa_system_sgpr_workgroup_id_z 0
		.amdhsa_system_sgpr_workgroup_info 0
		.amdhsa_system_vgpr_workitem_id 0
		.amdhsa_next_free_vgpr 1
		.amdhsa_next_free_sgpr 1
		.amdhsa_named_barrier_count 0
		.amdhsa_reserve_vcc 0
		.amdhsa_float_round_mode_32 0
		.amdhsa_float_round_mode_16_64 0
		.amdhsa_float_denorm_mode_32 3
		.amdhsa_float_denorm_mode_16_64 3
		.amdhsa_fp16_overflow 0
		.amdhsa_memory_ordered 1
		.amdhsa_forward_progress 1
		.amdhsa_inst_pref_size 0
		.amdhsa_round_robin_scheduling 0
		.amdhsa_exception_fp_ieee_invalid_op 0
		.amdhsa_exception_fp_denorm_src 0
		.amdhsa_exception_fp_ieee_div_zero 0
		.amdhsa_exception_fp_ieee_overflow 0
		.amdhsa_exception_fp_ieee_underflow 0
		.amdhsa_exception_fp_ieee_inexact 0
		.amdhsa_exception_int_div_zero 0
	.end_amdhsa_kernel
	.section	.text._ZN7rocprim17ROCPRIM_400000_NS6detail17trampoline_kernelINS0_14default_configENS1_32segmented_reduce_config_selectorIfEEZNS1_21segmented_reduce_implIS3_PKfPfPKifN6hipcub16HIPCUB_304000_NS6detail27convert_result_type_wrapperIS8_S9_N2at6native12_GLOBAL__N_19CustomMinEEEEE10hipError_tPvRmT0_T1_jT2_SQ_T4_T3_P12ihipStream_tbEUlT_E_NS1_11comp_targetILNS1_3genE2ELNS1_11target_archE906ELNS1_3gpuE6ELNS1_3repE0EEENS1_30default_config_static_selectorELNS0_4arch9wavefront6targetE0EEEvSP_,"axG",@progbits,_ZN7rocprim17ROCPRIM_400000_NS6detail17trampoline_kernelINS0_14default_configENS1_32segmented_reduce_config_selectorIfEEZNS1_21segmented_reduce_implIS3_PKfPfPKifN6hipcub16HIPCUB_304000_NS6detail27convert_result_type_wrapperIS8_S9_N2at6native12_GLOBAL__N_19CustomMinEEEEE10hipError_tPvRmT0_T1_jT2_SQ_T4_T3_P12ihipStream_tbEUlT_E_NS1_11comp_targetILNS1_3genE2ELNS1_11target_archE906ELNS1_3gpuE6ELNS1_3repE0EEENS1_30default_config_static_selectorELNS0_4arch9wavefront6targetE0EEEvSP_,comdat
.Lfunc_end65:
	.size	_ZN7rocprim17ROCPRIM_400000_NS6detail17trampoline_kernelINS0_14default_configENS1_32segmented_reduce_config_selectorIfEEZNS1_21segmented_reduce_implIS3_PKfPfPKifN6hipcub16HIPCUB_304000_NS6detail27convert_result_type_wrapperIS8_S9_N2at6native12_GLOBAL__N_19CustomMinEEEEE10hipError_tPvRmT0_T1_jT2_SQ_T4_T3_P12ihipStream_tbEUlT_E_NS1_11comp_targetILNS1_3genE2ELNS1_11target_archE906ELNS1_3gpuE6ELNS1_3repE0EEENS1_30default_config_static_selectorELNS0_4arch9wavefront6targetE0EEEvSP_, .Lfunc_end65-_ZN7rocprim17ROCPRIM_400000_NS6detail17trampoline_kernelINS0_14default_configENS1_32segmented_reduce_config_selectorIfEEZNS1_21segmented_reduce_implIS3_PKfPfPKifN6hipcub16HIPCUB_304000_NS6detail27convert_result_type_wrapperIS8_S9_N2at6native12_GLOBAL__N_19CustomMinEEEEE10hipError_tPvRmT0_T1_jT2_SQ_T4_T3_P12ihipStream_tbEUlT_E_NS1_11comp_targetILNS1_3genE2ELNS1_11target_archE906ELNS1_3gpuE6ELNS1_3repE0EEENS1_30default_config_static_selectorELNS0_4arch9wavefront6targetE0EEEvSP_
                                        ; -- End function
	.set _ZN7rocprim17ROCPRIM_400000_NS6detail17trampoline_kernelINS0_14default_configENS1_32segmented_reduce_config_selectorIfEEZNS1_21segmented_reduce_implIS3_PKfPfPKifN6hipcub16HIPCUB_304000_NS6detail27convert_result_type_wrapperIS8_S9_N2at6native12_GLOBAL__N_19CustomMinEEEEE10hipError_tPvRmT0_T1_jT2_SQ_T4_T3_P12ihipStream_tbEUlT_E_NS1_11comp_targetILNS1_3genE2ELNS1_11target_archE906ELNS1_3gpuE6ELNS1_3repE0EEENS1_30default_config_static_selectorELNS0_4arch9wavefront6targetE0EEEvSP_.num_vgpr, 0
	.set _ZN7rocprim17ROCPRIM_400000_NS6detail17trampoline_kernelINS0_14default_configENS1_32segmented_reduce_config_selectorIfEEZNS1_21segmented_reduce_implIS3_PKfPfPKifN6hipcub16HIPCUB_304000_NS6detail27convert_result_type_wrapperIS8_S9_N2at6native12_GLOBAL__N_19CustomMinEEEEE10hipError_tPvRmT0_T1_jT2_SQ_T4_T3_P12ihipStream_tbEUlT_E_NS1_11comp_targetILNS1_3genE2ELNS1_11target_archE906ELNS1_3gpuE6ELNS1_3repE0EEENS1_30default_config_static_selectorELNS0_4arch9wavefront6targetE0EEEvSP_.num_agpr, 0
	.set _ZN7rocprim17ROCPRIM_400000_NS6detail17trampoline_kernelINS0_14default_configENS1_32segmented_reduce_config_selectorIfEEZNS1_21segmented_reduce_implIS3_PKfPfPKifN6hipcub16HIPCUB_304000_NS6detail27convert_result_type_wrapperIS8_S9_N2at6native12_GLOBAL__N_19CustomMinEEEEE10hipError_tPvRmT0_T1_jT2_SQ_T4_T3_P12ihipStream_tbEUlT_E_NS1_11comp_targetILNS1_3genE2ELNS1_11target_archE906ELNS1_3gpuE6ELNS1_3repE0EEENS1_30default_config_static_selectorELNS0_4arch9wavefront6targetE0EEEvSP_.numbered_sgpr, 0
	.set _ZN7rocprim17ROCPRIM_400000_NS6detail17trampoline_kernelINS0_14default_configENS1_32segmented_reduce_config_selectorIfEEZNS1_21segmented_reduce_implIS3_PKfPfPKifN6hipcub16HIPCUB_304000_NS6detail27convert_result_type_wrapperIS8_S9_N2at6native12_GLOBAL__N_19CustomMinEEEEE10hipError_tPvRmT0_T1_jT2_SQ_T4_T3_P12ihipStream_tbEUlT_E_NS1_11comp_targetILNS1_3genE2ELNS1_11target_archE906ELNS1_3gpuE6ELNS1_3repE0EEENS1_30default_config_static_selectorELNS0_4arch9wavefront6targetE0EEEvSP_.num_named_barrier, 0
	.set _ZN7rocprim17ROCPRIM_400000_NS6detail17trampoline_kernelINS0_14default_configENS1_32segmented_reduce_config_selectorIfEEZNS1_21segmented_reduce_implIS3_PKfPfPKifN6hipcub16HIPCUB_304000_NS6detail27convert_result_type_wrapperIS8_S9_N2at6native12_GLOBAL__N_19CustomMinEEEEE10hipError_tPvRmT0_T1_jT2_SQ_T4_T3_P12ihipStream_tbEUlT_E_NS1_11comp_targetILNS1_3genE2ELNS1_11target_archE906ELNS1_3gpuE6ELNS1_3repE0EEENS1_30default_config_static_selectorELNS0_4arch9wavefront6targetE0EEEvSP_.private_seg_size, 0
	.set _ZN7rocprim17ROCPRIM_400000_NS6detail17trampoline_kernelINS0_14default_configENS1_32segmented_reduce_config_selectorIfEEZNS1_21segmented_reduce_implIS3_PKfPfPKifN6hipcub16HIPCUB_304000_NS6detail27convert_result_type_wrapperIS8_S9_N2at6native12_GLOBAL__N_19CustomMinEEEEE10hipError_tPvRmT0_T1_jT2_SQ_T4_T3_P12ihipStream_tbEUlT_E_NS1_11comp_targetILNS1_3genE2ELNS1_11target_archE906ELNS1_3gpuE6ELNS1_3repE0EEENS1_30default_config_static_selectorELNS0_4arch9wavefront6targetE0EEEvSP_.uses_vcc, 0
	.set _ZN7rocprim17ROCPRIM_400000_NS6detail17trampoline_kernelINS0_14default_configENS1_32segmented_reduce_config_selectorIfEEZNS1_21segmented_reduce_implIS3_PKfPfPKifN6hipcub16HIPCUB_304000_NS6detail27convert_result_type_wrapperIS8_S9_N2at6native12_GLOBAL__N_19CustomMinEEEEE10hipError_tPvRmT0_T1_jT2_SQ_T4_T3_P12ihipStream_tbEUlT_E_NS1_11comp_targetILNS1_3genE2ELNS1_11target_archE906ELNS1_3gpuE6ELNS1_3repE0EEENS1_30default_config_static_selectorELNS0_4arch9wavefront6targetE0EEEvSP_.uses_flat_scratch, 0
	.set _ZN7rocprim17ROCPRIM_400000_NS6detail17trampoline_kernelINS0_14default_configENS1_32segmented_reduce_config_selectorIfEEZNS1_21segmented_reduce_implIS3_PKfPfPKifN6hipcub16HIPCUB_304000_NS6detail27convert_result_type_wrapperIS8_S9_N2at6native12_GLOBAL__N_19CustomMinEEEEE10hipError_tPvRmT0_T1_jT2_SQ_T4_T3_P12ihipStream_tbEUlT_E_NS1_11comp_targetILNS1_3genE2ELNS1_11target_archE906ELNS1_3gpuE6ELNS1_3repE0EEENS1_30default_config_static_selectorELNS0_4arch9wavefront6targetE0EEEvSP_.has_dyn_sized_stack, 0
	.set _ZN7rocprim17ROCPRIM_400000_NS6detail17trampoline_kernelINS0_14default_configENS1_32segmented_reduce_config_selectorIfEEZNS1_21segmented_reduce_implIS3_PKfPfPKifN6hipcub16HIPCUB_304000_NS6detail27convert_result_type_wrapperIS8_S9_N2at6native12_GLOBAL__N_19CustomMinEEEEE10hipError_tPvRmT0_T1_jT2_SQ_T4_T3_P12ihipStream_tbEUlT_E_NS1_11comp_targetILNS1_3genE2ELNS1_11target_archE906ELNS1_3gpuE6ELNS1_3repE0EEENS1_30default_config_static_selectorELNS0_4arch9wavefront6targetE0EEEvSP_.has_recursion, 0
	.set _ZN7rocprim17ROCPRIM_400000_NS6detail17trampoline_kernelINS0_14default_configENS1_32segmented_reduce_config_selectorIfEEZNS1_21segmented_reduce_implIS3_PKfPfPKifN6hipcub16HIPCUB_304000_NS6detail27convert_result_type_wrapperIS8_S9_N2at6native12_GLOBAL__N_19CustomMinEEEEE10hipError_tPvRmT0_T1_jT2_SQ_T4_T3_P12ihipStream_tbEUlT_E_NS1_11comp_targetILNS1_3genE2ELNS1_11target_archE906ELNS1_3gpuE6ELNS1_3repE0EEENS1_30default_config_static_selectorELNS0_4arch9wavefront6targetE0EEEvSP_.has_indirect_call, 0
	.section	.AMDGPU.csdata,"",@progbits
; Kernel info:
; codeLenInByte = 0
; TotalNumSgprs: 0
; NumVgprs: 0
; ScratchSize: 0
; MemoryBound: 0
; FloatMode: 240
; IeeeMode: 1
; LDSByteSize: 0 bytes/workgroup (compile time only)
; SGPRBlocks: 0
; VGPRBlocks: 0
; NumSGPRsForWavesPerEU: 1
; NumVGPRsForWavesPerEU: 1
; NamedBarCnt: 0
; Occupancy: 16
; WaveLimiterHint : 0
; COMPUTE_PGM_RSRC2:SCRATCH_EN: 0
; COMPUTE_PGM_RSRC2:USER_SGPR: 2
; COMPUTE_PGM_RSRC2:TRAP_HANDLER: 0
; COMPUTE_PGM_RSRC2:TGID_X_EN: 1
; COMPUTE_PGM_RSRC2:TGID_Y_EN: 0
; COMPUTE_PGM_RSRC2:TGID_Z_EN: 0
; COMPUTE_PGM_RSRC2:TIDIG_COMP_CNT: 0
	.section	.text._ZN7rocprim17ROCPRIM_400000_NS6detail17trampoline_kernelINS0_14default_configENS1_32segmented_reduce_config_selectorIfEEZNS1_21segmented_reduce_implIS3_PKfPfPKifN6hipcub16HIPCUB_304000_NS6detail27convert_result_type_wrapperIS8_S9_N2at6native12_GLOBAL__N_19CustomMinEEEEE10hipError_tPvRmT0_T1_jT2_SQ_T4_T3_P12ihipStream_tbEUlT_E_NS1_11comp_targetILNS1_3genE9ELNS1_11target_archE1100ELNS1_3gpuE3ELNS1_3repE0EEENS1_30default_config_static_selectorELNS0_4arch9wavefront6targetE0EEEvSP_,"axG",@progbits,_ZN7rocprim17ROCPRIM_400000_NS6detail17trampoline_kernelINS0_14default_configENS1_32segmented_reduce_config_selectorIfEEZNS1_21segmented_reduce_implIS3_PKfPfPKifN6hipcub16HIPCUB_304000_NS6detail27convert_result_type_wrapperIS8_S9_N2at6native12_GLOBAL__N_19CustomMinEEEEE10hipError_tPvRmT0_T1_jT2_SQ_T4_T3_P12ihipStream_tbEUlT_E_NS1_11comp_targetILNS1_3genE9ELNS1_11target_archE1100ELNS1_3gpuE3ELNS1_3repE0EEENS1_30default_config_static_selectorELNS0_4arch9wavefront6targetE0EEEvSP_,comdat
	.globl	_ZN7rocprim17ROCPRIM_400000_NS6detail17trampoline_kernelINS0_14default_configENS1_32segmented_reduce_config_selectorIfEEZNS1_21segmented_reduce_implIS3_PKfPfPKifN6hipcub16HIPCUB_304000_NS6detail27convert_result_type_wrapperIS8_S9_N2at6native12_GLOBAL__N_19CustomMinEEEEE10hipError_tPvRmT0_T1_jT2_SQ_T4_T3_P12ihipStream_tbEUlT_E_NS1_11comp_targetILNS1_3genE9ELNS1_11target_archE1100ELNS1_3gpuE3ELNS1_3repE0EEENS1_30default_config_static_selectorELNS0_4arch9wavefront6targetE0EEEvSP_ ; -- Begin function _ZN7rocprim17ROCPRIM_400000_NS6detail17trampoline_kernelINS0_14default_configENS1_32segmented_reduce_config_selectorIfEEZNS1_21segmented_reduce_implIS3_PKfPfPKifN6hipcub16HIPCUB_304000_NS6detail27convert_result_type_wrapperIS8_S9_N2at6native12_GLOBAL__N_19CustomMinEEEEE10hipError_tPvRmT0_T1_jT2_SQ_T4_T3_P12ihipStream_tbEUlT_E_NS1_11comp_targetILNS1_3genE9ELNS1_11target_archE1100ELNS1_3gpuE3ELNS1_3repE0EEENS1_30default_config_static_selectorELNS0_4arch9wavefront6targetE0EEEvSP_
	.p2align	8
	.type	_ZN7rocprim17ROCPRIM_400000_NS6detail17trampoline_kernelINS0_14default_configENS1_32segmented_reduce_config_selectorIfEEZNS1_21segmented_reduce_implIS3_PKfPfPKifN6hipcub16HIPCUB_304000_NS6detail27convert_result_type_wrapperIS8_S9_N2at6native12_GLOBAL__N_19CustomMinEEEEE10hipError_tPvRmT0_T1_jT2_SQ_T4_T3_P12ihipStream_tbEUlT_E_NS1_11comp_targetILNS1_3genE9ELNS1_11target_archE1100ELNS1_3gpuE3ELNS1_3repE0EEENS1_30default_config_static_selectorELNS0_4arch9wavefront6targetE0EEEvSP_,@function
_ZN7rocprim17ROCPRIM_400000_NS6detail17trampoline_kernelINS0_14default_configENS1_32segmented_reduce_config_selectorIfEEZNS1_21segmented_reduce_implIS3_PKfPfPKifN6hipcub16HIPCUB_304000_NS6detail27convert_result_type_wrapperIS8_S9_N2at6native12_GLOBAL__N_19CustomMinEEEEE10hipError_tPvRmT0_T1_jT2_SQ_T4_T3_P12ihipStream_tbEUlT_E_NS1_11comp_targetILNS1_3genE9ELNS1_11target_archE1100ELNS1_3gpuE3ELNS1_3repE0EEENS1_30default_config_static_selectorELNS0_4arch9wavefront6targetE0EEEvSP_: ; @_ZN7rocprim17ROCPRIM_400000_NS6detail17trampoline_kernelINS0_14default_configENS1_32segmented_reduce_config_selectorIfEEZNS1_21segmented_reduce_implIS3_PKfPfPKifN6hipcub16HIPCUB_304000_NS6detail27convert_result_type_wrapperIS8_S9_N2at6native12_GLOBAL__N_19CustomMinEEEEE10hipError_tPvRmT0_T1_jT2_SQ_T4_T3_P12ihipStream_tbEUlT_E_NS1_11comp_targetILNS1_3genE9ELNS1_11target_archE1100ELNS1_3gpuE3ELNS1_3repE0EEENS1_30default_config_static_selectorELNS0_4arch9wavefront6targetE0EEEvSP_
; %bb.0:
	.section	.rodata,"a",@progbits
	.p2align	6, 0x0
	.amdhsa_kernel _ZN7rocprim17ROCPRIM_400000_NS6detail17trampoline_kernelINS0_14default_configENS1_32segmented_reduce_config_selectorIfEEZNS1_21segmented_reduce_implIS3_PKfPfPKifN6hipcub16HIPCUB_304000_NS6detail27convert_result_type_wrapperIS8_S9_N2at6native12_GLOBAL__N_19CustomMinEEEEE10hipError_tPvRmT0_T1_jT2_SQ_T4_T3_P12ihipStream_tbEUlT_E_NS1_11comp_targetILNS1_3genE9ELNS1_11target_archE1100ELNS1_3gpuE3ELNS1_3repE0EEENS1_30default_config_static_selectorELNS0_4arch9wavefront6targetE0EEEvSP_
		.amdhsa_group_segment_fixed_size 0
		.amdhsa_private_segment_fixed_size 0
		.amdhsa_kernarg_size 48
		.amdhsa_user_sgpr_count 2
		.amdhsa_user_sgpr_dispatch_ptr 0
		.amdhsa_user_sgpr_queue_ptr 0
		.amdhsa_user_sgpr_kernarg_segment_ptr 1
		.amdhsa_user_sgpr_dispatch_id 0
		.amdhsa_user_sgpr_kernarg_preload_length 0
		.amdhsa_user_sgpr_kernarg_preload_offset 0
		.amdhsa_user_sgpr_private_segment_size 0
		.amdhsa_wavefront_size32 1
		.amdhsa_uses_dynamic_stack 0
		.amdhsa_enable_private_segment 0
		.amdhsa_system_sgpr_workgroup_id_x 1
		.amdhsa_system_sgpr_workgroup_id_y 0
		.amdhsa_system_sgpr_workgroup_id_z 0
		.amdhsa_system_sgpr_workgroup_info 0
		.amdhsa_system_vgpr_workitem_id 0
		.amdhsa_next_free_vgpr 1
		.amdhsa_next_free_sgpr 1
		.amdhsa_named_barrier_count 0
		.amdhsa_reserve_vcc 0
		.amdhsa_float_round_mode_32 0
		.amdhsa_float_round_mode_16_64 0
		.amdhsa_float_denorm_mode_32 3
		.amdhsa_float_denorm_mode_16_64 3
		.amdhsa_fp16_overflow 0
		.amdhsa_memory_ordered 1
		.amdhsa_forward_progress 1
		.amdhsa_inst_pref_size 0
		.amdhsa_round_robin_scheduling 0
		.amdhsa_exception_fp_ieee_invalid_op 0
		.amdhsa_exception_fp_denorm_src 0
		.amdhsa_exception_fp_ieee_div_zero 0
		.amdhsa_exception_fp_ieee_overflow 0
		.amdhsa_exception_fp_ieee_underflow 0
		.amdhsa_exception_fp_ieee_inexact 0
		.amdhsa_exception_int_div_zero 0
	.end_amdhsa_kernel
	.section	.text._ZN7rocprim17ROCPRIM_400000_NS6detail17trampoline_kernelINS0_14default_configENS1_32segmented_reduce_config_selectorIfEEZNS1_21segmented_reduce_implIS3_PKfPfPKifN6hipcub16HIPCUB_304000_NS6detail27convert_result_type_wrapperIS8_S9_N2at6native12_GLOBAL__N_19CustomMinEEEEE10hipError_tPvRmT0_T1_jT2_SQ_T4_T3_P12ihipStream_tbEUlT_E_NS1_11comp_targetILNS1_3genE9ELNS1_11target_archE1100ELNS1_3gpuE3ELNS1_3repE0EEENS1_30default_config_static_selectorELNS0_4arch9wavefront6targetE0EEEvSP_,"axG",@progbits,_ZN7rocprim17ROCPRIM_400000_NS6detail17trampoline_kernelINS0_14default_configENS1_32segmented_reduce_config_selectorIfEEZNS1_21segmented_reduce_implIS3_PKfPfPKifN6hipcub16HIPCUB_304000_NS6detail27convert_result_type_wrapperIS8_S9_N2at6native12_GLOBAL__N_19CustomMinEEEEE10hipError_tPvRmT0_T1_jT2_SQ_T4_T3_P12ihipStream_tbEUlT_E_NS1_11comp_targetILNS1_3genE9ELNS1_11target_archE1100ELNS1_3gpuE3ELNS1_3repE0EEENS1_30default_config_static_selectorELNS0_4arch9wavefront6targetE0EEEvSP_,comdat
.Lfunc_end66:
	.size	_ZN7rocprim17ROCPRIM_400000_NS6detail17trampoline_kernelINS0_14default_configENS1_32segmented_reduce_config_selectorIfEEZNS1_21segmented_reduce_implIS3_PKfPfPKifN6hipcub16HIPCUB_304000_NS6detail27convert_result_type_wrapperIS8_S9_N2at6native12_GLOBAL__N_19CustomMinEEEEE10hipError_tPvRmT0_T1_jT2_SQ_T4_T3_P12ihipStream_tbEUlT_E_NS1_11comp_targetILNS1_3genE9ELNS1_11target_archE1100ELNS1_3gpuE3ELNS1_3repE0EEENS1_30default_config_static_selectorELNS0_4arch9wavefront6targetE0EEEvSP_, .Lfunc_end66-_ZN7rocprim17ROCPRIM_400000_NS6detail17trampoline_kernelINS0_14default_configENS1_32segmented_reduce_config_selectorIfEEZNS1_21segmented_reduce_implIS3_PKfPfPKifN6hipcub16HIPCUB_304000_NS6detail27convert_result_type_wrapperIS8_S9_N2at6native12_GLOBAL__N_19CustomMinEEEEE10hipError_tPvRmT0_T1_jT2_SQ_T4_T3_P12ihipStream_tbEUlT_E_NS1_11comp_targetILNS1_3genE9ELNS1_11target_archE1100ELNS1_3gpuE3ELNS1_3repE0EEENS1_30default_config_static_selectorELNS0_4arch9wavefront6targetE0EEEvSP_
                                        ; -- End function
	.set _ZN7rocprim17ROCPRIM_400000_NS6detail17trampoline_kernelINS0_14default_configENS1_32segmented_reduce_config_selectorIfEEZNS1_21segmented_reduce_implIS3_PKfPfPKifN6hipcub16HIPCUB_304000_NS6detail27convert_result_type_wrapperIS8_S9_N2at6native12_GLOBAL__N_19CustomMinEEEEE10hipError_tPvRmT0_T1_jT2_SQ_T4_T3_P12ihipStream_tbEUlT_E_NS1_11comp_targetILNS1_3genE9ELNS1_11target_archE1100ELNS1_3gpuE3ELNS1_3repE0EEENS1_30default_config_static_selectorELNS0_4arch9wavefront6targetE0EEEvSP_.num_vgpr, 0
	.set _ZN7rocprim17ROCPRIM_400000_NS6detail17trampoline_kernelINS0_14default_configENS1_32segmented_reduce_config_selectorIfEEZNS1_21segmented_reduce_implIS3_PKfPfPKifN6hipcub16HIPCUB_304000_NS6detail27convert_result_type_wrapperIS8_S9_N2at6native12_GLOBAL__N_19CustomMinEEEEE10hipError_tPvRmT0_T1_jT2_SQ_T4_T3_P12ihipStream_tbEUlT_E_NS1_11comp_targetILNS1_3genE9ELNS1_11target_archE1100ELNS1_3gpuE3ELNS1_3repE0EEENS1_30default_config_static_selectorELNS0_4arch9wavefront6targetE0EEEvSP_.num_agpr, 0
	.set _ZN7rocprim17ROCPRIM_400000_NS6detail17trampoline_kernelINS0_14default_configENS1_32segmented_reduce_config_selectorIfEEZNS1_21segmented_reduce_implIS3_PKfPfPKifN6hipcub16HIPCUB_304000_NS6detail27convert_result_type_wrapperIS8_S9_N2at6native12_GLOBAL__N_19CustomMinEEEEE10hipError_tPvRmT0_T1_jT2_SQ_T4_T3_P12ihipStream_tbEUlT_E_NS1_11comp_targetILNS1_3genE9ELNS1_11target_archE1100ELNS1_3gpuE3ELNS1_3repE0EEENS1_30default_config_static_selectorELNS0_4arch9wavefront6targetE0EEEvSP_.numbered_sgpr, 0
	.set _ZN7rocprim17ROCPRIM_400000_NS6detail17trampoline_kernelINS0_14default_configENS1_32segmented_reduce_config_selectorIfEEZNS1_21segmented_reduce_implIS3_PKfPfPKifN6hipcub16HIPCUB_304000_NS6detail27convert_result_type_wrapperIS8_S9_N2at6native12_GLOBAL__N_19CustomMinEEEEE10hipError_tPvRmT0_T1_jT2_SQ_T4_T3_P12ihipStream_tbEUlT_E_NS1_11comp_targetILNS1_3genE9ELNS1_11target_archE1100ELNS1_3gpuE3ELNS1_3repE0EEENS1_30default_config_static_selectorELNS0_4arch9wavefront6targetE0EEEvSP_.num_named_barrier, 0
	.set _ZN7rocprim17ROCPRIM_400000_NS6detail17trampoline_kernelINS0_14default_configENS1_32segmented_reduce_config_selectorIfEEZNS1_21segmented_reduce_implIS3_PKfPfPKifN6hipcub16HIPCUB_304000_NS6detail27convert_result_type_wrapperIS8_S9_N2at6native12_GLOBAL__N_19CustomMinEEEEE10hipError_tPvRmT0_T1_jT2_SQ_T4_T3_P12ihipStream_tbEUlT_E_NS1_11comp_targetILNS1_3genE9ELNS1_11target_archE1100ELNS1_3gpuE3ELNS1_3repE0EEENS1_30default_config_static_selectorELNS0_4arch9wavefront6targetE0EEEvSP_.private_seg_size, 0
	.set _ZN7rocprim17ROCPRIM_400000_NS6detail17trampoline_kernelINS0_14default_configENS1_32segmented_reduce_config_selectorIfEEZNS1_21segmented_reduce_implIS3_PKfPfPKifN6hipcub16HIPCUB_304000_NS6detail27convert_result_type_wrapperIS8_S9_N2at6native12_GLOBAL__N_19CustomMinEEEEE10hipError_tPvRmT0_T1_jT2_SQ_T4_T3_P12ihipStream_tbEUlT_E_NS1_11comp_targetILNS1_3genE9ELNS1_11target_archE1100ELNS1_3gpuE3ELNS1_3repE0EEENS1_30default_config_static_selectorELNS0_4arch9wavefront6targetE0EEEvSP_.uses_vcc, 0
	.set _ZN7rocprim17ROCPRIM_400000_NS6detail17trampoline_kernelINS0_14default_configENS1_32segmented_reduce_config_selectorIfEEZNS1_21segmented_reduce_implIS3_PKfPfPKifN6hipcub16HIPCUB_304000_NS6detail27convert_result_type_wrapperIS8_S9_N2at6native12_GLOBAL__N_19CustomMinEEEEE10hipError_tPvRmT0_T1_jT2_SQ_T4_T3_P12ihipStream_tbEUlT_E_NS1_11comp_targetILNS1_3genE9ELNS1_11target_archE1100ELNS1_3gpuE3ELNS1_3repE0EEENS1_30default_config_static_selectorELNS0_4arch9wavefront6targetE0EEEvSP_.uses_flat_scratch, 0
	.set _ZN7rocprim17ROCPRIM_400000_NS6detail17trampoline_kernelINS0_14default_configENS1_32segmented_reduce_config_selectorIfEEZNS1_21segmented_reduce_implIS3_PKfPfPKifN6hipcub16HIPCUB_304000_NS6detail27convert_result_type_wrapperIS8_S9_N2at6native12_GLOBAL__N_19CustomMinEEEEE10hipError_tPvRmT0_T1_jT2_SQ_T4_T3_P12ihipStream_tbEUlT_E_NS1_11comp_targetILNS1_3genE9ELNS1_11target_archE1100ELNS1_3gpuE3ELNS1_3repE0EEENS1_30default_config_static_selectorELNS0_4arch9wavefront6targetE0EEEvSP_.has_dyn_sized_stack, 0
	.set _ZN7rocprim17ROCPRIM_400000_NS6detail17trampoline_kernelINS0_14default_configENS1_32segmented_reduce_config_selectorIfEEZNS1_21segmented_reduce_implIS3_PKfPfPKifN6hipcub16HIPCUB_304000_NS6detail27convert_result_type_wrapperIS8_S9_N2at6native12_GLOBAL__N_19CustomMinEEEEE10hipError_tPvRmT0_T1_jT2_SQ_T4_T3_P12ihipStream_tbEUlT_E_NS1_11comp_targetILNS1_3genE9ELNS1_11target_archE1100ELNS1_3gpuE3ELNS1_3repE0EEENS1_30default_config_static_selectorELNS0_4arch9wavefront6targetE0EEEvSP_.has_recursion, 0
	.set _ZN7rocprim17ROCPRIM_400000_NS6detail17trampoline_kernelINS0_14default_configENS1_32segmented_reduce_config_selectorIfEEZNS1_21segmented_reduce_implIS3_PKfPfPKifN6hipcub16HIPCUB_304000_NS6detail27convert_result_type_wrapperIS8_S9_N2at6native12_GLOBAL__N_19CustomMinEEEEE10hipError_tPvRmT0_T1_jT2_SQ_T4_T3_P12ihipStream_tbEUlT_E_NS1_11comp_targetILNS1_3genE9ELNS1_11target_archE1100ELNS1_3gpuE3ELNS1_3repE0EEENS1_30default_config_static_selectorELNS0_4arch9wavefront6targetE0EEEvSP_.has_indirect_call, 0
	.section	.AMDGPU.csdata,"",@progbits
; Kernel info:
; codeLenInByte = 0
; TotalNumSgprs: 0
; NumVgprs: 0
; ScratchSize: 0
; MemoryBound: 0
; FloatMode: 240
; IeeeMode: 1
; LDSByteSize: 0 bytes/workgroup (compile time only)
; SGPRBlocks: 0
; VGPRBlocks: 0
; NumSGPRsForWavesPerEU: 1
; NumVGPRsForWavesPerEU: 1
; NamedBarCnt: 0
; Occupancy: 16
; WaveLimiterHint : 0
; COMPUTE_PGM_RSRC2:SCRATCH_EN: 0
; COMPUTE_PGM_RSRC2:USER_SGPR: 2
; COMPUTE_PGM_RSRC2:TRAP_HANDLER: 0
; COMPUTE_PGM_RSRC2:TGID_X_EN: 1
; COMPUTE_PGM_RSRC2:TGID_Y_EN: 0
; COMPUTE_PGM_RSRC2:TGID_Z_EN: 0
; COMPUTE_PGM_RSRC2:TIDIG_COMP_CNT: 0
	.section	.text._ZN7rocprim17ROCPRIM_400000_NS6detail17trampoline_kernelINS0_14default_configENS1_32segmented_reduce_config_selectorIfEEZNS1_21segmented_reduce_implIS3_PKfPfPKifN6hipcub16HIPCUB_304000_NS6detail27convert_result_type_wrapperIS8_S9_N2at6native12_GLOBAL__N_19CustomMinEEEEE10hipError_tPvRmT0_T1_jT2_SQ_T4_T3_P12ihipStream_tbEUlT_E_NS1_11comp_targetILNS1_3genE8ELNS1_11target_archE1030ELNS1_3gpuE2ELNS1_3repE0EEENS1_30default_config_static_selectorELNS0_4arch9wavefront6targetE0EEEvSP_,"axG",@progbits,_ZN7rocprim17ROCPRIM_400000_NS6detail17trampoline_kernelINS0_14default_configENS1_32segmented_reduce_config_selectorIfEEZNS1_21segmented_reduce_implIS3_PKfPfPKifN6hipcub16HIPCUB_304000_NS6detail27convert_result_type_wrapperIS8_S9_N2at6native12_GLOBAL__N_19CustomMinEEEEE10hipError_tPvRmT0_T1_jT2_SQ_T4_T3_P12ihipStream_tbEUlT_E_NS1_11comp_targetILNS1_3genE8ELNS1_11target_archE1030ELNS1_3gpuE2ELNS1_3repE0EEENS1_30default_config_static_selectorELNS0_4arch9wavefront6targetE0EEEvSP_,comdat
	.globl	_ZN7rocprim17ROCPRIM_400000_NS6detail17trampoline_kernelINS0_14default_configENS1_32segmented_reduce_config_selectorIfEEZNS1_21segmented_reduce_implIS3_PKfPfPKifN6hipcub16HIPCUB_304000_NS6detail27convert_result_type_wrapperIS8_S9_N2at6native12_GLOBAL__N_19CustomMinEEEEE10hipError_tPvRmT0_T1_jT2_SQ_T4_T3_P12ihipStream_tbEUlT_E_NS1_11comp_targetILNS1_3genE8ELNS1_11target_archE1030ELNS1_3gpuE2ELNS1_3repE0EEENS1_30default_config_static_selectorELNS0_4arch9wavefront6targetE0EEEvSP_ ; -- Begin function _ZN7rocprim17ROCPRIM_400000_NS6detail17trampoline_kernelINS0_14default_configENS1_32segmented_reduce_config_selectorIfEEZNS1_21segmented_reduce_implIS3_PKfPfPKifN6hipcub16HIPCUB_304000_NS6detail27convert_result_type_wrapperIS8_S9_N2at6native12_GLOBAL__N_19CustomMinEEEEE10hipError_tPvRmT0_T1_jT2_SQ_T4_T3_P12ihipStream_tbEUlT_E_NS1_11comp_targetILNS1_3genE8ELNS1_11target_archE1030ELNS1_3gpuE2ELNS1_3repE0EEENS1_30default_config_static_selectorELNS0_4arch9wavefront6targetE0EEEvSP_
	.p2align	8
	.type	_ZN7rocprim17ROCPRIM_400000_NS6detail17trampoline_kernelINS0_14default_configENS1_32segmented_reduce_config_selectorIfEEZNS1_21segmented_reduce_implIS3_PKfPfPKifN6hipcub16HIPCUB_304000_NS6detail27convert_result_type_wrapperIS8_S9_N2at6native12_GLOBAL__N_19CustomMinEEEEE10hipError_tPvRmT0_T1_jT2_SQ_T4_T3_P12ihipStream_tbEUlT_E_NS1_11comp_targetILNS1_3genE8ELNS1_11target_archE1030ELNS1_3gpuE2ELNS1_3repE0EEENS1_30default_config_static_selectorELNS0_4arch9wavefront6targetE0EEEvSP_,@function
_ZN7rocprim17ROCPRIM_400000_NS6detail17trampoline_kernelINS0_14default_configENS1_32segmented_reduce_config_selectorIfEEZNS1_21segmented_reduce_implIS3_PKfPfPKifN6hipcub16HIPCUB_304000_NS6detail27convert_result_type_wrapperIS8_S9_N2at6native12_GLOBAL__N_19CustomMinEEEEE10hipError_tPvRmT0_T1_jT2_SQ_T4_T3_P12ihipStream_tbEUlT_E_NS1_11comp_targetILNS1_3genE8ELNS1_11target_archE1030ELNS1_3gpuE2ELNS1_3repE0EEENS1_30default_config_static_selectorELNS0_4arch9wavefront6targetE0EEEvSP_: ; @_ZN7rocprim17ROCPRIM_400000_NS6detail17trampoline_kernelINS0_14default_configENS1_32segmented_reduce_config_selectorIfEEZNS1_21segmented_reduce_implIS3_PKfPfPKifN6hipcub16HIPCUB_304000_NS6detail27convert_result_type_wrapperIS8_S9_N2at6native12_GLOBAL__N_19CustomMinEEEEE10hipError_tPvRmT0_T1_jT2_SQ_T4_T3_P12ihipStream_tbEUlT_E_NS1_11comp_targetILNS1_3genE8ELNS1_11target_archE1030ELNS1_3gpuE2ELNS1_3repE0EEENS1_30default_config_static_selectorELNS0_4arch9wavefront6targetE0EEEvSP_
; %bb.0:
	.section	.rodata,"a",@progbits
	.p2align	6, 0x0
	.amdhsa_kernel _ZN7rocprim17ROCPRIM_400000_NS6detail17trampoline_kernelINS0_14default_configENS1_32segmented_reduce_config_selectorIfEEZNS1_21segmented_reduce_implIS3_PKfPfPKifN6hipcub16HIPCUB_304000_NS6detail27convert_result_type_wrapperIS8_S9_N2at6native12_GLOBAL__N_19CustomMinEEEEE10hipError_tPvRmT0_T1_jT2_SQ_T4_T3_P12ihipStream_tbEUlT_E_NS1_11comp_targetILNS1_3genE8ELNS1_11target_archE1030ELNS1_3gpuE2ELNS1_3repE0EEENS1_30default_config_static_selectorELNS0_4arch9wavefront6targetE0EEEvSP_
		.amdhsa_group_segment_fixed_size 0
		.amdhsa_private_segment_fixed_size 0
		.amdhsa_kernarg_size 48
		.amdhsa_user_sgpr_count 2
		.amdhsa_user_sgpr_dispatch_ptr 0
		.amdhsa_user_sgpr_queue_ptr 0
		.amdhsa_user_sgpr_kernarg_segment_ptr 1
		.amdhsa_user_sgpr_dispatch_id 0
		.amdhsa_user_sgpr_kernarg_preload_length 0
		.amdhsa_user_sgpr_kernarg_preload_offset 0
		.amdhsa_user_sgpr_private_segment_size 0
		.amdhsa_wavefront_size32 1
		.amdhsa_uses_dynamic_stack 0
		.amdhsa_enable_private_segment 0
		.amdhsa_system_sgpr_workgroup_id_x 1
		.amdhsa_system_sgpr_workgroup_id_y 0
		.amdhsa_system_sgpr_workgroup_id_z 0
		.amdhsa_system_sgpr_workgroup_info 0
		.amdhsa_system_vgpr_workitem_id 0
		.amdhsa_next_free_vgpr 1
		.amdhsa_next_free_sgpr 1
		.amdhsa_named_barrier_count 0
		.amdhsa_reserve_vcc 0
		.amdhsa_float_round_mode_32 0
		.amdhsa_float_round_mode_16_64 0
		.amdhsa_float_denorm_mode_32 3
		.amdhsa_float_denorm_mode_16_64 3
		.amdhsa_fp16_overflow 0
		.amdhsa_memory_ordered 1
		.amdhsa_forward_progress 1
		.amdhsa_inst_pref_size 0
		.amdhsa_round_robin_scheduling 0
		.amdhsa_exception_fp_ieee_invalid_op 0
		.amdhsa_exception_fp_denorm_src 0
		.amdhsa_exception_fp_ieee_div_zero 0
		.amdhsa_exception_fp_ieee_overflow 0
		.amdhsa_exception_fp_ieee_underflow 0
		.amdhsa_exception_fp_ieee_inexact 0
		.amdhsa_exception_int_div_zero 0
	.end_amdhsa_kernel
	.section	.text._ZN7rocprim17ROCPRIM_400000_NS6detail17trampoline_kernelINS0_14default_configENS1_32segmented_reduce_config_selectorIfEEZNS1_21segmented_reduce_implIS3_PKfPfPKifN6hipcub16HIPCUB_304000_NS6detail27convert_result_type_wrapperIS8_S9_N2at6native12_GLOBAL__N_19CustomMinEEEEE10hipError_tPvRmT0_T1_jT2_SQ_T4_T3_P12ihipStream_tbEUlT_E_NS1_11comp_targetILNS1_3genE8ELNS1_11target_archE1030ELNS1_3gpuE2ELNS1_3repE0EEENS1_30default_config_static_selectorELNS0_4arch9wavefront6targetE0EEEvSP_,"axG",@progbits,_ZN7rocprim17ROCPRIM_400000_NS6detail17trampoline_kernelINS0_14default_configENS1_32segmented_reduce_config_selectorIfEEZNS1_21segmented_reduce_implIS3_PKfPfPKifN6hipcub16HIPCUB_304000_NS6detail27convert_result_type_wrapperIS8_S9_N2at6native12_GLOBAL__N_19CustomMinEEEEE10hipError_tPvRmT0_T1_jT2_SQ_T4_T3_P12ihipStream_tbEUlT_E_NS1_11comp_targetILNS1_3genE8ELNS1_11target_archE1030ELNS1_3gpuE2ELNS1_3repE0EEENS1_30default_config_static_selectorELNS0_4arch9wavefront6targetE0EEEvSP_,comdat
.Lfunc_end67:
	.size	_ZN7rocprim17ROCPRIM_400000_NS6detail17trampoline_kernelINS0_14default_configENS1_32segmented_reduce_config_selectorIfEEZNS1_21segmented_reduce_implIS3_PKfPfPKifN6hipcub16HIPCUB_304000_NS6detail27convert_result_type_wrapperIS8_S9_N2at6native12_GLOBAL__N_19CustomMinEEEEE10hipError_tPvRmT0_T1_jT2_SQ_T4_T3_P12ihipStream_tbEUlT_E_NS1_11comp_targetILNS1_3genE8ELNS1_11target_archE1030ELNS1_3gpuE2ELNS1_3repE0EEENS1_30default_config_static_selectorELNS0_4arch9wavefront6targetE0EEEvSP_, .Lfunc_end67-_ZN7rocprim17ROCPRIM_400000_NS6detail17trampoline_kernelINS0_14default_configENS1_32segmented_reduce_config_selectorIfEEZNS1_21segmented_reduce_implIS3_PKfPfPKifN6hipcub16HIPCUB_304000_NS6detail27convert_result_type_wrapperIS8_S9_N2at6native12_GLOBAL__N_19CustomMinEEEEE10hipError_tPvRmT0_T1_jT2_SQ_T4_T3_P12ihipStream_tbEUlT_E_NS1_11comp_targetILNS1_3genE8ELNS1_11target_archE1030ELNS1_3gpuE2ELNS1_3repE0EEENS1_30default_config_static_selectorELNS0_4arch9wavefront6targetE0EEEvSP_
                                        ; -- End function
	.set _ZN7rocprim17ROCPRIM_400000_NS6detail17trampoline_kernelINS0_14default_configENS1_32segmented_reduce_config_selectorIfEEZNS1_21segmented_reduce_implIS3_PKfPfPKifN6hipcub16HIPCUB_304000_NS6detail27convert_result_type_wrapperIS8_S9_N2at6native12_GLOBAL__N_19CustomMinEEEEE10hipError_tPvRmT0_T1_jT2_SQ_T4_T3_P12ihipStream_tbEUlT_E_NS1_11comp_targetILNS1_3genE8ELNS1_11target_archE1030ELNS1_3gpuE2ELNS1_3repE0EEENS1_30default_config_static_selectorELNS0_4arch9wavefront6targetE0EEEvSP_.num_vgpr, 0
	.set _ZN7rocprim17ROCPRIM_400000_NS6detail17trampoline_kernelINS0_14default_configENS1_32segmented_reduce_config_selectorIfEEZNS1_21segmented_reduce_implIS3_PKfPfPKifN6hipcub16HIPCUB_304000_NS6detail27convert_result_type_wrapperIS8_S9_N2at6native12_GLOBAL__N_19CustomMinEEEEE10hipError_tPvRmT0_T1_jT2_SQ_T4_T3_P12ihipStream_tbEUlT_E_NS1_11comp_targetILNS1_3genE8ELNS1_11target_archE1030ELNS1_3gpuE2ELNS1_3repE0EEENS1_30default_config_static_selectorELNS0_4arch9wavefront6targetE0EEEvSP_.num_agpr, 0
	.set _ZN7rocprim17ROCPRIM_400000_NS6detail17trampoline_kernelINS0_14default_configENS1_32segmented_reduce_config_selectorIfEEZNS1_21segmented_reduce_implIS3_PKfPfPKifN6hipcub16HIPCUB_304000_NS6detail27convert_result_type_wrapperIS8_S9_N2at6native12_GLOBAL__N_19CustomMinEEEEE10hipError_tPvRmT0_T1_jT2_SQ_T4_T3_P12ihipStream_tbEUlT_E_NS1_11comp_targetILNS1_3genE8ELNS1_11target_archE1030ELNS1_3gpuE2ELNS1_3repE0EEENS1_30default_config_static_selectorELNS0_4arch9wavefront6targetE0EEEvSP_.numbered_sgpr, 0
	.set _ZN7rocprim17ROCPRIM_400000_NS6detail17trampoline_kernelINS0_14default_configENS1_32segmented_reduce_config_selectorIfEEZNS1_21segmented_reduce_implIS3_PKfPfPKifN6hipcub16HIPCUB_304000_NS6detail27convert_result_type_wrapperIS8_S9_N2at6native12_GLOBAL__N_19CustomMinEEEEE10hipError_tPvRmT0_T1_jT2_SQ_T4_T3_P12ihipStream_tbEUlT_E_NS1_11comp_targetILNS1_3genE8ELNS1_11target_archE1030ELNS1_3gpuE2ELNS1_3repE0EEENS1_30default_config_static_selectorELNS0_4arch9wavefront6targetE0EEEvSP_.num_named_barrier, 0
	.set _ZN7rocprim17ROCPRIM_400000_NS6detail17trampoline_kernelINS0_14default_configENS1_32segmented_reduce_config_selectorIfEEZNS1_21segmented_reduce_implIS3_PKfPfPKifN6hipcub16HIPCUB_304000_NS6detail27convert_result_type_wrapperIS8_S9_N2at6native12_GLOBAL__N_19CustomMinEEEEE10hipError_tPvRmT0_T1_jT2_SQ_T4_T3_P12ihipStream_tbEUlT_E_NS1_11comp_targetILNS1_3genE8ELNS1_11target_archE1030ELNS1_3gpuE2ELNS1_3repE0EEENS1_30default_config_static_selectorELNS0_4arch9wavefront6targetE0EEEvSP_.private_seg_size, 0
	.set _ZN7rocprim17ROCPRIM_400000_NS6detail17trampoline_kernelINS0_14default_configENS1_32segmented_reduce_config_selectorIfEEZNS1_21segmented_reduce_implIS3_PKfPfPKifN6hipcub16HIPCUB_304000_NS6detail27convert_result_type_wrapperIS8_S9_N2at6native12_GLOBAL__N_19CustomMinEEEEE10hipError_tPvRmT0_T1_jT2_SQ_T4_T3_P12ihipStream_tbEUlT_E_NS1_11comp_targetILNS1_3genE8ELNS1_11target_archE1030ELNS1_3gpuE2ELNS1_3repE0EEENS1_30default_config_static_selectorELNS0_4arch9wavefront6targetE0EEEvSP_.uses_vcc, 0
	.set _ZN7rocprim17ROCPRIM_400000_NS6detail17trampoline_kernelINS0_14default_configENS1_32segmented_reduce_config_selectorIfEEZNS1_21segmented_reduce_implIS3_PKfPfPKifN6hipcub16HIPCUB_304000_NS6detail27convert_result_type_wrapperIS8_S9_N2at6native12_GLOBAL__N_19CustomMinEEEEE10hipError_tPvRmT0_T1_jT2_SQ_T4_T3_P12ihipStream_tbEUlT_E_NS1_11comp_targetILNS1_3genE8ELNS1_11target_archE1030ELNS1_3gpuE2ELNS1_3repE0EEENS1_30default_config_static_selectorELNS0_4arch9wavefront6targetE0EEEvSP_.uses_flat_scratch, 0
	.set _ZN7rocprim17ROCPRIM_400000_NS6detail17trampoline_kernelINS0_14default_configENS1_32segmented_reduce_config_selectorIfEEZNS1_21segmented_reduce_implIS3_PKfPfPKifN6hipcub16HIPCUB_304000_NS6detail27convert_result_type_wrapperIS8_S9_N2at6native12_GLOBAL__N_19CustomMinEEEEE10hipError_tPvRmT0_T1_jT2_SQ_T4_T3_P12ihipStream_tbEUlT_E_NS1_11comp_targetILNS1_3genE8ELNS1_11target_archE1030ELNS1_3gpuE2ELNS1_3repE0EEENS1_30default_config_static_selectorELNS0_4arch9wavefront6targetE0EEEvSP_.has_dyn_sized_stack, 0
	.set _ZN7rocprim17ROCPRIM_400000_NS6detail17trampoline_kernelINS0_14default_configENS1_32segmented_reduce_config_selectorIfEEZNS1_21segmented_reduce_implIS3_PKfPfPKifN6hipcub16HIPCUB_304000_NS6detail27convert_result_type_wrapperIS8_S9_N2at6native12_GLOBAL__N_19CustomMinEEEEE10hipError_tPvRmT0_T1_jT2_SQ_T4_T3_P12ihipStream_tbEUlT_E_NS1_11comp_targetILNS1_3genE8ELNS1_11target_archE1030ELNS1_3gpuE2ELNS1_3repE0EEENS1_30default_config_static_selectorELNS0_4arch9wavefront6targetE0EEEvSP_.has_recursion, 0
	.set _ZN7rocprim17ROCPRIM_400000_NS6detail17trampoline_kernelINS0_14default_configENS1_32segmented_reduce_config_selectorIfEEZNS1_21segmented_reduce_implIS3_PKfPfPKifN6hipcub16HIPCUB_304000_NS6detail27convert_result_type_wrapperIS8_S9_N2at6native12_GLOBAL__N_19CustomMinEEEEE10hipError_tPvRmT0_T1_jT2_SQ_T4_T3_P12ihipStream_tbEUlT_E_NS1_11comp_targetILNS1_3genE8ELNS1_11target_archE1030ELNS1_3gpuE2ELNS1_3repE0EEENS1_30default_config_static_selectorELNS0_4arch9wavefront6targetE0EEEvSP_.has_indirect_call, 0
	.section	.AMDGPU.csdata,"",@progbits
; Kernel info:
; codeLenInByte = 0
; TotalNumSgprs: 0
; NumVgprs: 0
; ScratchSize: 0
; MemoryBound: 0
; FloatMode: 240
; IeeeMode: 1
; LDSByteSize: 0 bytes/workgroup (compile time only)
; SGPRBlocks: 0
; VGPRBlocks: 0
; NumSGPRsForWavesPerEU: 1
; NumVGPRsForWavesPerEU: 1
; NamedBarCnt: 0
; Occupancy: 16
; WaveLimiterHint : 0
; COMPUTE_PGM_RSRC2:SCRATCH_EN: 0
; COMPUTE_PGM_RSRC2:USER_SGPR: 2
; COMPUTE_PGM_RSRC2:TRAP_HANDLER: 0
; COMPUTE_PGM_RSRC2:TGID_X_EN: 1
; COMPUTE_PGM_RSRC2:TGID_Y_EN: 0
; COMPUTE_PGM_RSRC2:TGID_Z_EN: 0
; COMPUTE_PGM_RSRC2:TIDIG_COMP_CNT: 0
	.section	.text._ZN7rocprim17ROCPRIM_400000_NS6detail17trampoline_kernelINS0_14default_configENS1_32segmented_reduce_config_selectorIfEEZNS1_21segmented_reduce_implIS3_PKfPfPKifN6hipcub16HIPCUB_304000_NS6detail27convert_result_type_wrapperIS8_S9_N2at6native12_GLOBAL__N_110CustomProdEEEEE10hipError_tPvRmT0_T1_jT2_SQ_T4_T3_P12ihipStream_tbEUlT_E_NS1_11comp_targetILNS1_3genE0ELNS1_11target_archE4294967295ELNS1_3gpuE0ELNS1_3repE0EEENS1_30default_config_static_selectorELNS0_4arch9wavefront6targetE0EEEvSP_,"axG",@progbits,_ZN7rocprim17ROCPRIM_400000_NS6detail17trampoline_kernelINS0_14default_configENS1_32segmented_reduce_config_selectorIfEEZNS1_21segmented_reduce_implIS3_PKfPfPKifN6hipcub16HIPCUB_304000_NS6detail27convert_result_type_wrapperIS8_S9_N2at6native12_GLOBAL__N_110CustomProdEEEEE10hipError_tPvRmT0_T1_jT2_SQ_T4_T3_P12ihipStream_tbEUlT_E_NS1_11comp_targetILNS1_3genE0ELNS1_11target_archE4294967295ELNS1_3gpuE0ELNS1_3repE0EEENS1_30default_config_static_selectorELNS0_4arch9wavefront6targetE0EEEvSP_,comdat
	.globl	_ZN7rocprim17ROCPRIM_400000_NS6detail17trampoline_kernelINS0_14default_configENS1_32segmented_reduce_config_selectorIfEEZNS1_21segmented_reduce_implIS3_PKfPfPKifN6hipcub16HIPCUB_304000_NS6detail27convert_result_type_wrapperIS8_S9_N2at6native12_GLOBAL__N_110CustomProdEEEEE10hipError_tPvRmT0_T1_jT2_SQ_T4_T3_P12ihipStream_tbEUlT_E_NS1_11comp_targetILNS1_3genE0ELNS1_11target_archE4294967295ELNS1_3gpuE0ELNS1_3repE0EEENS1_30default_config_static_selectorELNS0_4arch9wavefront6targetE0EEEvSP_ ; -- Begin function _ZN7rocprim17ROCPRIM_400000_NS6detail17trampoline_kernelINS0_14default_configENS1_32segmented_reduce_config_selectorIfEEZNS1_21segmented_reduce_implIS3_PKfPfPKifN6hipcub16HIPCUB_304000_NS6detail27convert_result_type_wrapperIS8_S9_N2at6native12_GLOBAL__N_110CustomProdEEEEE10hipError_tPvRmT0_T1_jT2_SQ_T4_T3_P12ihipStream_tbEUlT_E_NS1_11comp_targetILNS1_3genE0ELNS1_11target_archE4294967295ELNS1_3gpuE0ELNS1_3repE0EEENS1_30default_config_static_selectorELNS0_4arch9wavefront6targetE0EEEvSP_
	.p2align	8
	.type	_ZN7rocprim17ROCPRIM_400000_NS6detail17trampoline_kernelINS0_14default_configENS1_32segmented_reduce_config_selectorIfEEZNS1_21segmented_reduce_implIS3_PKfPfPKifN6hipcub16HIPCUB_304000_NS6detail27convert_result_type_wrapperIS8_S9_N2at6native12_GLOBAL__N_110CustomProdEEEEE10hipError_tPvRmT0_T1_jT2_SQ_T4_T3_P12ihipStream_tbEUlT_E_NS1_11comp_targetILNS1_3genE0ELNS1_11target_archE4294967295ELNS1_3gpuE0ELNS1_3repE0EEENS1_30default_config_static_selectorELNS0_4arch9wavefront6targetE0EEEvSP_,@function
_ZN7rocprim17ROCPRIM_400000_NS6detail17trampoline_kernelINS0_14default_configENS1_32segmented_reduce_config_selectorIfEEZNS1_21segmented_reduce_implIS3_PKfPfPKifN6hipcub16HIPCUB_304000_NS6detail27convert_result_type_wrapperIS8_S9_N2at6native12_GLOBAL__N_110CustomProdEEEEE10hipError_tPvRmT0_T1_jT2_SQ_T4_T3_P12ihipStream_tbEUlT_E_NS1_11comp_targetILNS1_3genE0ELNS1_11target_archE4294967295ELNS1_3gpuE0ELNS1_3repE0EEENS1_30default_config_static_selectorELNS0_4arch9wavefront6targetE0EEEvSP_: ; @_ZN7rocprim17ROCPRIM_400000_NS6detail17trampoline_kernelINS0_14default_configENS1_32segmented_reduce_config_selectorIfEEZNS1_21segmented_reduce_implIS3_PKfPfPKifN6hipcub16HIPCUB_304000_NS6detail27convert_result_type_wrapperIS8_S9_N2at6native12_GLOBAL__N_110CustomProdEEEEE10hipError_tPvRmT0_T1_jT2_SQ_T4_T3_P12ihipStream_tbEUlT_E_NS1_11comp_targetILNS1_3genE0ELNS1_11target_archE4294967295ELNS1_3gpuE0ELNS1_3repE0EEENS1_30default_config_static_selectorELNS0_4arch9wavefront6targetE0EEEvSP_
; %bb.0:
	s_clause 0x1
	s_load_b256 s[16:23], s[0:1], 0x0
	s_load_b64 s[2:3], s[0:1], 0x20
	s_bfe_u32 s4, ttmp6, 0x4000c
	s_and_b32 s5, ttmp6, 15
	s_add_co_i32 s4, s4, 1
	s_getreg_b32 s6, hwreg(HW_REG_IB_STS2, 6, 4)
	s_mul_i32 s4, ttmp9, s4
	s_load_b32 s15, s[0:1], 0x2c
	s_add_co_i32 s5, s5, s4
	s_mov_b32 s28, 0
	v_cmp_eq_u32_e32 vcc_lo, 0, v0
	s_wait_kmcnt 0x0
	s_lshl_b64 s[24:25], s[20:21], 2
	s_cmp_eq_u32 s6, 0
	s_add_nc_u64 s[0:1], s[22:23], s[24:25]
	s_cselect_b32 s20, ttmp9, s5
	s_add_nc_u64 s[2:3], s[2:3], s[24:25]
	s_load_b32 s22, s[0:1], s20 offset:0x0 scale_offset
	s_load_b32 s29, s[2:3], s20 offset:0x0 scale_offset
	s_mov_b32 s21, 0
	s_wait_xcnt 0x0
	s_mov_b32 s0, -1
	s_wait_kmcnt 0x0
	s_cmp_gt_i32 s29, s22
	s_cbranch_scc1 .LBB68_2
; %bb.1:
	s_mov_b32 s0, 0
	s_and_b32 s28, vcc_lo, exec_lo
.LBB68_2:
	s_and_not1_b32 vcc_lo, exec_lo, s0
	s_cbranch_vccnz .LBB68_44
; %bb.3:
	s_add_co_i32 s0, s22, 0x1000
	s_delay_alu instid0(SALU_CYCLE_1)
	s_cmp_le_i32 s0, s29
	s_cbranch_scc0 .LBB68_45
; %bb.4:
	s_ashr_i32 s23, s22, 31
	s_add_co_i32 s1, s22, 0x2000
	s_lshl_b64 s[2:3], s[22:23], 2
	s_cmp_ge_i32 s1, s29
	s_add_nc_u64 s[2:3], s[16:17], s[2:3]
	s_clause 0x7
	global_load_b32 v8, v0, s[2:3] scale_offset
	global_load_b32 v1, v0, s[2:3] offset:1024 scale_offset
	global_load_b32 v2, v0, s[2:3] offset:2048 scale_offset
	;; [unrolled: 1-line block ×7, first 2 shown]
	s_wait_loadcnt 0x6
	v_mul_f32_e32 v9, v8, v1
	s_wait_loadcnt 0x5
	s_delay_alu instid0(VALU_DEP_1) | instskip(SKIP_1) | instid1(VALU_DEP_1)
	v_mul_f32_e32 v9, v9, v2
	s_wait_loadcnt 0x4
	v_mul_f32_e32 v9, v9, v3
	s_wait_loadcnt 0x3
	s_delay_alu instid0(VALU_DEP_1) | instskip(SKIP_1) | instid1(VALU_DEP_1)
	v_mul_f32_e32 v9, v9, v4
	;; [unrolled: 5-line block ×3, first 2 shown]
	s_wait_loadcnt 0x0
	v_mul_f32_e32 v17, v9, v7
	s_clause 0x7
	global_load_b32 v16, v0, s[2:3] offset:8192 scale_offset
	global_load_b32 v9, v0, s[2:3] offset:9216 scale_offset
	global_load_b32 v10, v0, s[2:3] offset:10240 scale_offset
	global_load_b32 v11, v0, s[2:3] offset:11264 scale_offset
	global_load_b32 v12, v0, s[2:3] offset:12288 scale_offset
	global_load_b32 v13, v0, s[2:3] offset:13312 scale_offset
	global_load_b32 v14, v0, s[2:3] offset:14336 scale_offset
	global_load_b32 v15, v0, s[2:3] offset:15360 scale_offset
	s_wait_loadcnt 0x7
	v_mul_f32_e32 v17, v17, v16
	s_wait_loadcnt 0x6
	s_delay_alu instid0(VALU_DEP_1) | instskip(SKIP_1) | instid1(VALU_DEP_1)
	v_mul_f32_e32 v17, v17, v9
	s_wait_loadcnt 0x5
	v_mul_f32_e32 v17, v17, v10
	s_wait_loadcnt 0x4
	s_delay_alu instid0(VALU_DEP_1) | instskip(SKIP_1) | instid1(VALU_DEP_1)
	v_mul_f32_e32 v17, v17, v11
	;; [unrolled: 5-line block ×3, first 2 shown]
	s_wait_loadcnt 0x1
	v_mul_f32_e32 v17, v17, v14
	s_wait_loadcnt 0x0
	s_delay_alu instid0(VALU_DEP_1)
	v_dual_mul_f32 v20, v17, v15 :: v_dual_mov_b32 v17, 0
	s_cbranch_scc1 .LBB68_7
; %bb.5:
	v_lshlrev_b32_e32 v16, 2, v0
	s_delay_alu instid0(VALU_DEP_1)
	v_add_nc_u64_e32 v[18:19], s[16:17], v[16:17]
.LBB68_6:                               ; =>This Inner Loop Header: Depth=1
	s_ashr_i32 s1, s0, 31
	s_delay_alu instid0(VALU_DEP_1) | instid1(SALU_CYCLE_1)
	v_lshl_add_u64 v[22:23], s[0:1], 2, v[18:19]
	s_add_co_i32 s1, s0, 0x2000
	s_addk_co_i32 s0, 0x1000
	s_cmp_lt_i32 s1, s29
	s_clause 0x7
	global_load_b32 v8, v[22:23], off
	global_load_b32 v1, v[22:23], off offset:1024
	global_load_b32 v2, v[22:23], off offset:2048
	global_load_b32 v3, v[22:23], off offset:3072
	global_load_b32 v4, v[22:23], off offset:4096
	global_load_b32 v5, v[22:23], off offset:5120
	global_load_b32 v6, v[22:23], off offset:6144
	global_load_b32 v7, v[22:23], off offset:7168
	s_wait_loadcnt 0x7
	v_mul_f32_e32 v9, v20, v8
	s_wait_loadcnt 0x6
	s_delay_alu instid0(VALU_DEP_1) | instskip(SKIP_1) | instid1(VALU_DEP_1)
	v_mul_f32_e32 v9, v9, v1
	s_wait_loadcnt 0x5
	v_mul_f32_e32 v9, v9, v2
	s_wait_loadcnt 0x4
	s_delay_alu instid0(VALU_DEP_1) | instskip(SKIP_1) | instid1(VALU_DEP_1)
	v_mul_f32_e32 v9, v9, v3
	s_wait_loadcnt 0x3
	v_mul_f32_e32 v9, v9, v4
	s_wait_loadcnt 0x2
	s_delay_alu instid0(VALU_DEP_1) | instskip(SKIP_1) | instid1(VALU_DEP_1)
	v_mul_f32_e32 v9, v9, v5
	s_wait_loadcnt 0x1
	v_mul_f32_e32 v9, v9, v6
	s_wait_loadcnt 0x0
	s_delay_alu instid0(VALU_DEP_1)
	v_mul_f32_e32 v17, v9, v7
	s_clause 0x7
	global_load_b32 v16, v[22:23], off offset:8192
	global_load_b32 v9, v[22:23], off offset:9216
	;; [unrolled: 1-line block ×8, first 2 shown]
	s_wait_loadcnt 0x7
	v_mul_f32_e32 v17, v17, v16
	s_wait_loadcnt 0x6
	s_delay_alu instid0(VALU_DEP_1) | instskip(SKIP_1) | instid1(VALU_DEP_1)
	v_mul_f32_e32 v17, v17, v9
	s_wait_loadcnt 0x5
	v_mul_f32_e32 v17, v17, v10
	s_wait_loadcnt 0x4
	s_delay_alu instid0(VALU_DEP_1) | instskip(SKIP_1) | instid1(VALU_DEP_1)
	v_mul_f32_e32 v17, v17, v11
	;; [unrolled: 5-line block ×3, first 2 shown]
	s_wait_loadcnt 0x1
	v_mul_f32_e32 v17, v17, v14
	s_wait_loadcnt 0x0
	s_delay_alu instid0(VALU_DEP_1)
	v_mul_f32_e32 v20, v17, v15
	s_cbranch_scc1 .LBB68_6
.LBB68_7:
	s_sub_co_i32 s14, s29, s0
	s_ashr_i32 s1, s0, 31
	v_cmp_gt_u32_e32 vcc_lo, s14, v0
	s_lshl_b64 s[0:1], s[0:1], 2
	s_delay_alu instid0(SALU_CYCLE_1)
	s_add_nc_u64 s[26:27], s[16:17], s[0:1]
	s_and_saveexec_b32 s0, vcc_lo
	s_cbranch_execz .LBB68_9
; %bb.8:
	global_load_b32 v8, v0, s[26:27] scale_offset
.LBB68_9:
	s_wait_xcnt 0x0
	s_or_b32 exec_lo, exec_lo, s0
	v_or_b32_e32 v17, 0x100, v0
	s_delay_alu instid0(VALU_DEP_1)
	v_cmp_gt_u32_e64 s0, s14, v17
	s_and_saveexec_b32 s1, s0
	s_cbranch_execz .LBB68_11
; %bb.10:
	global_load_b32 v1, v0, s[26:27] offset:1024 scale_offset
.LBB68_11:
	s_wait_xcnt 0x0
	s_or_b32 exec_lo, exec_lo, s1
	v_or_b32_e32 v17, 0x200, v0
	s_delay_alu instid0(VALU_DEP_1)
	v_cmp_gt_u32_e64 s1, s14, v17
	s_and_saveexec_b32 s2, s1
	s_cbranch_execz .LBB68_13
; %bb.12:
	global_load_b32 v2, v0, s[26:27] offset:2048 scale_offset
.LBB68_13:
	;; [unrolled: 10-line block ×15, first 2 shown]
	s_wait_xcnt 0x0
	s_or_b32 exec_lo, exec_lo, s23
	s_wait_loadcnt 0x0
	v_mul_f32_e32 v8, v20, v8
	s_delay_alu instid0(VALU_DEP_1) | instskip(NEXT) | instid1(VALU_DEP_1)
	v_cndmask_b32_e32 v8, v20, v8, vcc_lo
	v_mul_f32_e32 v1, v1, v8
	s_delay_alu instid0(VALU_DEP_1) | instskip(SKIP_1) | instid1(VALU_DEP_1)
	v_cndmask_b32_e64 v1, v8, v1, s0
	s_mov_b32 s0, exec_lo
	v_mul_f32_e32 v2, v2, v1
	s_delay_alu instid0(VALU_DEP_1) | instskip(NEXT) | instid1(VALU_DEP_1)
	v_cndmask_b32_e64 v1, v1, v2, s1
	v_mul_f32_e32 v2, v3, v1
	s_delay_alu instid0(VALU_DEP_1) | instskip(NEXT) | instid1(VALU_DEP_1)
	v_cndmask_b32_e64 v1, v1, v2, s2
	;; [unrolled: 3-line block ×14, first 2 shown]
	v_mov_b32_dpp v2, v1 quad_perm:[1,0,3,2] row_mask:0xf bank_mask:0xf
	s_delay_alu instid0(VALU_DEP_1) | instskip(NEXT) | instid1(VALU_DEP_1)
	v_mul_f32_e32 v1, v1, v2
	v_mov_b32_dpp v2, v1 quad_perm:[2,3,0,1] row_mask:0xf bank_mask:0xf
	s_delay_alu instid0(VALU_DEP_1) | instskip(NEXT) | instid1(VALU_DEP_1)
	v_mul_f32_e32 v1, v1, v2
	v_mov_b32_dpp v2, v1 row_ror:4 row_mask:0xf bank_mask:0xf
	s_delay_alu instid0(VALU_DEP_1) | instskip(NEXT) | instid1(VALU_DEP_1)
	v_mul_f32_e32 v1, v1, v2
	v_mov_b32_dpp v2, v1 row_ror:8 row_mask:0xf bank_mask:0xf
	s_delay_alu instid0(VALU_DEP_1)
	v_mul_f32_e32 v1, v1, v2
	ds_swizzle_b32 v2, v1 offset:swizzle(BROADCAST,32,15)
	s_wait_dscnt 0x0
	v_dual_mul_f32 v1, v1, v2 :: v_dual_mov_b32 v2, 0
	ds_bpermute_b32 v3, v2, v1 offset:124
	v_mbcnt_lo_u32_b32 v1, -1, 0
	s_delay_alu instid0(VALU_DEP_1)
	v_cmpx_eq_u32_e32 0, v1
	s_cbranch_execz .LBB68_41
; %bb.40:
	v_lshrrev_b32_e32 v2, 3, v0
	s_delay_alu instid0(VALU_DEP_1)
	v_and_b32_e32 v2, 28, v2
	s_wait_dscnt 0x0
	ds_store_b32 v2, v3
.LBB68_41:
	s_or_b32 exec_lo, exec_lo, s0
	s_delay_alu instid0(SALU_CYCLE_1)
	s_mov_b32 s0, exec_lo
	s_wait_dscnt 0x0
	s_barrier_signal -1
	s_barrier_wait -1
	v_cmpx_gt_u32_e32 32, v0
	s_cbranch_execz .LBB68_43
; %bb.42:
	v_and_b32_e32 v2, 7, v1
	s_delay_alu instid0(VALU_DEP_1) | instskip(SKIP_1) | instid1(VALU_DEP_1)
	v_cmp_ne_u32_e32 vcc_lo, 7, v2
	v_add_co_ci_u32_e64 v4, null, 0, v1, vcc_lo
	v_lshlrev_b32_e32 v4, 2, v4
	v_cmp_gt_u32_e32 vcc_lo, 6, v2
	v_lshlrev_b32_e32 v3, 2, v2
	v_cndmask_b32_e64 v2, 0, 2, vcc_lo
	s_delay_alu instid0(VALU_DEP_1)
	v_add_lshl_u32 v2, v2, v1, 2
	v_lshlrev_b32_e32 v1, 2, v1
	ds_load_b32 v3, v3
	v_or_b32_e32 v1, 16, v1
	s_wait_dscnt 0x0
	ds_bpermute_b32 v4, v4, v3
	s_wait_dscnt 0x0
	v_mul_f32_e32 v3, v3, v4
	ds_bpermute_b32 v2, v2, v3
	s_wait_dscnt 0x0
	v_mul_f32_e32 v2, v3, v2
	ds_bpermute_b32 v1, v1, v2
	s_wait_dscnt 0x0
	v_mul_f32_e32 v3, v2, v1
.LBB68_43:
	s_or_b32 exec_lo, exec_lo, s0
	s_branch .LBB68_64
.LBB68_44:
	v_mov_b32_e32 v1, s15
	s_and_saveexec_b32 s0, s28
	s_cbranch_execnz .LBB68_67
	s_branch .LBB68_68
.LBB68_45:
                                        ; implicit-def: $vgpr3
	s_cbranch_execz .LBB68_64
; %bb.46:
	s_sub_co_i32 s2, s29, s22
	s_mov_b32 s0, exec_lo
                                        ; implicit-def: $vgpr2
	v_cmpx_gt_u32_e64 s2, v0
	s_cbranch_execz .LBB68_52
; %bb.47:
	v_add_nc_u32_e32 v1, s22, v0
	s_mov_b32 s1, exec_lo
	global_load_b32 v2, v1, s[16:17] scale_offset
	s_wait_xcnt 0x0
	v_add_nc_u32_e32 v1, 0x100, v1
	s_delay_alu instid0(VALU_DEP_1)
	v_cmpx_gt_i32_e64 s29, v1
	s_cbranch_execz .LBB68_51
; %bb.48:
	s_mov_b32 s3, 0
.LBB68_49:                              ; =>This Inner Loop Header: Depth=1
	global_load_b32 v3, v1, s[16:17] scale_offset
	s_wait_loadcnt 0x0
	v_dual_mul_f32 v2, v2, v3 :: v_dual_add_nc_u32 v1, 0x100, v1
	s_delay_alu instid0(VALU_DEP_1) | instskip(SKIP_1) | instid1(SALU_CYCLE_1)
	v_cmp_le_i32_e32 vcc_lo, s29, v1
	s_or_b32 s3, vcc_lo, s3
	s_and_not1_b32 exec_lo, exec_lo, s3
	s_cbranch_execnz .LBB68_49
; %bb.50:
	s_or_b32 exec_lo, exec_lo, s3
.LBB68_51:
	s_delay_alu instid0(SALU_CYCLE_1)
	s_or_b32 exec_lo, exec_lo, s1
.LBB68_52:
	s_delay_alu instid0(SALU_CYCLE_1) | instskip(SKIP_3) | instid1(VALU_DEP_1)
	s_or_b32 exec_lo, exec_lo, s0
	v_mbcnt_lo_u32_b32 v1, -1, 0
	s_cmp_lt_u32 s2, 0x100
	s_mov_b32 s0, -1
                                        ; implicit-def: $vgpr3
	v_cmp_eq_u32_e32 vcc_lo, 0, v1
	s_cbranch_scc0 .LBB68_58
; %bb.53:
	v_cmp_ne_u32_e64 s0, 31, v1
	v_and_b32_e32 v4, 0xe0, v0
	v_cmp_gt_u32_e64 s1, 28, v1
	v_add_nc_u32_e32 v5, 1, v1
	s_delay_alu instid0(VALU_DEP_4) | instskip(SKIP_2) | instid1(VALU_DEP_3)
	v_add_co_ci_u32_e64 v3, null, 0, v1, s0
	v_cmp_gt_u32_e64 s0, 30, v1
	v_sub_nc_u32_e64 v7, s2, v4 clamp
	v_lshlrev_b32_e32 v3, 2, v3
	s_delay_alu instid0(VALU_DEP_3) | instskip(NEXT) | instid1(VALU_DEP_3)
	v_cndmask_b32_e64 v6, 0, 2, s0
	v_cmp_lt_u32_e64 s0, v5, v7
	v_cndmask_b32_e64 v5, 0, 4, s1
	s_wait_loadcnt 0x0
	ds_bpermute_b32 v3, v3, v2
	v_add_lshl_u32 v4, v6, v1, 2
	v_add_nc_u32_e32 v6, 2, v1
	v_add_lshl_u32 v5, v5, v1, 2
	s_delay_alu instid0(VALU_DEP_2) | instskip(SKIP_2) | instid1(VALU_DEP_1)
	v_cmp_lt_u32_e64 s1, v6, v7
	s_wait_dscnt 0x0
	v_dual_mul_f32 v3, v2, v3 :: v_dual_add_nc_u32 v6, 4, v1
	v_cndmask_b32_e64 v3, v2, v3, s0
	ds_bpermute_b32 v4, v4, v3
	s_wait_dscnt 0x0
	v_mul_f32_e32 v4, v3, v4
	s_delay_alu instid0(VALU_DEP_1) | instskip(SKIP_4) | instid1(VALU_DEP_2)
	v_cndmask_b32_e64 v3, v3, v4, s1
	v_cmp_gt_u32_e64 s1, 24, v1
	ds_bpermute_b32 v4, v5, v3
	v_cndmask_b32_e64 v5, 0, 8, s1
	v_cmp_lt_u32_e64 s1, v6, v7
	v_add_lshl_u32 v5, v5, v1, 2
	s_wait_dscnt 0x0
	v_mul_f32_e32 v4, v3, v4
	s_delay_alu instid0(VALU_DEP_1) | instskip(SKIP_2) | instid1(VALU_DEP_1)
	v_cndmask_b32_e64 v3, v3, v4, s1
	ds_bpermute_b32 v4, v5, v3
	v_add_nc_u32_e32 v5, 8, v1
	v_cmp_lt_u32_e64 s1, v5, v7
	s_wait_dscnt 0x0
	v_dual_mul_f32 v6, v3, v4 :: v_dual_lshlrev_b32 v4, 2, v1
	s_delay_alu instid0(VALU_DEP_1)
	v_dual_cndmask_b32 v3, v3, v6, s1 :: v_dual_bitop2_b32 v5, 64, v4 bitop3:0x54
	v_add_nc_u32_e32 v6, 16, v1
	ds_bpermute_b32 v5, v5, v3
	v_cmp_lt_u32_e64 s1, v6, v7
	s_wait_dscnt 0x0
	v_mul_f32_e32 v5, v3, v5
	s_delay_alu instid0(VALU_DEP_1) | instskip(NEXT) | instid1(VALU_DEP_1)
	v_cndmask_b32_e64 v3, v3, v5, s1
	v_cndmask_b32_e64 v3, v2, v3, s0
	s_and_saveexec_b32 s0, vcc_lo
; %bb.54:
	v_lshrrev_b32_e32 v5, 3, v0
	s_delay_alu instid0(VALU_DEP_1)
	v_and_b32_e32 v5, 28, v5
	ds_store_b32 v5, v3
; %bb.55:
	s_or_b32 exec_lo, exec_lo, s0
	s_delay_alu instid0(SALU_CYCLE_1)
	s_mov_b32 s1, exec_lo
	s_wait_dscnt 0x0
	s_barrier_signal -1
	s_barrier_wait -1
	v_cmpx_gt_u32_e32 8, v0
	s_cbranch_execz .LBB68_57
; %bb.56:
	ds_load_b32 v3, v4
	v_and_b32_e32 v5, 7, v1
	s_add_co_i32 s2, s2, 31
	v_or_b32_e32 v4, 16, v4
	s_lshr_b32 s2, s2, 5
	s_delay_alu instid0(VALU_DEP_2) | instskip(SKIP_1) | instid1(VALU_DEP_1)
	v_cmp_ne_u32_e32 vcc_lo, 7, v5
	v_add_co_ci_u32_e64 v6, null, 0, v1, vcc_lo
	v_lshlrev_b32_e32 v6, 2, v6
	v_cmp_gt_u32_e32 vcc_lo, 6, v5
	s_wait_dscnt 0x0
	ds_bpermute_b32 v6, v6, v3
	v_add_nc_u32_e32 v8, 1, v5
	v_cndmask_b32_e64 v7, 0, 2, vcc_lo
	s_delay_alu instid0(VALU_DEP_1) | instskip(SKIP_4) | instid1(VALU_DEP_3)
	v_add_lshl_u32 v7, v7, v1, 2
	s_wait_dscnt 0x0
	v_mul_f32_e32 v6, v3, v6
	v_cmp_gt_u32_e32 vcc_lo, s2, v8
	v_dual_add_nc_u32 v8, 2, v5 :: v_dual_add_nc_u32 v5, 4, v5
	v_cndmask_b32_e32 v6, v3, v6, vcc_lo
	s_delay_alu instid0(VALU_DEP_2) | instskip(SKIP_3) | instid1(VALU_DEP_1)
	v_cmp_gt_u32_e64 s0, s2, v8
	ds_bpermute_b32 v7, v7, v6
	s_wait_dscnt 0x0
	v_mul_f32_e32 v7, v6, v7
	v_cndmask_b32_e64 v6, v6, v7, s0
	v_cmp_gt_u32_e64 s0, s2, v5
	ds_bpermute_b32 v4, v4, v6
	s_wait_dscnt 0x0
	v_mul_f32_e32 v4, v6, v4
	s_delay_alu instid0(VALU_DEP_1) | instskip(NEXT) | instid1(VALU_DEP_1)
	v_cndmask_b32_e64 v4, v6, v4, s0
	v_cndmask_b32_e32 v3, v3, v4, vcc_lo
.LBB68_57:
	s_or_b32 exec_lo, exec_lo, s1
	s_mov_b32 s0, 0
.LBB68_58:
	s_delay_alu instid0(SALU_CYCLE_1)
	s_and_b32 vcc_lo, exec_lo, s0
	s_cbranch_vccz .LBB68_64
; %bb.59:
	s_wait_loadcnt 0x0
	v_mov_b32_dpp v3, v2 quad_perm:[1,0,3,2] row_mask:0xf bank_mask:0xf
	s_mov_b32 s0, exec_lo
	s_delay_alu instid0(VALU_DEP_1) | instskip(NEXT) | instid1(VALU_DEP_1)
	v_mul_f32_e32 v2, v2, v3
	v_mov_b32_dpp v3, v2 quad_perm:[2,3,0,1] row_mask:0xf bank_mask:0xf
	s_delay_alu instid0(VALU_DEP_1) | instskip(NEXT) | instid1(VALU_DEP_1)
	v_mul_f32_e32 v2, v2, v3
	v_mov_b32_dpp v3, v2 row_ror:4 row_mask:0xf bank_mask:0xf
	s_delay_alu instid0(VALU_DEP_1) | instskip(NEXT) | instid1(VALU_DEP_1)
	v_mul_f32_e32 v2, v2, v3
	v_mov_b32_dpp v3, v2 row_ror:8 row_mask:0xf bank_mask:0xf
	s_delay_alu instid0(VALU_DEP_1)
	v_mul_f32_e32 v2, v2, v3
	ds_swizzle_b32 v3, v2 offset:swizzle(BROADCAST,32,15)
	s_wait_dscnt 0x0
	v_dual_mul_f32 v2, v2, v3 :: v_dual_mov_b32 v3, 0
	ds_bpermute_b32 v3, v3, v2 offset:124
	v_cmpx_eq_u32_e32 0, v1
	s_cbranch_execz .LBB68_61
; %bb.60:
	v_lshrrev_b32_e32 v2, 3, v0
	s_delay_alu instid0(VALU_DEP_1)
	v_and_b32_e32 v2, 28, v2
	s_wait_dscnt 0x0
	ds_store_b32 v2, v3
.LBB68_61:
	s_or_b32 exec_lo, exec_lo, s0
	s_delay_alu instid0(SALU_CYCLE_1)
	s_mov_b32 s0, exec_lo
	s_wait_dscnt 0x0
	s_barrier_signal -1
	s_barrier_wait -1
	v_cmpx_gt_u32_e32 32, v0
	s_cbranch_execz .LBB68_63
; %bb.62:
	v_and_b32_e32 v2, 7, v1
	s_delay_alu instid0(VALU_DEP_1) | instskip(SKIP_1) | instid1(VALU_DEP_1)
	v_cmp_ne_u32_e32 vcc_lo, 7, v2
	v_add_co_ci_u32_e64 v4, null, 0, v1, vcc_lo
	v_lshlrev_b32_e32 v4, 2, v4
	v_cmp_gt_u32_e32 vcc_lo, 6, v2
	v_lshlrev_b32_e32 v3, 2, v2
	v_cndmask_b32_e64 v2, 0, 2, vcc_lo
	s_delay_alu instid0(VALU_DEP_1)
	v_add_lshl_u32 v2, v2, v1, 2
	v_lshlrev_b32_e32 v1, 2, v1
	ds_load_b32 v3, v3
	v_or_b32_e32 v1, 16, v1
	s_wait_dscnt 0x0
	ds_bpermute_b32 v4, v4, v3
	s_wait_dscnt 0x0
	v_mul_f32_e32 v3, v3, v4
	ds_bpermute_b32 v2, v2, v3
	s_wait_dscnt 0x0
	v_mul_f32_e32 v2, v3, v2
	;; [unrolled: 3-line block ×3, first 2 shown]
.LBB68_63:
	s_or_b32 exec_lo, exec_lo, s0
.LBB68_64:
	s_delay_alu instid0(SALU_CYCLE_1)
	s_mov_b32 s0, exec_lo
                                        ; implicit-def: $vgpr1
	v_cmpx_eq_u32_e32 0, v0
; %bb.65:
	s_delay_alu instid0(VALU_DEP_2)
	v_mul_f32_e32 v1, s15, v3
	s_or_b32 s28, s28, exec_lo
; %bb.66:
	s_or_b32 exec_lo, exec_lo, s0
	s_and_saveexec_b32 s0, s28
	s_cbranch_execz .LBB68_68
.LBB68_67:
	v_mov_b32_e32 v0, 0
	s_add_nc_u64 s[0:1], s[18:19], s[24:25]
	s_lshl_b64 s[2:3], s[20:21], 2
	s_delay_alu instid0(SALU_CYCLE_1)
	s_add_nc_u64 s[0:1], s[0:1], s[2:3]
	global_store_b32 v0, v1, s[0:1]
.LBB68_68:
	s_endpgm
	.section	.rodata,"a",@progbits
	.p2align	6, 0x0
	.amdhsa_kernel _ZN7rocprim17ROCPRIM_400000_NS6detail17trampoline_kernelINS0_14default_configENS1_32segmented_reduce_config_selectorIfEEZNS1_21segmented_reduce_implIS3_PKfPfPKifN6hipcub16HIPCUB_304000_NS6detail27convert_result_type_wrapperIS8_S9_N2at6native12_GLOBAL__N_110CustomProdEEEEE10hipError_tPvRmT0_T1_jT2_SQ_T4_T3_P12ihipStream_tbEUlT_E_NS1_11comp_targetILNS1_3genE0ELNS1_11target_archE4294967295ELNS1_3gpuE0ELNS1_3repE0EEENS1_30default_config_static_selectorELNS0_4arch9wavefront6targetE0EEEvSP_
		.amdhsa_group_segment_fixed_size 32
		.amdhsa_private_segment_fixed_size 0
		.amdhsa_kernarg_size 48
		.amdhsa_user_sgpr_count 2
		.amdhsa_user_sgpr_dispatch_ptr 0
		.amdhsa_user_sgpr_queue_ptr 0
		.amdhsa_user_sgpr_kernarg_segment_ptr 1
		.amdhsa_user_sgpr_dispatch_id 0
		.amdhsa_user_sgpr_kernarg_preload_length 0
		.amdhsa_user_sgpr_kernarg_preload_offset 0
		.amdhsa_user_sgpr_private_segment_size 0
		.amdhsa_wavefront_size32 1
		.amdhsa_uses_dynamic_stack 0
		.amdhsa_enable_private_segment 0
		.amdhsa_system_sgpr_workgroup_id_x 1
		.amdhsa_system_sgpr_workgroup_id_y 0
		.amdhsa_system_sgpr_workgroup_id_z 0
		.amdhsa_system_sgpr_workgroup_info 0
		.amdhsa_system_vgpr_workitem_id 0
		.amdhsa_next_free_vgpr 24
		.amdhsa_next_free_sgpr 30
		.amdhsa_named_barrier_count 0
		.amdhsa_reserve_vcc 1
		.amdhsa_float_round_mode_32 0
		.amdhsa_float_round_mode_16_64 0
		.amdhsa_float_denorm_mode_32 3
		.amdhsa_float_denorm_mode_16_64 3
		.amdhsa_fp16_overflow 0
		.amdhsa_memory_ordered 1
		.amdhsa_forward_progress 1
		.amdhsa_inst_pref_size 27
		.amdhsa_round_robin_scheduling 0
		.amdhsa_exception_fp_ieee_invalid_op 0
		.amdhsa_exception_fp_denorm_src 0
		.amdhsa_exception_fp_ieee_div_zero 0
		.amdhsa_exception_fp_ieee_overflow 0
		.amdhsa_exception_fp_ieee_underflow 0
		.amdhsa_exception_fp_ieee_inexact 0
		.amdhsa_exception_int_div_zero 0
	.end_amdhsa_kernel
	.section	.text._ZN7rocprim17ROCPRIM_400000_NS6detail17trampoline_kernelINS0_14default_configENS1_32segmented_reduce_config_selectorIfEEZNS1_21segmented_reduce_implIS3_PKfPfPKifN6hipcub16HIPCUB_304000_NS6detail27convert_result_type_wrapperIS8_S9_N2at6native12_GLOBAL__N_110CustomProdEEEEE10hipError_tPvRmT0_T1_jT2_SQ_T4_T3_P12ihipStream_tbEUlT_E_NS1_11comp_targetILNS1_3genE0ELNS1_11target_archE4294967295ELNS1_3gpuE0ELNS1_3repE0EEENS1_30default_config_static_selectorELNS0_4arch9wavefront6targetE0EEEvSP_,"axG",@progbits,_ZN7rocprim17ROCPRIM_400000_NS6detail17trampoline_kernelINS0_14default_configENS1_32segmented_reduce_config_selectorIfEEZNS1_21segmented_reduce_implIS3_PKfPfPKifN6hipcub16HIPCUB_304000_NS6detail27convert_result_type_wrapperIS8_S9_N2at6native12_GLOBAL__N_110CustomProdEEEEE10hipError_tPvRmT0_T1_jT2_SQ_T4_T3_P12ihipStream_tbEUlT_E_NS1_11comp_targetILNS1_3genE0ELNS1_11target_archE4294967295ELNS1_3gpuE0ELNS1_3repE0EEENS1_30default_config_static_selectorELNS0_4arch9wavefront6targetE0EEEvSP_,comdat
.Lfunc_end68:
	.size	_ZN7rocprim17ROCPRIM_400000_NS6detail17trampoline_kernelINS0_14default_configENS1_32segmented_reduce_config_selectorIfEEZNS1_21segmented_reduce_implIS3_PKfPfPKifN6hipcub16HIPCUB_304000_NS6detail27convert_result_type_wrapperIS8_S9_N2at6native12_GLOBAL__N_110CustomProdEEEEE10hipError_tPvRmT0_T1_jT2_SQ_T4_T3_P12ihipStream_tbEUlT_E_NS1_11comp_targetILNS1_3genE0ELNS1_11target_archE4294967295ELNS1_3gpuE0ELNS1_3repE0EEENS1_30default_config_static_selectorELNS0_4arch9wavefront6targetE0EEEvSP_, .Lfunc_end68-_ZN7rocprim17ROCPRIM_400000_NS6detail17trampoline_kernelINS0_14default_configENS1_32segmented_reduce_config_selectorIfEEZNS1_21segmented_reduce_implIS3_PKfPfPKifN6hipcub16HIPCUB_304000_NS6detail27convert_result_type_wrapperIS8_S9_N2at6native12_GLOBAL__N_110CustomProdEEEEE10hipError_tPvRmT0_T1_jT2_SQ_T4_T3_P12ihipStream_tbEUlT_E_NS1_11comp_targetILNS1_3genE0ELNS1_11target_archE4294967295ELNS1_3gpuE0ELNS1_3repE0EEENS1_30default_config_static_selectorELNS0_4arch9wavefront6targetE0EEEvSP_
                                        ; -- End function
	.set _ZN7rocprim17ROCPRIM_400000_NS6detail17trampoline_kernelINS0_14default_configENS1_32segmented_reduce_config_selectorIfEEZNS1_21segmented_reduce_implIS3_PKfPfPKifN6hipcub16HIPCUB_304000_NS6detail27convert_result_type_wrapperIS8_S9_N2at6native12_GLOBAL__N_110CustomProdEEEEE10hipError_tPvRmT0_T1_jT2_SQ_T4_T3_P12ihipStream_tbEUlT_E_NS1_11comp_targetILNS1_3genE0ELNS1_11target_archE4294967295ELNS1_3gpuE0ELNS1_3repE0EEENS1_30default_config_static_selectorELNS0_4arch9wavefront6targetE0EEEvSP_.num_vgpr, 24
	.set _ZN7rocprim17ROCPRIM_400000_NS6detail17trampoline_kernelINS0_14default_configENS1_32segmented_reduce_config_selectorIfEEZNS1_21segmented_reduce_implIS3_PKfPfPKifN6hipcub16HIPCUB_304000_NS6detail27convert_result_type_wrapperIS8_S9_N2at6native12_GLOBAL__N_110CustomProdEEEEE10hipError_tPvRmT0_T1_jT2_SQ_T4_T3_P12ihipStream_tbEUlT_E_NS1_11comp_targetILNS1_3genE0ELNS1_11target_archE4294967295ELNS1_3gpuE0ELNS1_3repE0EEENS1_30default_config_static_selectorELNS0_4arch9wavefront6targetE0EEEvSP_.num_agpr, 0
	.set _ZN7rocprim17ROCPRIM_400000_NS6detail17trampoline_kernelINS0_14default_configENS1_32segmented_reduce_config_selectorIfEEZNS1_21segmented_reduce_implIS3_PKfPfPKifN6hipcub16HIPCUB_304000_NS6detail27convert_result_type_wrapperIS8_S9_N2at6native12_GLOBAL__N_110CustomProdEEEEE10hipError_tPvRmT0_T1_jT2_SQ_T4_T3_P12ihipStream_tbEUlT_E_NS1_11comp_targetILNS1_3genE0ELNS1_11target_archE4294967295ELNS1_3gpuE0ELNS1_3repE0EEENS1_30default_config_static_selectorELNS0_4arch9wavefront6targetE0EEEvSP_.numbered_sgpr, 30
	.set _ZN7rocprim17ROCPRIM_400000_NS6detail17trampoline_kernelINS0_14default_configENS1_32segmented_reduce_config_selectorIfEEZNS1_21segmented_reduce_implIS3_PKfPfPKifN6hipcub16HIPCUB_304000_NS6detail27convert_result_type_wrapperIS8_S9_N2at6native12_GLOBAL__N_110CustomProdEEEEE10hipError_tPvRmT0_T1_jT2_SQ_T4_T3_P12ihipStream_tbEUlT_E_NS1_11comp_targetILNS1_3genE0ELNS1_11target_archE4294967295ELNS1_3gpuE0ELNS1_3repE0EEENS1_30default_config_static_selectorELNS0_4arch9wavefront6targetE0EEEvSP_.num_named_barrier, 0
	.set _ZN7rocprim17ROCPRIM_400000_NS6detail17trampoline_kernelINS0_14default_configENS1_32segmented_reduce_config_selectorIfEEZNS1_21segmented_reduce_implIS3_PKfPfPKifN6hipcub16HIPCUB_304000_NS6detail27convert_result_type_wrapperIS8_S9_N2at6native12_GLOBAL__N_110CustomProdEEEEE10hipError_tPvRmT0_T1_jT2_SQ_T4_T3_P12ihipStream_tbEUlT_E_NS1_11comp_targetILNS1_3genE0ELNS1_11target_archE4294967295ELNS1_3gpuE0ELNS1_3repE0EEENS1_30default_config_static_selectorELNS0_4arch9wavefront6targetE0EEEvSP_.private_seg_size, 0
	.set _ZN7rocprim17ROCPRIM_400000_NS6detail17trampoline_kernelINS0_14default_configENS1_32segmented_reduce_config_selectorIfEEZNS1_21segmented_reduce_implIS3_PKfPfPKifN6hipcub16HIPCUB_304000_NS6detail27convert_result_type_wrapperIS8_S9_N2at6native12_GLOBAL__N_110CustomProdEEEEE10hipError_tPvRmT0_T1_jT2_SQ_T4_T3_P12ihipStream_tbEUlT_E_NS1_11comp_targetILNS1_3genE0ELNS1_11target_archE4294967295ELNS1_3gpuE0ELNS1_3repE0EEENS1_30default_config_static_selectorELNS0_4arch9wavefront6targetE0EEEvSP_.uses_vcc, 1
	.set _ZN7rocprim17ROCPRIM_400000_NS6detail17trampoline_kernelINS0_14default_configENS1_32segmented_reduce_config_selectorIfEEZNS1_21segmented_reduce_implIS3_PKfPfPKifN6hipcub16HIPCUB_304000_NS6detail27convert_result_type_wrapperIS8_S9_N2at6native12_GLOBAL__N_110CustomProdEEEEE10hipError_tPvRmT0_T1_jT2_SQ_T4_T3_P12ihipStream_tbEUlT_E_NS1_11comp_targetILNS1_3genE0ELNS1_11target_archE4294967295ELNS1_3gpuE0ELNS1_3repE0EEENS1_30default_config_static_selectorELNS0_4arch9wavefront6targetE0EEEvSP_.uses_flat_scratch, 0
	.set _ZN7rocprim17ROCPRIM_400000_NS6detail17trampoline_kernelINS0_14default_configENS1_32segmented_reduce_config_selectorIfEEZNS1_21segmented_reduce_implIS3_PKfPfPKifN6hipcub16HIPCUB_304000_NS6detail27convert_result_type_wrapperIS8_S9_N2at6native12_GLOBAL__N_110CustomProdEEEEE10hipError_tPvRmT0_T1_jT2_SQ_T4_T3_P12ihipStream_tbEUlT_E_NS1_11comp_targetILNS1_3genE0ELNS1_11target_archE4294967295ELNS1_3gpuE0ELNS1_3repE0EEENS1_30default_config_static_selectorELNS0_4arch9wavefront6targetE0EEEvSP_.has_dyn_sized_stack, 0
	.set _ZN7rocprim17ROCPRIM_400000_NS6detail17trampoline_kernelINS0_14default_configENS1_32segmented_reduce_config_selectorIfEEZNS1_21segmented_reduce_implIS3_PKfPfPKifN6hipcub16HIPCUB_304000_NS6detail27convert_result_type_wrapperIS8_S9_N2at6native12_GLOBAL__N_110CustomProdEEEEE10hipError_tPvRmT0_T1_jT2_SQ_T4_T3_P12ihipStream_tbEUlT_E_NS1_11comp_targetILNS1_3genE0ELNS1_11target_archE4294967295ELNS1_3gpuE0ELNS1_3repE0EEENS1_30default_config_static_selectorELNS0_4arch9wavefront6targetE0EEEvSP_.has_recursion, 0
	.set _ZN7rocprim17ROCPRIM_400000_NS6detail17trampoline_kernelINS0_14default_configENS1_32segmented_reduce_config_selectorIfEEZNS1_21segmented_reduce_implIS3_PKfPfPKifN6hipcub16HIPCUB_304000_NS6detail27convert_result_type_wrapperIS8_S9_N2at6native12_GLOBAL__N_110CustomProdEEEEE10hipError_tPvRmT0_T1_jT2_SQ_T4_T3_P12ihipStream_tbEUlT_E_NS1_11comp_targetILNS1_3genE0ELNS1_11target_archE4294967295ELNS1_3gpuE0ELNS1_3repE0EEENS1_30default_config_static_selectorELNS0_4arch9wavefront6targetE0EEEvSP_.has_indirect_call, 0
	.section	.AMDGPU.csdata,"",@progbits
; Kernel info:
; codeLenInByte = 3432
; TotalNumSgprs: 32
; NumVgprs: 24
; ScratchSize: 0
; MemoryBound: 0
; FloatMode: 240
; IeeeMode: 1
; LDSByteSize: 32 bytes/workgroup (compile time only)
; SGPRBlocks: 0
; VGPRBlocks: 1
; NumSGPRsForWavesPerEU: 32
; NumVGPRsForWavesPerEU: 24
; NamedBarCnt: 0
; Occupancy: 16
; WaveLimiterHint : 1
; COMPUTE_PGM_RSRC2:SCRATCH_EN: 0
; COMPUTE_PGM_RSRC2:USER_SGPR: 2
; COMPUTE_PGM_RSRC2:TRAP_HANDLER: 0
; COMPUTE_PGM_RSRC2:TGID_X_EN: 1
; COMPUTE_PGM_RSRC2:TGID_Y_EN: 0
; COMPUTE_PGM_RSRC2:TGID_Z_EN: 0
; COMPUTE_PGM_RSRC2:TIDIG_COMP_CNT: 0
	.section	.text._ZN7rocprim17ROCPRIM_400000_NS6detail17trampoline_kernelINS0_14default_configENS1_32segmented_reduce_config_selectorIfEEZNS1_21segmented_reduce_implIS3_PKfPfPKifN6hipcub16HIPCUB_304000_NS6detail27convert_result_type_wrapperIS8_S9_N2at6native12_GLOBAL__N_110CustomProdEEEEE10hipError_tPvRmT0_T1_jT2_SQ_T4_T3_P12ihipStream_tbEUlT_E_NS1_11comp_targetILNS1_3genE5ELNS1_11target_archE942ELNS1_3gpuE9ELNS1_3repE0EEENS1_30default_config_static_selectorELNS0_4arch9wavefront6targetE0EEEvSP_,"axG",@progbits,_ZN7rocprim17ROCPRIM_400000_NS6detail17trampoline_kernelINS0_14default_configENS1_32segmented_reduce_config_selectorIfEEZNS1_21segmented_reduce_implIS3_PKfPfPKifN6hipcub16HIPCUB_304000_NS6detail27convert_result_type_wrapperIS8_S9_N2at6native12_GLOBAL__N_110CustomProdEEEEE10hipError_tPvRmT0_T1_jT2_SQ_T4_T3_P12ihipStream_tbEUlT_E_NS1_11comp_targetILNS1_3genE5ELNS1_11target_archE942ELNS1_3gpuE9ELNS1_3repE0EEENS1_30default_config_static_selectorELNS0_4arch9wavefront6targetE0EEEvSP_,comdat
	.globl	_ZN7rocprim17ROCPRIM_400000_NS6detail17trampoline_kernelINS0_14default_configENS1_32segmented_reduce_config_selectorIfEEZNS1_21segmented_reduce_implIS3_PKfPfPKifN6hipcub16HIPCUB_304000_NS6detail27convert_result_type_wrapperIS8_S9_N2at6native12_GLOBAL__N_110CustomProdEEEEE10hipError_tPvRmT0_T1_jT2_SQ_T4_T3_P12ihipStream_tbEUlT_E_NS1_11comp_targetILNS1_3genE5ELNS1_11target_archE942ELNS1_3gpuE9ELNS1_3repE0EEENS1_30default_config_static_selectorELNS0_4arch9wavefront6targetE0EEEvSP_ ; -- Begin function _ZN7rocprim17ROCPRIM_400000_NS6detail17trampoline_kernelINS0_14default_configENS1_32segmented_reduce_config_selectorIfEEZNS1_21segmented_reduce_implIS3_PKfPfPKifN6hipcub16HIPCUB_304000_NS6detail27convert_result_type_wrapperIS8_S9_N2at6native12_GLOBAL__N_110CustomProdEEEEE10hipError_tPvRmT0_T1_jT2_SQ_T4_T3_P12ihipStream_tbEUlT_E_NS1_11comp_targetILNS1_3genE5ELNS1_11target_archE942ELNS1_3gpuE9ELNS1_3repE0EEENS1_30default_config_static_selectorELNS0_4arch9wavefront6targetE0EEEvSP_
	.p2align	8
	.type	_ZN7rocprim17ROCPRIM_400000_NS6detail17trampoline_kernelINS0_14default_configENS1_32segmented_reduce_config_selectorIfEEZNS1_21segmented_reduce_implIS3_PKfPfPKifN6hipcub16HIPCUB_304000_NS6detail27convert_result_type_wrapperIS8_S9_N2at6native12_GLOBAL__N_110CustomProdEEEEE10hipError_tPvRmT0_T1_jT2_SQ_T4_T3_P12ihipStream_tbEUlT_E_NS1_11comp_targetILNS1_3genE5ELNS1_11target_archE942ELNS1_3gpuE9ELNS1_3repE0EEENS1_30default_config_static_selectorELNS0_4arch9wavefront6targetE0EEEvSP_,@function
_ZN7rocprim17ROCPRIM_400000_NS6detail17trampoline_kernelINS0_14default_configENS1_32segmented_reduce_config_selectorIfEEZNS1_21segmented_reduce_implIS3_PKfPfPKifN6hipcub16HIPCUB_304000_NS6detail27convert_result_type_wrapperIS8_S9_N2at6native12_GLOBAL__N_110CustomProdEEEEE10hipError_tPvRmT0_T1_jT2_SQ_T4_T3_P12ihipStream_tbEUlT_E_NS1_11comp_targetILNS1_3genE5ELNS1_11target_archE942ELNS1_3gpuE9ELNS1_3repE0EEENS1_30default_config_static_selectorELNS0_4arch9wavefront6targetE0EEEvSP_: ; @_ZN7rocprim17ROCPRIM_400000_NS6detail17trampoline_kernelINS0_14default_configENS1_32segmented_reduce_config_selectorIfEEZNS1_21segmented_reduce_implIS3_PKfPfPKifN6hipcub16HIPCUB_304000_NS6detail27convert_result_type_wrapperIS8_S9_N2at6native12_GLOBAL__N_110CustomProdEEEEE10hipError_tPvRmT0_T1_jT2_SQ_T4_T3_P12ihipStream_tbEUlT_E_NS1_11comp_targetILNS1_3genE5ELNS1_11target_archE942ELNS1_3gpuE9ELNS1_3repE0EEENS1_30default_config_static_selectorELNS0_4arch9wavefront6targetE0EEEvSP_
; %bb.0:
	.section	.rodata,"a",@progbits
	.p2align	6, 0x0
	.amdhsa_kernel _ZN7rocprim17ROCPRIM_400000_NS6detail17trampoline_kernelINS0_14default_configENS1_32segmented_reduce_config_selectorIfEEZNS1_21segmented_reduce_implIS3_PKfPfPKifN6hipcub16HIPCUB_304000_NS6detail27convert_result_type_wrapperIS8_S9_N2at6native12_GLOBAL__N_110CustomProdEEEEE10hipError_tPvRmT0_T1_jT2_SQ_T4_T3_P12ihipStream_tbEUlT_E_NS1_11comp_targetILNS1_3genE5ELNS1_11target_archE942ELNS1_3gpuE9ELNS1_3repE0EEENS1_30default_config_static_selectorELNS0_4arch9wavefront6targetE0EEEvSP_
		.amdhsa_group_segment_fixed_size 0
		.amdhsa_private_segment_fixed_size 0
		.amdhsa_kernarg_size 48
		.amdhsa_user_sgpr_count 2
		.amdhsa_user_sgpr_dispatch_ptr 0
		.amdhsa_user_sgpr_queue_ptr 0
		.amdhsa_user_sgpr_kernarg_segment_ptr 1
		.amdhsa_user_sgpr_dispatch_id 0
		.amdhsa_user_sgpr_kernarg_preload_length 0
		.amdhsa_user_sgpr_kernarg_preload_offset 0
		.amdhsa_user_sgpr_private_segment_size 0
		.amdhsa_wavefront_size32 1
		.amdhsa_uses_dynamic_stack 0
		.amdhsa_enable_private_segment 0
		.amdhsa_system_sgpr_workgroup_id_x 1
		.amdhsa_system_sgpr_workgroup_id_y 0
		.amdhsa_system_sgpr_workgroup_id_z 0
		.amdhsa_system_sgpr_workgroup_info 0
		.amdhsa_system_vgpr_workitem_id 0
		.amdhsa_next_free_vgpr 1
		.amdhsa_next_free_sgpr 1
		.amdhsa_named_barrier_count 0
		.amdhsa_reserve_vcc 0
		.amdhsa_float_round_mode_32 0
		.amdhsa_float_round_mode_16_64 0
		.amdhsa_float_denorm_mode_32 3
		.amdhsa_float_denorm_mode_16_64 3
		.amdhsa_fp16_overflow 0
		.amdhsa_memory_ordered 1
		.amdhsa_forward_progress 1
		.amdhsa_inst_pref_size 0
		.amdhsa_round_robin_scheduling 0
		.amdhsa_exception_fp_ieee_invalid_op 0
		.amdhsa_exception_fp_denorm_src 0
		.amdhsa_exception_fp_ieee_div_zero 0
		.amdhsa_exception_fp_ieee_overflow 0
		.amdhsa_exception_fp_ieee_underflow 0
		.amdhsa_exception_fp_ieee_inexact 0
		.amdhsa_exception_int_div_zero 0
	.end_amdhsa_kernel
	.section	.text._ZN7rocprim17ROCPRIM_400000_NS6detail17trampoline_kernelINS0_14default_configENS1_32segmented_reduce_config_selectorIfEEZNS1_21segmented_reduce_implIS3_PKfPfPKifN6hipcub16HIPCUB_304000_NS6detail27convert_result_type_wrapperIS8_S9_N2at6native12_GLOBAL__N_110CustomProdEEEEE10hipError_tPvRmT0_T1_jT2_SQ_T4_T3_P12ihipStream_tbEUlT_E_NS1_11comp_targetILNS1_3genE5ELNS1_11target_archE942ELNS1_3gpuE9ELNS1_3repE0EEENS1_30default_config_static_selectorELNS0_4arch9wavefront6targetE0EEEvSP_,"axG",@progbits,_ZN7rocprim17ROCPRIM_400000_NS6detail17trampoline_kernelINS0_14default_configENS1_32segmented_reduce_config_selectorIfEEZNS1_21segmented_reduce_implIS3_PKfPfPKifN6hipcub16HIPCUB_304000_NS6detail27convert_result_type_wrapperIS8_S9_N2at6native12_GLOBAL__N_110CustomProdEEEEE10hipError_tPvRmT0_T1_jT2_SQ_T4_T3_P12ihipStream_tbEUlT_E_NS1_11comp_targetILNS1_3genE5ELNS1_11target_archE942ELNS1_3gpuE9ELNS1_3repE0EEENS1_30default_config_static_selectorELNS0_4arch9wavefront6targetE0EEEvSP_,comdat
.Lfunc_end69:
	.size	_ZN7rocprim17ROCPRIM_400000_NS6detail17trampoline_kernelINS0_14default_configENS1_32segmented_reduce_config_selectorIfEEZNS1_21segmented_reduce_implIS3_PKfPfPKifN6hipcub16HIPCUB_304000_NS6detail27convert_result_type_wrapperIS8_S9_N2at6native12_GLOBAL__N_110CustomProdEEEEE10hipError_tPvRmT0_T1_jT2_SQ_T4_T3_P12ihipStream_tbEUlT_E_NS1_11comp_targetILNS1_3genE5ELNS1_11target_archE942ELNS1_3gpuE9ELNS1_3repE0EEENS1_30default_config_static_selectorELNS0_4arch9wavefront6targetE0EEEvSP_, .Lfunc_end69-_ZN7rocprim17ROCPRIM_400000_NS6detail17trampoline_kernelINS0_14default_configENS1_32segmented_reduce_config_selectorIfEEZNS1_21segmented_reduce_implIS3_PKfPfPKifN6hipcub16HIPCUB_304000_NS6detail27convert_result_type_wrapperIS8_S9_N2at6native12_GLOBAL__N_110CustomProdEEEEE10hipError_tPvRmT0_T1_jT2_SQ_T4_T3_P12ihipStream_tbEUlT_E_NS1_11comp_targetILNS1_3genE5ELNS1_11target_archE942ELNS1_3gpuE9ELNS1_3repE0EEENS1_30default_config_static_selectorELNS0_4arch9wavefront6targetE0EEEvSP_
                                        ; -- End function
	.set _ZN7rocprim17ROCPRIM_400000_NS6detail17trampoline_kernelINS0_14default_configENS1_32segmented_reduce_config_selectorIfEEZNS1_21segmented_reduce_implIS3_PKfPfPKifN6hipcub16HIPCUB_304000_NS6detail27convert_result_type_wrapperIS8_S9_N2at6native12_GLOBAL__N_110CustomProdEEEEE10hipError_tPvRmT0_T1_jT2_SQ_T4_T3_P12ihipStream_tbEUlT_E_NS1_11comp_targetILNS1_3genE5ELNS1_11target_archE942ELNS1_3gpuE9ELNS1_3repE0EEENS1_30default_config_static_selectorELNS0_4arch9wavefront6targetE0EEEvSP_.num_vgpr, 0
	.set _ZN7rocprim17ROCPRIM_400000_NS6detail17trampoline_kernelINS0_14default_configENS1_32segmented_reduce_config_selectorIfEEZNS1_21segmented_reduce_implIS3_PKfPfPKifN6hipcub16HIPCUB_304000_NS6detail27convert_result_type_wrapperIS8_S9_N2at6native12_GLOBAL__N_110CustomProdEEEEE10hipError_tPvRmT0_T1_jT2_SQ_T4_T3_P12ihipStream_tbEUlT_E_NS1_11comp_targetILNS1_3genE5ELNS1_11target_archE942ELNS1_3gpuE9ELNS1_3repE0EEENS1_30default_config_static_selectorELNS0_4arch9wavefront6targetE0EEEvSP_.num_agpr, 0
	.set _ZN7rocprim17ROCPRIM_400000_NS6detail17trampoline_kernelINS0_14default_configENS1_32segmented_reduce_config_selectorIfEEZNS1_21segmented_reduce_implIS3_PKfPfPKifN6hipcub16HIPCUB_304000_NS6detail27convert_result_type_wrapperIS8_S9_N2at6native12_GLOBAL__N_110CustomProdEEEEE10hipError_tPvRmT0_T1_jT2_SQ_T4_T3_P12ihipStream_tbEUlT_E_NS1_11comp_targetILNS1_3genE5ELNS1_11target_archE942ELNS1_3gpuE9ELNS1_3repE0EEENS1_30default_config_static_selectorELNS0_4arch9wavefront6targetE0EEEvSP_.numbered_sgpr, 0
	.set _ZN7rocprim17ROCPRIM_400000_NS6detail17trampoline_kernelINS0_14default_configENS1_32segmented_reduce_config_selectorIfEEZNS1_21segmented_reduce_implIS3_PKfPfPKifN6hipcub16HIPCUB_304000_NS6detail27convert_result_type_wrapperIS8_S9_N2at6native12_GLOBAL__N_110CustomProdEEEEE10hipError_tPvRmT0_T1_jT2_SQ_T4_T3_P12ihipStream_tbEUlT_E_NS1_11comp_targetILNS1_3genE5ELNS1_11target_archE942ELNS1_3gpuE9ELNS1_3repE0EEENS1_30default_config_static_selectorELNS0_4arch9wavefront6targetE0EEEvSP_.num_named_barrier, 0
	.set _ZN7rocprim17ROCPRIM_400000_NS6detail17trampoline_kernelINS0_14default_configENS1_32segmented_reduce_config_selectorIfEEZNS1_21segmented_reduce_implIS3_PKfPfPKifN6hipcub16HIPCUB_304000_NS6detail27convert_result_type_wrapperIS8_S9_N2at6native12_GLOBAL__N_110CustomProdEEEEE10hipError_tPvRmT0_T1_jT2_SQ_T4_T3_P12ihipStream_tbEUlT_E_NS1_11comp_targetILNS1_3genE5ELNS1_11target_archE942ELNS1_3gpuE9ELNS1_3repE0EEENS1_30default_config_static_selectorELNS0_4arch9wavefront6targetE0EEEvSP_.private_seg_size, 0
	.set _ZN7rocprim17ROCPRIM_400000_NS6detail17trampoline_kernelINS0_14default_configENS1_32segmented_reduce_config_selectorIfEEZNS1_21segmented_reduce_implIS3_PKfPfPKifN6hipcub16HIPCUB_304000_NS6detail27convert_result_type_wrapperIS8_S9_N2at6native12_GLOBAL__N_110CustomProdEEEEE10hipError_tPvRmT0_T1_jT2_SQ_T4_T3_P12ihipStream_tbEUlT_E_NS1_11comp_targetILNS1_3genE5ELNS1_11target_archE942ELNS1_3gpuE9ELNS1_3repE0EEENS1_30default_config_static_selectorELNS0_4arch9wavefront6targetE0EEEvSP_.uses_vcc, 0
	.set _ZN7rocprim17ROCPRIM_400000_NS6detail17trampoline_kernelINS0_14default_configENS1_32segmented_reduce_config_selectorIfEEZNS1_21segmented_reduce_implIS3_PKfPfPKifN6hipcub16HIPCUB_304000_NS6detail27convert_result_type_wrapperIS8_S9_N2at6native12_GLOBAL__N_110CustomProdEEEEE10hipError_tPvRmT0_T1_jT2_SQ_T4_T3_P12ihipStream_tbEUlT_E_NS1_11comp_targetILNS1_3genE5ELNS1_11target_archE942ELNS1_3gpuE9ELNS1_3repE0EEENS1_30default_config_static_selectorELNS0_4arch9wavefront6targetE0EEEvSP_.uses_flat_scratch, 0
	.set _ZN7rocprim17ROCPRIM_400000_NS6detail17trampoline_kernelINS0_14default_configENS1_32segmented_reduce_config_selectorIfEEZNS1_21segmented_reduce_implIS3_PKfPfPKifN6hipcub16HIPCUB_304000_NS6detail27convert_result_type_wrapperIS8_S9_N2at6native12_GLOBAL__N_110CustomProdEEEEE10hipError_tPvRmT0_T1_jT2_SQ_T4_T3_P12ihipStream_tbEUlT_E_NS1_11comp_targetILNS1_3genE5ELNS1_11target_archE942ELNS1_3gpuE9ELNS1_3repE0EEENS1_30default_config_static_selectorELNS0_4arch9wavefront6targetE0EEEvSP_.has_dyn_sized_stack, 0
	.set _ZN7rocprim17ROCPRIM_400000_NS6detail17trampoline_kernelINS0_14default_configENS1_32segmented_reduce_config_selectorIfEEZNS1_21segmented_reduce_implIS3_PKfPfPKifN6hipcub16HIPCUB_304000_NS6detail27convert_result_type_wrapperIS8_S9_N2at6native12_GLOBAL__N_110CustomProdEEEEE10hipError_tPvRmT0_T1_jT2_SQ_T4_T3_P12ihipStream_tbEUlT_E_NS1_11comp_targetILNS1_3genE5ELNS1_11target_archE942ELNS1_3gpuE9ELNS1_3repE0EEENS1_30default_config_static_selectorELNS0_4arch9wavefront6targetE0EEEvSP_.has_recursion, 0
	.set _ZN7rocprim17ROCPRIM_400000_NS6detail17trampoline_kernelINS0_14default_configENS1_32segmented_reduce_config_selectorIfEEZNS1_21segmented_reduce_implIS3_PKfPfPKifN6hipcub16HIPCUB_304000_NS6detail27convert_result_type_wrapperIS8_S9_N2at6native12_GLOBAL__N_110CustomProdEEEEE10hipError_tPvRmT0_T1_jT2_SQ_T4_T3_P12ihipStream_tbEUlT_E_NS1_11comp_targetILNS1_3genE5ELNS1_11target_archE942ELNS1_3gpuE9ELNS1_3repE0EEENS1_30default_config_static_selectorELNS0_4arch9wavefront6targetE0EEEvSP_.has_indirect_call, 0
	.section	.AMDGPU.csdata,"",@progbits
; Kernel info:
; codeLenInByte = 0
; TotalNumSgprs: 0
; NumVgprs: 0
; ScratchSize: 0
; MemoryBound: 0
; FloatMode: 240
; IeeeMode: 1
; LDSByteSize: 0 bytes/workgroup (compile time only)
; SGPRBlocks: 0
; VGPRBlocks: 0
; NumSGPRsForWavesPerEU: 1
; NumVGPRsForWavesPerEU: 1
; NamedBarCnt: 0
; Occupancy: 16
; WaveLimiterHint : 0
; COMPUTE_PGM_RSRC2:SCRATCH_EN: 0
; COMPUTE_PGM_RSRC2:USER_SGPR: 2
; COMPUTE_PGM_RSRC2:TRAP_HANDLER: 0
; COMPUTE_PGM_RSRC2:TGID_X_EN: 1
; COMPUTE_PGM_RSRC2:TGID_Y_EN: 0
; COMPUTE_PGM_RSRC2:TGID_Z_EN: 0
; COMPUTE_PGM_RSRC2:TIDIG_COMP_CNT: 0
	.section	.text._ZN7rocprim17ROCPRIM_400000_NS6detail17trampoline_kernelINS0_14default_configENS1_32segmented_reduce_config_selectorIfEEZNS1_21segmented_reduce_implIS3_PKfPfPKifN6hipcub16HIPCUB_304000_NS6detail27convert_result_type_wrapperIS8_S9_N2at6native12_GLOBAL__N_110CustomProdEEEEE10hipError_tPvRmT0_T1_jT2_SQ_T4_T3_P12ihipStream_tbEUlT_E_NS1_11comp_targetILNS1_3genE10ELNS1_11target_archE1201ELNS1_3gpuE5ELNS1_3repE0EEENS1_30default_config_static_selectorELNS0_4arch9wavefront6targetE0EEEvSP_,"axG",@progbits,_ZN7rocprim17ROCPRIM_400000_NS6detail17trampoline_kernelINS0_14default_configENS1_32segmented_reduce_config_selectorIfEEZNS1_21segmented_reduce_implIS3_PKfPfPKifN6hipcub16HIPCUB_304000_NS6detail27convert_result_type_wrapperIS8_S9_N2at6native12_GLOBAL__N_110CustomProdEEEEE10hipError_tPvRmT0_T1_jT2_SQ_T4_T3_P12ihipStream_tbEUlT_E_NS1_11comp_targetILNS1_3genE10ELNS1_11target_archE1201ELNS1_3gpuE5ELNS1_3repE0EEENS1_30default_config_static_selectorELNS0_4arch9wavefront6targetE0EEEvSP_,comdat
	.globl	_ZN7rocprim17ROCPRIM_400000_NS6detail17trampoline_kernelINS0_14default_configENS1_32segmented_reduce_config_selectorIfEEZNS1_21segmented_reduce_implIS3_PKfPfPKifN6hipcub16HIPCUB_304000_NS6detail27convert_result_type_wrapperIS8_S9_N2at6native12_GLOBAL__N_110CustomProdEEEEE10hipError_tPvRmT0_T1_jT2_SQ_T4_T3_P12ihipStream_tbEUlT_E_NS1_11comp_targetILNS1_3genE10ELNS1_11target_archE1201ELNS1_3gpuE5ELNS1_3repE0EEENS1_30default_config_static_selectorELNS0_4arch9wavefront6targetE0EEEvSP_ ; -- Begin function _ZN7rocprim17ROCPRIM_400000_NS6detail17trampoline_kernelINS0_14default_configENS1_32segmented_reduce_config_selectorIfEEZNS1_21segmented_reduce_implIS3_PKfPfPKifN6hipcub16HIPCUB_304000_NS6detail27convert_result_type_wrapperIS8_S9_N2at6native12_GLOBAL__N_110CustomProdEEEEE10hipError_tPvRmT0_T1_jT2_SQ_T4_T3_P12ihipStream_tbEUlT_E_NS1_11comp_targetILNS1_3genE10ELNS1_11target_archE1201ELNS1_3gpuE5ELNS1_3repE0EEENS1_30default_config_static_selectorELNS0_4arch9wavefront6targetE0EEEvSP_
	.p2align	8
	.type	_ZN7rocprim17ROCPRIM_400000_NS6detail17trampoline_kernelINS0_14default_configENS1_32segmented_reduce_config_selectorIfEEZNS1_21segmented_reduce_implIS3_PKfPfPKifN6hipcub16HIPCUB_304000_NS6detail27convert_result_type_wrapperIS8_S9_N2at6native12_GLOBAL__N_110CustomProdEEEEE10hipError_tPvRmT0_T1_jT2_SQ_T4_T3_P12ihipStream_tbEUlT_E_NS1_11comp_targetILNS1_3genE10ELNS1_11target_archE1201ELNS1_3gpuE5ELNS1_3repE0EEENS1_30default_config_static_selectorELNS0_4arch9wavefront6targetE0EEEvSP_,@function
_ZN7rocprim17ROCPRIM_400000_NS6detail17trampoline_kernelINS0_14default_configENS1_32segmented_reduce_config_selectorIfEEZNS1_21segmented_reduce_implIS3_PKfPfPKifN6hipcub16HIPCUB_304000_NS6detail27convert_result_type_wrapperIS8_S9_N2at6native12_GLOBAL__N_110CustomProdEEEEE10hipError_tPvRmT0_T1_jT2_SQ_T4_T3_P12ihipStream_tbEUlT_E_NS1_11comp_targetILNS1_3genE10ELNS1_11target_archE1201ELNS1_3gpuE5ELNS1_3repE0EEENS1_30default_config_static_selectorELNS0_4arch9wavefront6targetE0EEEvSP_: ; @_ZN7rocprim17ROCPRIM_400000_NS6detail17trampoline_kernelINS0_14default_configENS1_32segmented_reduce_config_selectorIfEEZNS1_21segmented_reduce_implIS3_PKfPfPKifN6hipcub16HIPCUB_304000_NS6detail27convert_result_type_wrapperIS8_S9_N2at6native12_GLOBAL__N_110CustomProdEEEEE10hipError_tPvRmT0_T1_jT2_SQ_T4_T3_P12ihipStream_tbEUlT_E_NS1_11comp_targetILNS1_3genE10ELNS1_11target_archE1201ELNS1_3gpuE5ELNS1_3repE0EEENS1_30default_config_static_selectorELNS0_4arch9wavefront6targetE0EEEvSP_
; %bb.0:
	.section	.rodata,"a",@progbits
	.p2align	6, 0x0
	.amdhsa_kernel _ZN7rocprim17ROCPRIM_400000_NS6detail17trampoline_kernelINS0_14default_configENS1_32segmented_reduce_config_selectorIfEEZNS1_21segmented_reduce_implIS3_PKfPfPKifN6hipcub16HIPCUB_304000_NS6detail27convert_result_type_wrapperIS8_S9_N2at6native12_GLOBAL__N_110CustomProdEEEEE10hipError_tPvRmT0_T1_jT2_SQ_T4_T3_P12ihipStream_tbEUlT_E_NS1_11comp_targetILNS1_3genE10ELNS1_11target_archE1201ELNS1_3gpuE5ELNS1_3repE0EEENS1_30default_config_static_selectorELNS0_4arch9wavefront6targetE0EEEvSP_
		.amdhsa_group_segment_fixed_size 0
		.amdhsa_private_segment_fixed_size 0
		.amdhsa_kernarg_size 48
		.amdhsa_user_sgpr_count 2
		.amdhsa_user_sgpr_dispatch_ptr 0
		.amdhsa_user_sgpr_queue_ptr 0
		.amdhsa_user_sgpr_kernarg_segment_ptr 1
		.amdhsa_user_sgpr_dispatch_id 0
		.amdhsa_user_sgpr_kernarg_preload_length 0
		.amdhsa_user_sgpr_kernarg_preload_offset 0
		.amdhsa_user_sgpr_private_segment_size 0
		.amdhsa_wavefront_size32 1
		.amdhsa_uses_dynamic_stack 0
		.amdhsa_enable_private_segment 0
		.amdhsa_system_sgpr_workgroup_id_x 1
		.amdhsa_system_sgpr_workgroup_id_y 0
		.amdhsa_system_sgpr_workgroup_id_z 0
		.amdhsa_system_sgpr_workgroup_info 0
		.amdhsa_system_vgpr_workitem_id 0
		.amdhsa_next_free_vgpr 1
		.amdhsa_next_free_sgpr 1
		.amdhsa_named_barrier_count 0
		.amdhsa_reserve_vcc 0
		.amdhsa_float_round_mode_32 0
		.amdhsa_float_round_mode_16_64 0
		.amdhsa_float_denorm_mode_32 3
		.amdhsa_float_denorm_mode_16_64 3
		.amdhsa_fp16_overflow 0
		.amdhsa_memory_ordered 1
		.amdhsa_forward_progress 1
		.amdhsa_inst_pref_size 0
		.amdhsa_round_robin_scheduling 0
		.amdhsa_exception_fp_ieee_invalid_op 0
		.amdhsa_exception_fp_denorm_src 0
		.amdhsa_exception_fp_ieee_div_zero 0
		.amdhsa_exception_fp_ieee_overflow 0
		.amdhsa_exception_fp_ieee_underflow 0
		.amdhsa_exception_fp_ieee_inexact 0
		.amdhsa_exception_int_div_zero 0
	.end_amdhsa_kernel
	.section	.text._ZN7rocprim17ROCPRIM_400000_NS6detail17trampoline_kernelINS0_14default_configENS1_32segmented_reduce_config_selectorIfEEZNS1_21segmented_reduce_implIS3_PKfPfPKifN6hipcub16HIPCUB_304000_NS6detail27convert_result_type_wrapperIS8_S9_N2at6native12_GLOBAL__N_110CustomProdEEEEE10hipError_tPvRmT0_T1_jT2_SQ_T4_T3_P12ihipStream_tbEUlT_E_NS1_11comp_targetILNS1_3genE10ELNS1_11target_archE1201ELNS1_3gpuE5ELNS1_3repE0EEENS1_30default_config_static_selectorELNS0_4arch9wavefront6targetE0EEEvSP_,"axG",@progbits,_ZN7rocprim17ROCPRIM_400000_NS6detail17trampoline_kernelINS0_14default_configENS1_32segmented_reduce_config_selectorIfEEZNS1_21segmented_reduce_implIS3_PKfPfPKifN6hipcub16HIPCUB_304000_NS6detail27convert_result_type_wrapperIS8_S9_N2at6native12_GLOBAL__N_110CustomProdEEEEE10hipError_tPvRmT0_T1_jT2_SQ_T4_T3_P12ihipStream_tbEUlT_E_NS1_11comp_targetILNS1_3genE10ELNS1_11target_archE1201ELNS1_3gpuE5ELNS1_3repE0EEENS1_30default_config_static_selectorELNS0_4arch9wavefront6targetE0EEEvSP_,comdat
.Lfunc_end70:
	.size	_ZN7rocprim17ROCPRIM_400000_NS6detail17trampoline_kernelINS0_14default_configENS1_32segmented_reduce_config_selectorIfEEZNS1_21segmented_reduce_implIS3_PKfPfPKifN6hipcub16HIPCUB_304000_NS6detail27convert_result_type_wrapperIS8_S9_N2at6native12_GLOBAL__N_110CustomProdEEEEE10hipError_tPvRmT0_T1_jT2_SQ_T4_T3_P12ihipStream_tbEUlT_E_NS1_11comp_targetILNS1_3genE10ELNS1_11target_archE1201ELNS1_3gpuE5ELNS1_3repE0EEENS1_30default_config_static_selectorELNS0_4arch9wavefront6targetE0EEEvSP_, .Lfunc_end70-_ZN7rocprim17ROCPRIM_400000_NS6detail17trampoline_kernelINS0_14default_configENS1_32segmented_reduce_config_selectorIfEEZNS1_21segmented_reduce_implIS3_PKfPfPKifN6hipcub16HIPCUB_304000_NS6detail27convert_result_type_wrapperIS8_S9_N2at6native12_GLOBAL__N_110CustomProdEEEEE10hipError_tPvRmT0_T1_jT2_SQ_T4_T3_P12ihipStream_tbEUlT_E_NS1_11comp_targetILNS1_3genE10ELNS1_11target_archE1201ELNS1_3gpuE5ELNS1_3repE0EEENS1_30default_config_static_selectorELNS0_4arch9wavefront6targetE0EEEvSP_
                                        ; -- End function
	.set _ZN7rocprim17ROCPRIM_400000_NS6detail17trampoline_kernelINS0_14default_configENS1_32segmented_reduce_config_selectorIfEEZNS1_21segmented_reduce_implIS3_PKfPfPKifN6hipcub16HIPCUB_304000_NS6detail27convert_result_type_wrapperIS8_S9_N2at6native12_GLOBAL__N_110CustomProdEEEEE10hipError_tPvRmT0_T1_jT2_SQ_T4_T3_P12ihipStream_tbEUlT_E_NS1_11comp_targetILNS1_3genE10ELNS1_11target_archE1201ELNS1_3gpuE5ELNS1_3repE0EEENS1_30default_config_static_selectorELNS0_4arch9wavefront6targetE0EEEvSP_.num_vgpr, 0
	.set _ZN7rocprim17ROCPRIM_400000_NS6detail17trampoline_kernelINS0_14default_configENS1_32segmented_reduce_config_selectorIfEEZNS1_21segmented_reduce_implIS3_PKfPfPKifN6hipcub16HIPCUB_304000_NS6detail27convert_result_type_wrapperIS8_S9_N2at6native12_GLOBAL__N_110CustomProdEEEEE10hipError_tPvRmT0_T1_jT2_SQ_T4_T3_P12ihipStream_tbEUlT_E_NS1_11comp_targetILNS1_3genE10ELNS1_11target_archE1201ELNS1_3gpuE5ELNS1_3repE0EEENS1_30default_config_static_selectorELNS0_4arch9wavefront6targetE0EEEvSP_.num_agpr, 0
	.set _ZN7rocprim17ROCPRIM_400000_NS6detail17trampoline_kernelINS0_14default_configENS1_32segmented_reduce_config_selectorIfEEZNS1_21segmented_reduce_implIS3_PKfPfPKifN6hipcub16HIPCUB_304000_NS6detail27convert_result_type_wrapperIS8_S9_N2at6native12_GLOBAL__N_110CustomProdEEEEE10hipError_tPvRmT0_T1_jT2_SQ_T4_T3_P12ihipStream_tbEUlT_E_NS1_11comp_targetILNS1_3genE10ELNS1_11target_archE1201ELNS1_3gpuE5ELNS1_3repE0EEENS1_30default_config_static_selectorELNS0_4arch9wavefront6targetE0EEEvSP_.numbered_sgpr, 0
	.set _ZN7rocprim17ROCPRIM_400000_NS6detail17trampoline_kernelINS0_14default_configENS1_32segmented_reduce_config_selectorIfEEZNS1_21segmented_reduce_implIS3_PKfPfPKifN6hipcub16HIPCUB_304000_NS6detail27convert_result_type_wrapperIS8_S9_N2at6native12_GLOBAL__N_110CustomProdEEEEE10hipError_tPvRmT0_T1_jT2_SQ_T4_T3_P12ihipStream_tbEUlT_E_NS1_11comp_targetILNS1_3genE10ELNS1_11target_archE1201ELNS1_3gpuE5ELNS1_3repE0EEENS1_30default_config_static_selectorELNS0_4arch9wavefront6targetE0EEEvSP_.num_named_barrier, 0
	.set _ZN7rocprim17ROCPRIM_400000_NS6detail17trampoline_kernelINS0_14default_configENS1_32segmented_reduce_config_selectorIfEEZNS1_21segmented_reduce_implIS3_PKfPfPKifN6hipcub16HIPCUB_304000_NS6detail27convert_result_type_wrapperIS8_S9_N2at6native12_GLOBAL__N_110CustomProdEEEEE10hipError_tPvRmT0_T1_jT2_SQ_T4_T3_P12ihipStream_tbEUlT_E_NS1_11comp_targetILNS1_3genE10ELNS1_11target_archE1201ELNS1_3gpuE5ELNS1_3repE0EEENS1_30default_config_static_selectorELNS0_4arch9wavefront6targetE0EEEvSP_.private_seg_size, 0
	.set _ZN7rocprim17ROCPRIM_400000_NS6detail17trampoline_kernelINS0_14default_configENS1_32segmented_reduce_config_selectorIfEEZNS1_21segmented_reduce_implIS3_PKfPfPKifN6hipcub16HIPCUB_304000_NS6detail27convert_result_type_wrapperIS8_S9_N2at6native12_GLOBAL__N_110CustomProdEEEEE10hipError_tPvRmT0_T1_jT2_SQ_T4_T3_P12ihipStream_tbEUlT_E_NS1_11comp_targetILNS1_3genE10ELNS1_11target_archE1201ELNS1_3gpuE5ELNS1_3repE0EEENS1_30default_config_static_selectorELNS0_4arch9wavefront6targetE0EEEvSP_.uses_vcc, 0
	.set _ZN7rocprim17ROCPRIM_400000_NS6detail17trampoline_kernelINS0_14default_configENS1_32segmented_reduce_config_selectorIfEEZNS1_21segmented_reduce_implIS3_PKfPfPKifN6hipcub16HIPCUB_304000_NS6detail27convert_result_type_wrapperIS8_S9_N2at6native12_GLOBAL__N_110CustomProdEEEEE10hipError_tPvRmT0_T1_jT2_SQ_T4_T3_P12ihipStream_tbEUlT_E_NS1_11comp_targetILNS1_3genE10ELNS1_11target_archE1201ELNS1_3gpuE5ELNS1_3repE0EEENS1_30default_config_static_selectorELNS0_4arch9wavefront6targetE0EEEvSP_.uses_flat_scratch, 0
	.set _ZN7rocprim17ROCPRIM_400000_NS6detail17trampoline_kernelINS0_14default_configENS1_32segmented_reduce_config_selectorIfEEZNS1_21segmented_reduce_implIS3_PKfPfPKifN6hipcub16HIPCUB_304000_NS6detail27convert_result_type_wrapperIS8_S9_N2at6native12_GLOBAL__N_110CustomProdEEEEE10hipError_tPvRmT0_T1_jT2_SQ_T4_T3_P12ihipStream_tbEUlT_E_NS1_11comp_targetILNS1_3genE10ELNS1_11target_archE1201ELNS1_3gpuE5ELNS1_3repE0EEENS1_30default_config_static_selectorELNS0_4arch9wavefront6targetE0EEEvSP_.has_dyn_sized_stack, 0
	.set _ZN7rocprim17ROCPRIM_400000_NS6detail17trampoline_kernelINS0_14default_configENS1_32segmented_reduce_config_selectorIfEEZNS1_21segmented_reduce_implIS3_PKfPfPKifN6hipcub16HIPCUB_304000_NS6detail27convert_result_type_wrapperIS8_S9_N2at6native12_GLOBAL__N_110CustomProdEEEEE10hipError_tPvRmT0_T1_jT2_SQ_T4_T3_P12ihipStream_tbEUlT_E_NS1_11comp_targetILNS1_3genE10ELNS1_11target_archE1201ELNS1_3gpuE5ELNS1_3repE0EEENS1_30default_config_static_selectorELNS0_4arch9wavefront6targetE0EEEvSP_.has_recursion, 0
	.set _ZN7rocprim17ROCPRIM_400000_NS6detail17trampoline_kernelINS0_14default_configENS1_32segmented_reduce_config_selectorIfEEZNS1_21segmented_reduce_implIS3_PKfPfPKifN6hipcub16HIPCUB_304000_NS6detail27convert_result_type_wrapperIS8_S9_N2at6native12_GLOBAL__N_110CustomProdEEEEE10hipError_tPvRmT0_T1_jT2_SQ_T4_T3_P12ihipStream_tbEUlT_E_NS1_11comp_targetILNS1_3genE10ELNS1_11target_archE1201ELNS1_3gpuE5ELNS1_3repE0EEENS1_30default_config_static_selectorELNS0_4arch9wavefront6targetE0EEEvSP_.has_indirect_call, 0
	.section	.AMDGPU.csdata,"",@progbits
; Kernel info:
; codeLenInByte = 0
; TotalNumSgprs: 0
; NumVgprs: 0
; ScratchSize: 0
; MemoryBound: 0
; FloatMode: 240
; IeeeMode: 1
; LDSByteSize: 0 bytes/workgroup (compile time only)
; SGPRBlocks: 0
; VGPRBlocks: 0
; NumSGPRsForWavesPerEU: 1
; NumVGPRsForWavesPerEU: 1
; NamedBarCnt: 0
; Occupancy: 16
; WaveLimiterHint : 0
; COMPUTE_PGM_RSRC2:SCRATCH_EN: 0
; COMPUTE_PGM_RSRC2:USER_SGPR: 2
; COMPUTE_PGM_RSRC2:TRAP_HANDLER: 0
; COMPUTE_PGM_RSRC2:TGID_X_EN: 1
; COMPUTE_PGM_RSRC2:TGID_Y_EN: 0
; COMPUTE_PGM_RSRC2:TGID_Z_EN: 0
; COMPUTE_PGM_RSRC2:TIDIG_COMP_CNT: 0
	.section	.text._ZN7rocprim17ROCPRIM_400000_NS6detail17trampoline_kernelINS0_14default_configENS1_32segmented_reduce_config_selectorIfEEZNS1_21segmented_reduce_implIS3_PKfPfPKifN6hipcub16HIPCUB_304000_NS6detail27convert_result_type_wrapperIS8_S9_N2at6native12_GLOBAL__N_110CustomProdEEEEE10hipError_tPvRmT0_T1_jT2_SQ_T4_T3_P12ihipStream_tbEUlT_E_NS1_11comp_targetILNS1_3genE4ELNS1_11target_archE910ELNS1_3gpuE8ELNS1_3repE0EEENS1_30default_config_static_selectorELNS0_4arch9wavefront6targetE0EEEvSP_,"axG",@progbits,_ZN7rocprim17ROCPRIM_400000_NS6detail17trampoline_kernelINS0_14default_configENS1_32segmented_reduce_config_selectorIfEEZNS1_21segmented_reduce_implIS3_PKfPfPKifN6hipcub16HIPCUB_304000_NS6detail27convert_result_type_wrapperIS8_S9_N2at6native12_GLOBAL__N_110CustomProdEEEEE10hipError_tPvRmT0_T1_jT2_SQ_T4_T3_P12ihipStream_tbEUlT_E_NS1_11comp_targetILNS1_3genE4ELNS1_11target_archE910ELNS1_3gpuE8ELNS1_3repE0EEENS1_30default_config_static_selectorELNS0_4arch9wavefront6targetE0EEEvSP_,comdat
	.globl	_ZN7rocprim17ROCPRIM_400000_NS6detail17trampoline_kernelINS0_14default_configENS1_32segmented_reduce_config_selectorIfEEZNS1_21segmented_reduce_implIS3_PKfPfPKifN6hipcub16HIPCUB_304000_NS6detail27convert_result_type_wrapperIS8_S9_N2at6native12_GLOBAL__N_110CustomProdEEEEE10hipError_tPvRmT0_T1_jT2_SQ_T4_T3_P12ihipStream_tbEUlT_E_NS1_11comp_targetILNS1_3genE4ELNS1_11target_archE910ELNS1_3gpuE8ELNS1_3repE0EEENS1_30default_config_static_selectorELNS0_4arch9wavefront6targetE0EEEvSP_ ; -- Begin function _ZN7rocprim17ROCPRIM_400000_NS6detail17trampoline_kernelINS0_14default_configENS1_32segmented_reduce_config_selectorIfEEZNS1_21segmented_reduce_implIS3_PKfPfPKifN6hipcub16HIPCUB_304000_NS6detail27convert_result_type_wrapperIS8_S9_N2at6native12_GLOBAL__N_110CustomProdEEEEE10hipError_tPvRmT0_T1_jT2_SQ_T4_T3_P12ihipStream_tbEUlT_E_NS1_11comp_targetILNS1_3genE4ELNS1_11target_archE910ELNS1_3gpuE8ELNS1_3repE0EEENS1_30default_config_static_selectorELNS0_4arch9wavefront6targetE0EEEvSP_
	.p2align	8
	.type	_ZN7rocprim17ROCPRIM_400000_NS6detail17trampoline_kernelINS0_14default_configENS1_32segmented_reduce_config_selectorIfEEZNS1_21segmented_reduce_implIS3_PKfPfPKifN6hipcub16HIPCUB_304000_NS6detail27convert_result_type_wrapperIS8_S9_N2at6native12_GLOBAL__N_110CustomProdEEEEE10hipError_tPvRmT0_T1_jT2_SQ_T4_T3_P12ihipStream_tbEUlT_E_NS1_11comp_targetILNS1_3genE4ELNS1_11target_archE910ELNS1_3gpuE8ELNS1_3repE0EEENS1_30default_config_static_selectorELNS0_4arch9wavefront6targetE0EEEvSP_,@function
_ZN7rocprim17ROCPRIM_400000_NS6detail17trampoline_kernelINS0_14default_configENS1_32segmented_reduce_config_selectorIfEEZNS1_21segmented_reduce_implIS3_PKfPfPKifN6hipcub16HIPCUB_304000_NS6detail27convert_result_type_wrapperIS8_S9_N2at6native12_GLOBAL__N_110CustomProdEEEEE10hipError_tPvRmT0_T1_jT2_SQ_T4_T3_P12ihipStream_tbEUlT_E_NS1_11comp_targetILNS1_3genE4ELNS1_11target_archE910ELNS1_3gpuE8ELNS1_3repE0EEENS1_30default_config_static_selectorELNS0_4arch9wavefront6targetE0EEEvSP_: ; @_ZN7rocprim17ROCPRIM_400000_NS6detail17trampoline_kernelINS0_14default_configENS1_32segmented_reduce_config_selectorIfEEZNS1_21segmented_reduce_implIS3_PKfPfPKifN6hipcub16HIPCUB_304000_NS6detail27convert_result_type_wrapperIS8_S9_N2at6native12_GLOBAL__N_110CustomProdEEEEE10hipError_tPvRmT0_T1_jT2_SQ_T4_T3_P12ihipStream_tbEUlT_E_NS1_11comp_targetILNS1_3genE4ELNS1_11target_archE910ELNS1_3gpuE8ELNS1_3repE0EEENS1_30default_config_static_selectorELNS0_4arch9wavefront6targetE0EEEvSP_
; %bb.0:
	.section	.rodata,"a",@progbits
	.p2align	6, 0x0
	.amdhsa_kernel _ZN7rocprim17ROCPRIM_400000_NS6detail17trampoline_kernelINS0_14default_configENS1_32segmented_reduce_config_selectorIfEEZNS1_21segmented_reduce_implIS3_PKfPfPKifN6hipcub16HIPCUB_304000_NS6detail27convert_result_type_wrapperIS8_S9_N2at6native12_GLOBAL__N_110CustomProdEEEEE10hipError_tPvRmT0_T1_jT2_SQ_T4_T3_P12ihipStream_tbEUlT_E_NS1_11comp_targetILNS1_3genE4ELNS1_11target_archE910ELNS1_3gpuE8ELNS1_3repE0EEENS1_30default_config_static_selectorELNS0_4arch9wavefront6targetE0EEEvSP_
		.amdhsa_group_segment_fixed_size 0
		.amdhsa_private_segment_fixed_size 0
		.amdhsa_kernarg_size 48
		.amdhsa_user_sgpr_count 2
		.amdhsa_user_sgpr_dispatch_ptr 0
		.amdhsa_user_sgpr_queue_ptr 0
		.amdhsa_user_sgpr_kernarg_segment_ptr 1
		.amdhsa_user_sgpr_dispatch_id 0
		.amdhsa_user_sgpr_kernarg_preload_length 0
		.amdhsa_user_sgpr_kernarg_preload_offset 0
		.amdhsa_user_sgpr_private_segment_size 0
		.amdhsa_wavefront_size32 1
		.amdhsa_uses_dynamic_stack 0
		.amdhsa_enable_private_segment 0
		.amdhsa_system_sgpr_workgroup_id_x 1
		.amdhsa_system_sgpr_workgroup_id_y 0
		.amdhsa_system_sgpr_workgroup_id_z 0
		.amdhsa_system_sgpr_workgroup_info 0
		.amdhsa_system_vgpr_workitem_id 0
		.amdhsa_next_free_vgpr 1
		.amdhsa_next_free_sgpr 1
		.amdhsa_named_barrier_count 0
		.amdhsa_reserve_vcc 0
		.amdhsa_float_round_mode_32 0
		.amdhsa_float_round_mode_16_64 0
		.amdhsa_float_denorm_mode_32 3
		.amdhsa_float_denorm_mode_16_64 3
		.amdhsa_fp16_overflow 0
		.amdhsa_memory_ordered 1
		.amdhsa_forward_progress 1
		.amdhsa_inst_pref_size 0
		.amdhsa_round_robin_scheduling 0
		.amdhsa_exception_fp_ieee_invalid_op 0
		.amdhsa_exception_fp_denorm_src 0
		.amdhsa_exception_fp_ieee_div_zero 0
		.amdhsa_exception_fp_ieee_overflow 0
		.amdhsa_exception_fp_ieee_underflow 0
		.amdhsa_exception_fp_ieee_inexact 0
		.amdhsa_exception_int_div_zero 0
	.end_amdhsa_kernel
	.section	.text._ZN7rocprim17ROCPRIM_400000_NS6detail17trampoline_kernelINS0_14default_configENS1_32segmented_reduce_config_selectorIfEEZNS1_21segmented_reduce_implIS3_PKfPfPKifN6hipcub16HIPCUB_304000_NS6detail27convert_result_type_wrapperIS8_S9_N2at6native12_GLOBAL__N_110CustomProdEEEEE10hipError_tPvRmT0_T1_jT2_SQ_T4_T3_P12ihipStream_tbEUlT_E_NS1_11comp_targetILNS1_3genE4ELNS1_11target_archE910ELNS1_3gpuE8ELNS1_3repE0EEENS1_30default_config_static_selectorELNS0_4arch9wavefront6targetE0EEEvSP_,"axG",@progbits,_ZN7rocprim17ROCPRIM_400000_NS6detail17trampoline_kernelINS0_14default_configENS1_32segmented_reduce_config_selectorIfEEZNS1_21segmented_reduce_implIS3_PKfPfPKifN6hipcub16HIPCUB_304000_NS6detail27convert_result_type_wrapperIS8_S9_N2at6native12_GLOBAL__N_110CustomProdEEEEE10hipError_tPvRmT0_T1_jT2_SQ_T4_T3_P12ihipStream_tbEUlT_E_NS1_11comp_targetILNS1_3genE4ELNS1_11target_archE910ELNS1_3gpuE8ELNS1_3repE0EEENS1_30default_config_static_selectorELNS0_4arch9wavefront6targetE0EEEvSP_,comdat
.Lfunc_end71:
	.size	_ZN7rocprim17ROCPRIM_400000_NS6detail17trampoline_kernelINS0_14default_configENS1_32segmented_reduce_config_selectorIfEEZNS1_21segmented_reduce_implIS3_PKfPfPKifN6hipcub16HIPCUB_304000_NS6detail27convert_result_type_wrapperIS8_S9_N2at6native12_GLOBAL__N_110CustomProdEEEEE10hipError_tPvRmT0_T1_jT2_SQ_T4_T3_P12ihipStream_tbEUlT_E_NS1_11comp_targetILNS1_3genE4ELNS1_11target_archE910ELNS1_3gpuE8ELNS1_3repE0EEENS1_30default_config_static_selectorELNS0_4arch9wavefront6targetE0EEEvSP_, .Lfunc_end71-_ZN7rocprim17ROCPRIM_400000_NS6detail17trampoline_kernelINS0_14default_configENS1_32segmented_reduce_config_selectorIfEEZNS1_21segmented_reduce_implIS3_PKfPfPKifN6hipcub16HIPCUB_304000_NS6detail27convert_result_type_wrapperIS8_S9_N2at6native12_GLOBAL__N_110CustomProdEEEEE10hipError_tPvRmT0_T1_jT2_SQ_T4_T3_P12ihipStream_tbEUlT_E_NS1_11comp_targetILNS1_3genE4ELNS1_11target_archE910ELNS1_3gpuE8ELNS1_3repE0EEENS1_30default_config_static_selectorELNS0_4arch9wavefront6targetE0EEEvSP_
                                        ; -- End function
	.set _ZN7rocprim17ROCPRIM_400000_NS6detail17trampoline_kernelINS0_14default_configENS1_32segmented_reduce_config_selectorIfEEZNS1_21segmented_reduce_implIS3_PKfPfPKifN6hipcub16HIPCUB_304000_NS6detail27convert_result_type_wrapperIS8_S9_N2at6native12_GLOBAL__N_110CustomProdEEEEE10hipError_tPvRmT0_T1_jT2_SQ_T4_T3_P12ihipStream_tbEUlT_E_NS1_11comp_targetILNS1_3genE4ELNS1_11target_archE910ELNS1_3gpuE8ELNS1_3repE0EEENS1_30default_config_static_selectorELNS0_4arch9wavefront6targetE0EEEvSP_.num_vgpr, 0
	.set _ZN7rocprim17ROCPRIM_400000_NS6detail17trampoline_kernelINS0_14default_configENS1_32segmented_reduce_config_selectorIfEEZNS1_21segmented_reduce_implIS3_PKfPfPKifN6hipcub16HIPCUB_304000_NS6detail27convert_result_type_wrapperIS8_S9_N2at6native12_GLOBAL__N_110CustomProdEEEEE10hipError_tPvRmT0_T1_jT2_SQ_T4_T3_P12ihipStream_tbEUlT_E_NS1_11comp_targetILNS1_3genE4ELNS1_11target_archE910ELNS1_3gpuE8ELNS1_3repE0EEENS1_30default_config_static_selectorELNS0_4arch9wavefront6targetE0EEEvSP_.num_agpr, 0
	.set _ZN7rocprim17ROCPRIM_400000_NS6detail17trampoline_kernelINS0_14default_configENS1_32segmented_reduce_config_selectorIfEEZNS1_21segmented_reduce_implIS3_PKfPfPKifN6hipcub16HIPCUB_304000_NS6detail27convert_result_type_wrapperIS8_S9_N2at6native12_GLOBAL__N_110CustomProdEEEEE10hipError_tPvRmT0_T1_jT2_SQ_T4_T3_P12ihipStream_tbEUlT_E_NS1_11comp_targetILNS1_3genE4ELNS1_11target_archE910ELNS1_3gpuE8ELNS1_3repE0EEENS1_30default_config_static_selectorELNS0_4arch9wavefront6targetE0EEEvSP_.numbered_sgpr, 0
	.set _ZN7rocprim17ROCPRIM_400000_NS6detail17trampoline_kernelINS0_14default_configENS1_32segmented_reduce_config_selectorIfEEZNS1_21segmented_reduce_implIS3_PKfPfPKifN6hipcub16HIPCUB_304000_NS6detail27convert_result_type_wrapperIS8_S9_N2at6native12_GLOBAL__N_110CustomProdEEEEE10hipError_tPvRmT0_T1_jT2_SQ_T4_T3_P12ihipStream_tbEUlT_E_NS1_11comp_targetILNS1_3genE4ELNS1_11target_archE910ELNS1_3gpuE8ELNS1_3repE0EEENS1_30default_config_static_selectorELNS0_4arch9wavefront6targetE0EEEvSP_.num_named_barrier, 0
	.set _ZN7rocprim17ROCPRIM_400000_NS6detail17trampoline_kernelINS0_14default_configENS1_32segmented_reduce_config_selectorIfEEZNS1_21segmented_reduce_implIS3_PKfPfPKifN6hipcub16HIPCUB_304000_NS6detail27convert_result_type_wrapperIS8_S9_N2at6native12_GLOBAL__N_110CustomProdEEEEE10hipError_tPvRmT0_T1_jT2_SQ_T4_T3_P12ihipStream_tbEUlT_E_NS1_11comp_targetILNS1_3genE4ELNS1_11target_archE910ELNS1_3gpuE8ELNS1_3repE0EEENS1_30default_config_static_selectorELNS0_4arch9wavefront6targetE0EEEvSP_.private_seg_size, 0
	.set _ZN7rocprim17ROCPRIM_400000_NS6detail17trampoline_kernelINS0_14default_configENS1_32segmented_reduce_config_selectorIfEEZNS1_21segmented_reduce_implIS3_PKfPfPKifN6hipcub16HIPCUB_304000_NS6detail27convert_result_type_wrapperIS8_S9_N2at6native12_GLOBAL__N_110CustomProdEEEEE10hipError_tPvRmT0_T1_jT2_SQ_T4_T3_P12ihipStream_tbEUlT_E_NS1_11comp_targetILNS1_3genE4ELNS1_11target_archE910ELNS1_3gpuE8ELNS1_3repE0EEENS1_30default_config_static_selectorELNS0_4arch9wavefront6targetE0EEEvSP_.uses_vcc, 0
	.set _ZN7rocprim17ROCPRIM_400000_NS6detail17trampoline_kernelINS0_14default_configENS1_32segmented_reduce_config_selectorIfEEZNS1_21segmented_reduce_implIS3_PKfPfPKifN6hipcub16HIPCUB_304000_NS6detail27convert_result_type_wrapperIS8_S9_N2at6native12_GLOBAL__N_110CustomProdEEEEE10hipError_tPvRmT0_T1_jT2_SQ_T4_T3_P12ihipStream_tbEUlT_E_NS1_11comp_targetILNS1_3genE4ELNS1_11target_archE910ELNS1_3gpuE8ELNS1_3repE0EEENS1_30default_config_static_selectorELNS0_4arch9wavefront6targetE0EEEvSP_.uses_flat_scratch, 0
	.set _ZN7rocprim17ROCPRIM_400000_NS6detail17trampoline_kernelINS0_14default_configENS1_32segmented_reduce_config_selectorIfEEZNS1_21segmented_reduce_implIS3_PKfPfPKifN6hipcub16HIPCUB_304000_NS6detail27convert_result_type_wrapperIS8_S9_N2at6native12_GLOBAL__N_110CustomProdEEEEE10hipError_tPvRmT0_T1_jT2_SQ_T4_T3_P12ihipStream_tbEUlT_E_NS1_11comp_targetILNS1_3genE4ELNS1_11target_archE910ELNS1_3gpuE8ELNS1_3repE0EEENS1_30default_config_static_selectorELNS0_4arch9wavefront6targetE0EEEvSP_.has_dyn_sized_stack, 0
	.set _ZN7rocprim17ROCPRIM_400000_NS6detail17trampoline_kernelINS0_14default_configENS1_32segmented_reduce_config_selectorIfEEZNS1_21segmented_reduce_implIS3_PKfPfPKifN6hipcub16HIPCUB_304000_NS6detail27convert_result_type_wrapperIS8_S9_N2at6native12_GLOBAL__N_110CustomProdEEEEE10hipError_tPvRmT0_T1_jT2_SQ_T4_T3_P12ihipStream_tbEUlT_E_NS1_11comp_targetILNS1_3genE4ELNS1_11target_archE910ELNS1_3gpuE8ELNS1_3repE0EEENS1_30default_config_static_selectorELNS0_4arch9wavefront6targetE0EEEvSP_.has_recursion, 0
	.set _ZN7rocprim17ROCPRIM_400000_NS6detail17trampoline_kernelINS0_14default_configENS1_32segmented_reduce_config_selectorIfEEZNS1_21segmented_reduce_implIS3_PKfPfPKifN6hipcub16HIPCUB_304000_NS6detail27convert_result_type_wrapperIS8_S9_N2at6native12_GLOBAL__N_110CustomProdEEEEE10hipError_tPvRmT0_T1_jT2_SQ_T4_T3_P12ihipStream_tbEUlT_E_NS1_11comp_targetILNS1_3genE4ELNS1_11target_archE910ELNS1_3gpuE8ELNS1_3repE0EEENS1_30default_config_static_selectorELNS0_4arch9wavefront6targetE0EEEvSP_.has_indirect_call, 0
	.section	.AMDGPU.csdata,"",@progbits
; Kernel info:
; codeLenInByte = 0
; TotalNumSgprs: 0
; NumVgprs: 0
; ScratchSize: 0
; MemoryBound: 0
; FloatMode: 240
; IeeeMode: 1
; LDSByteSize: 0 bytes/workgroup (compile time only)
; SGPRBlocks: 0
; VGPRBlocks: 0
; NumSGPRsForWavesPerEU: 1
; NumVGPRsForWavesPerEU: 1
; NamedBarCnt: 0
; Occupancy: 16
; WaveLimiterHint : 0
; COMPUTE_PGM_RSRC2:SCRATCH_EN: 0
; COMPUTE_PGM_RSRC2:USER_SGPR: 2
; COMPUTE_PGM_RSRC2:TRAP_HANDLER: 0
; COMPUTE_PGM_RSRC2:TGID_X_EN: 1
; COMPUTE_PGM_RSRC2:TGID_Y_EN: 0
; COMPUTE_PGM_RSRC2:TGID_Z_EN: 0
; COMPUTE_PGM_RSRC2:TIDIG_COMP_CNT: 0
	.section	.text._ZN7rocprim17ROCPRIM_400000_NS6detail17trampoline_kernelINS0_14default_configENS1_32segmented_reduce_config_selectorIfEEZNS1_21segmented_reduce_implIS3_PKfPfPKifN6hipcub16HIPCUB_304000_NS6detail27convert_result_type_wrapperIS8_S9_N2at6native12_GLOBAL__N_110CustomProdEEEEE10hipError_tPvRmT0_T1_jT2_SQ_T4_T3_P12ihipStream_tbEUlT_E_NS1_11comp_targetILNS1_3genE3ELNS1_11target_archE908ELNS1_3gpuE7ELNS1_3repE0EEENS1_30default_config_static_selectorELNS0_4arch9wavefront6targetE0EEEvSP_,"axG",@progbits,_ZN7rocprim17ROCPRIM_400000_NS6detail17trampoline_kernelINS0_14default_configENS1_32segmented_reduce_config_selectorIfEEZNS1_21segmented_reduce_implIS3_PKfPfPKifN6hipcub16HIPCUB_304000_NS6detail27convert_result_type_wrapperIS8_S9_N2at6native12_GLOBAL__N_110CustomProdEEEEE10hipError_tPvRmT0_T1_jT2_SQ_T4_T3_P12ihipStream_tbEUlT_E_NS1_11comp_targetILNS1_3genE3ELNS1_11target_archE908ELNS1_3gpuE7ELNS1_3repE0EEENS1_30default_config_static_selectorELNS0_4arch9wavefront6targetE0EEEvSP_,comdat
	.globl	_ZN7rocprim17ROCPRIM_400000_NS6detail17trampoline_kernelINS0_14default_configENS1_32segmented_reduce_config_selectorIfEEZNS1_21segmented_reduce_implIS3_PKfPfPKifN6hipcub16HIPCUB_304000_NS6detail27convert_result_type_wrapperIS8_S9_N2at6native12_GLOBAL__N_110CustomProdEEEEE10hipError_tPvRmT0_T1_jT2_SQ_T4_T3_P12ihipStream_tbEUlT_E_NS1_11comp_targetILNS1_3genE3ELNS1_11target_archE908ELNS1_3gpuE7ELNS1_3repE0EEENS1_30default_config_static_selectorELNS0_4arch9wavefront6targetE0EEEvSP_ ; -- Begin function _ZN7rocprim17ROCPRIM_400000_NS6detail17trampoline_kernelINS0_14default_configENS1_32segmented_reduce_config_selectorIfEEZNS1_21segmented_reduce_implIS3_PKfPfPKifN6hipcub16HIPCUB_304000_NS6detail27convert_result_type_wrapperIS8_S9_N2at6native12_GLOBAL__N_110CustomProdEEEEE10hipError_tPvRmT0_T1_jT2_SQ_T4_T3_P12ihipStream_tbEUlT_E_NS1_11comp_targetILNS1_3genE3ELNS1_11target_archE908ELNS1_3gpuE7ELNS1_3repE0EEENS1_30default_config_static_selectorELNS0_4arch9wavefront6targetE0EEEvSP_
	.p2align	8
	.type	_ZN7rocprim17ROCPRIM_400000_NS6detail17trampoline_kernelINS0_14default_configENS1_32segmented_reduce_config_selectorIfEEZNS1_21segmented_reduce_implIS3_PKfPfPKifN6hipcub16HIPCUB_304000_NS6detail27convert_result_type_wrapperIS8_S9_N2at6native12_GLOBAL__N_110CustomProdEEEEE10hipError_tPvRmT0_T1_jT2_SQ_T4_T3_P12ihipStream_tbEUlT_E_NS1_11comp_targetILNS1_3genE3ELNS1_11target_archE908ELNS1_3gpuE7ELNS1_3repE0EEENS1_30default_config_static_selectorELNS0_4arch9wavefront6targetE0EEEvSP_,@function
_ZN7rocprim17ROCPRIM_400000_NS6detail17trampoline_kernelINS0_14default_configENS1_32segmented_reduce_config_selectorIfEEZNS1_21segmented_reduce_implIS3_PKfPfPKifN6hipcub16HIPCUB_304000_NS6detail27convert_result_type_wrapperIS8_S9_N2at6native12_GLOBAL__N_110CustomProdEEEEE10hipError_tPvRmT0_T1_jT2_SQ_T4_T3_P12ihipStream_tbEUlT_E_NS1_11comp_targetILNS1_3genE3ELNS1_11target_archE908ELNS1_3gpuE7ELNS1_3repE0EEENS1_30default_config_static_selectorELNS0_4arch9wavefront6targetE0EEEvSP_: ; @_ZN7rocprim17ROCPRIM_400000_NS6detail17trampoline_kernelINS0_14default_configENS1_32segmented_reduce_config_selectorIfEEZNS1_21segmented_reduce_implIS3_PKfPfPKifN6hipcub16HIPCUB_304000_NS6detail27convert_result_type_wrapperIS8_S9_N2at6native12_GLOBAL__N_110CustomProdEEEEE10hipError_tPvRmT0_T1_jT2_SQ_T4_T3_P12ihipStream_tbEUlT_E_NS1_11comp_targetILNS1_3genE3ELNS1_11target_archE908ELNS1_3gpuE7ELNS1_3repE0EEENS1_30default_config_static_selectorELNS0_4arch9wavefront6targetE0EEEvSP_
; %bb.0:
	.section	.rodata,"a",@progbits
	.p2align	6, 0x0
	.amdhsa_kernel _ZN7rocprim17ROCPRIM_400000_NS6detail17trampoline_kernelINS0_14default_configENS1_32segmented_reduce_config_selectorIfEEZNS1_21segmented_reduce_implIS3_PKfPfPKifN6hipcub16HIPCUB_304000_NS6detail27convert_result_type_wrapperIS8_S9_N2at6native12_GLOBAL__N_110CustomProdEEEEE10hipError_tPvRmT0_T1_jT2_SQ_T4_T3_P12ihipStream_tbEUlT_E_NS1_11comp_targetILNS1_3genE3ELNS1_11target_archE908ELNS1_3gpuE7ELNS1_3repE0EEENS1_30default_config_static_selectorELNS0_4arch9wavefront6targetE0EEEvSP_
		.amdhsa_group_segment_fixed_size 0
		.amdhsa_private_segment_fixed_size 0
		.amdhsa_kernarg_size 48
		.amdhsa_user_sgpr_count 2
		.amdhsa_user_sgpr_dispatch_ptr 0
		.amdhsa_user_sgpr_queue_ptr 0
		.amdhsa_user_sgpr_kernarg_segment_ptr 1
		.amdhsa_user_sgpr_dispatch_id 0
		.amdhsa_user_sgpr_kernarg_preload_length 0
		.amdhsa_user_sgpr_kernarg_preload_offset 0
		.amdhsa_user_sgpr_private_segment_size 0
		.amdhsa_wavefront_size32 1
		.amdhsa_uses_dynamic_stack 0
		.amdhsa_enable_private_segment 0
		.amdhsa_system_sgpr_workgroup_id_x 1
		.amdhsa_system_sgpr_workgroup_id_y 0
		.amdhsa_system_sgpr_workgroup_id_z 0
		.amdhsa_system_sgpr_workgroup_info 0
		.amdhsa_system_vgpr_workitem_id 0
		.amdhsa_next_free_vgpr 1
		.amdhsa_next_free_sgpr 1
		.amdhsa_named_barrier_count 0
		.amdhsa_reserve_vcc 0
		.amdhsa_float_round_mode_32 0
		.amdhsa_float_round_mode_16_64 0
		.amdhsa_float_denorm_mode_32 3
		.amdhsa_float_denorm_mode_16_64 3
		.amdhsa_fp16_overflow 0
		.amdhsa_memory_ordered 1
		.amdhsa_forward_progress 1
		.amdhsa_inst_pref_size 0
		.amdhsa_round_robin_scheduling 0
		.amdhsa_exception_fp_ieee_invalid_op 0
		.amdhsa_exception_fp_denorm_src 0
		.amdhsa_exception_fp_ieee_div_zero 0
		.amdhsa_exception_fp_ieee_overflow 0
		.amdhsa_exception_fp_ieee_underflow 0
		.amdhsa_exception_fp_ieee_inexact 0
		.amdhsa_exception_int_div_zero 0
	.end_amdhsa_kernel
	.section	.text._ZN7rocprim17ROCPRIM_400000_NS6detail17trampoline_kernelINS0_14default_configENS1_32segmented_reduce_config_selectorIfEEZNS1_21segmented_reduce_implIS3_PKfPfPKifN6hipcub16HIPCUB_304000_NS6detail27convert_result_type_wrapperIS8_S9_N2at6native12_GLOBAL__N_110CustomProdEEEEE10hipError_tPvRmT0_T1_jT2_SQ_T4_T3_P12ihipStream_tbEUlT_E_NS1_11comp_targetILNS1_3genE3ELNS1_11target_archE908ELNS1_3gpuE7ELNS1_3repE0EEENS1_30default_config_static_selectorELNS0_4arch9wavefront6targetE0EEEvSP_,"axG",@progbits,_ZN7rocprim17ROCPRIM_400000_NS6detail17trampoline_kernelINS0_14default_configENS1_32segmented_reduce_config_selectorIfEEZNS1_21segmented_reduce_implIS3_PKfPfPKifN6hipcub16HIPCUB_304000_NS6detail27convert_result_type_wrapperIS8_S9_N2at6native12_GLOBAL__N_110CustomProdEEEEE10hipError_tPvRmT0_T1_jT2_SQ_T4_T3_P12ihipStream_tbEUlT_E_NS1_11comp_targetILNS1_3genE3ELNS1_11target_archE908ELNS1_3gpuE7ELNS1_3repE0EEENS1_30default_config_static_selectorELNS0_4arch9wavefront6targetE0EEEvSP_,comdat
.Lfunc_end72:
	.size	_ZN7rocprim17ROCPRIM_400000_NS6detail17trampoline_kernelINS0_14default_configENS1_32segmented_reduce_config_selectorIfEEZNS1_21segmented_reduce_implIS3_PKfPfPKifN6hipcub16HIPCUB_304000_NS6detail27convert_result_type_wrapperIS8_S9_N2at6native12_GLOBAL__N_110CustomProdEEEEE10hipError_tPvRmT0_T1_jT2_SQ_T4_T3_P12ihipStream_tbEUlT_E_NS1_11comp_targetILNS1_3genE3ELNS1_11target_archE908ELNS1_3gpuE7ELNS1_3repE0EEENS1_30default_config_static_selectorELNS0_4arch9wavefront6targetE0EEEvSP_, .Lfunc_end72-_ZN7rocprim17ROCPRIM_400000_NS6detail17trampoline_kernelINS0_14default_configENS1_32segmented_reduce_config_selectorIfEEZNS1_21segmented_reduce_implIS3_PKfPfPKifN6hipcub16HIPCUB_304000_NS6detail27convert_result_type_wrapperIS8_S9_N2at6native12_GLOBAL__N_110CustomProdEEEEE10hipError_tPvRmT0_T1_jT2_SQ_T4_T3_P12ihipStream_tbEUlT_E_NS1_11comp_targetILNS1_3genE3ELNS1_11target_archE908ELNS1_3gpuE7ELNS1_3repE0EEENS1_30default_config_static_selectorELNS0_4arch9wavefront6targetE0EEEvSP_
                                        ; -- End function
	.set _ZN7rocprim17ROCPRIM_400000_NS6detail17trampoline_kernelINS0_14default_configENS1_32segmented_reduce_config_selectorIfEEZNS1_21segmented_reduce_implIS3_PKfPfPKifN6hipcub16HIPCUB_304000_NS6detail27convert_result_type_wrapperIS8_S9_N2at6native12_GLOBAL__N_110CustomProdEEEEE10hipError_tPvRmT0_T1_jT2_SQ_T4_T3_P12ihipStream_tbEUlT_E_NS1_11comp_targetILNS1_3genE3ELNS1_11target_archE908ELNS1_3gpuE7ELNS1_3repE0EEENS1_30default_config_static_selectorELNS0_4arch9wavefront6targetE0EEEvSP_.num_vgpr, 0
	.set _ZN7rocprim17ROCPRIM_400000_NS6detail17trampoline_kernelINS0_14default_configENS1_32segmented_reduce_config_selectorIfEEZNS1_21segmented_reduce_implIS3_PKfPfPKifN6hipcub16HIPCUB_304000_NS6detail27convert_result_type_wrapperIS8_S9_N2at6native12_GLOBAL__N_110CustomProdEEEEE10hipError_tPvRmT0_T1_jT2_SQ_T4_T3_P12ihipStream_tbEUlT_E_NS1_11comp_targetILNS1_3genE3ELNS1_11target_archE908ELNS1_3gpuE7ELNS1_3repE0EEENS1_30default_config_static_selectorELNS0_4arch9wavefront6targetE0EEEvSP_.num_agpr, 0
	.set _ZN7rocprim17ROCPRIM_400000_NS6detail17trampoline_kernelINS0_14default_configENS1_32segmented_reduce_config_selectorIfEEZNS1_21segmented_reduce_implIS3_PKfPfPKifN6hipcub16HIPCUB_304000_NS6detail27convert_result_type_wrapperIS8_S9_N2at6native12_GLOBAL__N_110CustomProdEEEEE10hipError_tPvRmT0_T1_jT2_SQ_T4_T3_P12ihipStream_tbEUlT_E_NS1_11comp_targetILNS1_3genE3ELNS1_11target_archE908ELNS1_3gpuE7ELNS1_3repE0EEENS1_30default_config_static_selectorELNS0_4arch9wavefront6targetE0EEEvSP_.numbered_sgpr, 0
	.set _ZN7rocprim17ROCPRIM_400000_NS6detail17trampoline_kernelINS0_14default_configENS1_32segmented_reduce_config_selectorIfEEZNS1_21segmented_reduce_implIS3_PKfPfPKifN6hipcub16HIPCUB_304000_NS6detail27convert_result_type_wrapperIS8_S9_N2at6native12_GLOBAL__N_110CustomProdEEEEE10hipError_tPvRmT0_T1_jT2_SQ_T4_T3_P12ihipStream_tbEUlT_E_NS1_11comp_targetILNS1_3genE3ELNS1_11target_archE908ELNS1_3gpuE7ELNS1_3repE0EEENS1_30default_config_static_selectorELNS0_4arch9wavefront6targetE0EEEvSP_.num_named_barrier, 0
	.set _ZN7rocprim17ROCPRIM_400000_NS6detail17trampoline_kernelINS0_14default_configENS1_32segmented_reduce_config_selectorIfEEZNS1_21segmented_reduce_implIS3_PKfPfPKifN6hipcub16HIPCUB_304000_NS6detail27convert_result_type_wrapperIS8_S9_N2at6native12_GLOBAL__N_110CustomProdEEEEE10hipError_tPvRmT0_T1_jT2_SQ_T4_T3_P12ihipStream_tbEUlT_E_NS1_11comp_targetILNS1_3genE3ELNS1_11target_archE908ELNS1_3gpuE7ELNS1_3repE0EEENS1_30default_config_static_selectorELNS0_4arch9wavefront6targetE0EEEvSP_.private_seg_size, 0
	.set _ZN7rocprim17ROCPRIM_400000_NS6detail17trampoline_kernelINS0_14default_configENS1_32segmented_reduce_config_selectorIfEEZNS1_21segmented_reduce_implIS3_PKfPfPKifN6hipcub16HIPCUB_304000_NS6detail27convert_result_type_wrapperIS8_S9_N2at6native12_GLOBAL__N_110CustomProdEEEEE10hipError_tPvRmT0_T1_jT2_SQ_T4_T3_P12ihipStream_tbEUlT_E_NS1_11comp_targetILNS1_3genE3ELNS1_11target_archE908ELNS1_3gpuE7ELNS1_3repE0EEENS1_30default_config_static_selectorELNS0_4arch9wavefront6targetE0EEEvSP_.uses_vcc, 0
	.set _ZN7rocprim17ROCPRIM_400000_NS6detail17trampoline_kernelINS0_14default_configENS1_32segmented_reduce_config_selectorIfEEZNS1_21segmented_reduce_implIS3_PKfPfPKifN6hipcub16HIPCUB_304000_NS6detail27convert_result_type_wrapperIS8_S9_N2at6native12_GLOBAL__N_110CustomProdEEEEE10hipError_tPvRmT0_T1_jT2_SQ_T4_T3_P12ihipStream_tbEUlT_E_NS1_11comp_targetILNS1_3genE3ELNS1_11target_archE908ELNS1_3gpuE7ELNS1_3repE0EEENS1_30default_config_static_selectorELNS0_4arch9wavefront6targetE0EEEvSP_.uses_flat_scratch, 0
	.set _ZN7rocprim17ROCPRIM_400000_NS6detail17trampoline_kernelINS0_14default_configENS1_32segmented_reduce_config_selectorIfEEZNS1_21segmented_reduce_implIS3_PKfPfPKifN6hipcub16HIPCUB_304000_NS6detail27convert_result_type_wrapperIS8_S9_N2at6native12_GLOBAL__N_110CustomProdEEEEE10hipError_tPvRmT0_T1_jT2_SQ_T4_T3_P12ihipStream_tbEUlT_E_NS1_11comp_targetILNS1_3genE3ELNS1_11target_archE908ELNS1_3gpuE7ELNS1_3repE0EEENS1_30default_config_static_selectorELNS0_4arch9wavefront6targetE0EEEvSP_.has_dyn_sized_stack, 0
	.set _ZN7rocprim17ROCPRIM_400000_NS6detail17trampoline_kernelINS0_14default_configENS1_32segmented_reduce_config_selectorIfEEZNS1_21segmented_reduce_implIS3_PKfPfPKifN6hipcub16HIPCUB_304000_NS6detail27convert_result_type_wrapperIS8_S9_N2at6native12_GLOBAL__N_110CustomProdEEEEE10hipError_tPvRmT0_T1_jT2_SQ_T4_T3_P12ihipStream_tbEUlT_E_NS1_11comp_targetILNS1_3genE3ELNS1_11target_archE908ELNS1_3gpuE7ELNS1_3repE0EEENS1_30default_config_static_selectorELNS0_4arch9wavefront6targetE0EEEvSP_.has_recursion, 0
	.set _ZN7rocprim17ROCPRIM_400000_NS6detail17trampoline_kernelINS0_14default_configENS1_32segmented_reduce_config_selectorIfEEZNS1_21segmented_reduce_implIS3_PKfPfPKifN6hipcub16HIPCUB_304000_NS6detail27convert_result_type_wrapperIS8_S9_N2at6native12_GLOBAL__N_110CustomProdEEEEE10hipError_tPvRmT0_T1_jT2_SQ_T4_T3_P12ihipStream_tbEUlT_E_NS1_11comp_targetILNS1_3genE3ELNS1_11target_archE908ELNS1_3gpuE7ELNS1_3repE0EEENS1_30default_config_static_selectorELNS0_4arch9wavefront6targetE0EEEvSP_.has_indirect_call, 0
	.section	.AMDGPU.csdata,"",@progbits
; Kernel info:
; codeLenInByte = 0
; TotalNumSgprs: 0
; NumVgprs: 0
; ScratchSize: 0
; MemoryBound: 0
; FloatMode: 240
; IeeeMode: 1
; LDSByteSize: 0 bytes/workgroup (compile time only)
; SGPRBlocks: 0
; VGPRBlocks: 0
; NumSGPRsForWavesPerEU: 1
; NumVGPRsForWavesPerEU: 1
; NamedBarCnt: 0
; Occupancy: 16
; WaveLimiterHint : 0
; COMPUTE_PGM_RSRC2:SCRATCH_EN: 0
; COMPUTE_PGM_RSRC2:USER_SGPR: 2
; COMPUTE_PGM_RSRC2:TRAP_HANDLER: 0
; COMPUTE_PGM_RSRC2:TGID_X_EN: 1
; COMPUTE_PGM_RSRC2:TGID_Y_EN: 0
; COMPUTE_PGM_RSRC2:TGID_Z_EN: 0
; COMPUTE_PGM_RSRC2:TIDIG_COMP_CNT: 0
	.section	.text._ZN7rocprim17ROCPRIM_400000_NS6detail17trampoline_kernelINS0_14default_configENS1_32segmented_reduce_config_selectorIfEEZNS1_21segmented_reduce_implIS3_PKfPfPKifN6hipcub16HIPCUB_304000_NS6detail27convert_result_type_wrapperIS8_S9_N2at6native12_GLOBAL__N_110CustomProdEEEEE10hipError_tPvRmT0_T1_jT2_SQ_T4_T3_P12ihipStream_tbEUlT_E_NS1_11comp_targetILNS1_3genE2ELNS1_11target_archE906ELNS1_3gpuE6ELNS1_3repE0EEENS1_30default_config_static_selectorELNS0_4arch9wavefront6targetE0EEEvSP_,"axG",@progbits,_ZN7rocprim17ROCPRIM_400000_NS6detail17trampoline_kernelINS0_14default_configENS1_32segmented_reduce_config_selectorIfEEZNS1_21segmented_reduce_implIS3_PKfPfPKifN6hipcub16HIPCUB_304000_NS6detail27convert_result_type_wrapperIS8_S9_N2at6native12_GLOBAL__N_110CustomProdEEEEE10hipError_tPvRmT0_T1_jT2_SQ_T4_T3_P12ihipStream_tbEUlT_E_NS1_11comp_targetILNS1_3genE2ELNS1_11target_archE906ELNS1_3gpuE6ELNS1_3repE0EEENS1_30default_config_static_selectorELNS0_4arch9wavefront6targetE0EEEvSP_,comdat
	.globl	_ZN7rocprim17ROCPRIM_400000_NS6detail17trampoline_kernelINS0_14default_configENS1_32segmented_reduce_config_selectorIfEEZNS1_21segmented_reduce_implIS3_PKfPfPKifN6hipcub16HIPCUB_304000_NS6detail27convert_result_type_wrapperIS8_S9_N2at6native12_GLOBAL__N_110CustomProdEEEEE10hipError_tPvRmT0_T1_jT2_SQ_T4_T3_P12ihipStream_tbEUlT_E_NS1_11comp_targetILNS1_3genE2ELNS1_11target_archE906ELNS1_3gpuE6ELNS1_3repE0EEENS1_30default_config_static_selectorELNS0_4arch9wavefront6targetE0EEEvSP_ ; -- Begin function _ZN7rocprim17ROCPRIM_400000_NS6detail17trampoline_kernelINS0_14default_configENS1_32segmented_reduce_config_selectorIfEEZNS1_21segmented_reduce_implIS3_PKfPfPKifN6hipcub16HIPCUB_304000_NS6detail27convert_result_type_wrapperIS8_S9_N2at6native12_GLOBAL__N_110CustomProdEEEEE10hipError_tPvRmT0_T1_jT2_SQ_T4_T3_P12ihipStream_tbEUlT_E_NS1_11comp_targetILNS1_3genE2ELNS1_11target_archE906ELNS1_3gpuE6ELNS1_3repE0EEENS1_30default_config_static_selectorELNS0_4arch9wavefront6targetE0EEEvSP_
	.p2align	8
	.type	_ZN7rocprim17ROCPRIM_400000_NS6detail17trampoline_kernelINS0_14default_configENS1_32segmented_reduce_config_selectorIfEEZNS1_21segmented_reduce_implIS3_PKfPfPKifN6hipcub16HIPCUB_304000_NS6detail27convert_result_type_wrapperIS8_S9_N2at6native12_GLOBAL__N_110CustomProdEEEEE10hipError_tPvRmT0_T1_jT2_SQ_T4_T3_P12ihipStream_tbEUlT_E_NS1_11comp_targetILNS1_3genE2ELNS1_11target_archE906ELNS1_3gpuE6ELNS1_3repE0EEENS1_30default_config_static_selectorELNS0_4arch9wavefront6targetE0EEEvSP_,@function
_ZN7rocprim17ROCPRIM_400000_NS6detail17trampoline_kernelINS0_14default_configENS1_32segmented_reduce_config_selectorIfEEZNS1_21segmented_reduce_implIS3_PKfPfPKifN6hipcub16HIPCUB_304000_NS6detail27convert_result_type_wrapperIS8_S9_N2at6native12_GLOBAL__N_110CustomProdEEEEE10hipError_tPvRmT0_T1_jT2_SQ_T4_T3_P12ihipStream_tbEUlT_E_NS1_11comp_targetILNS1_3genE2ELNS1_11target_archE906ELNS1_3gpuE6ELNS1_3repE0EEENS1_30default_config_static_selectorELNS0_4arch9wavefront6targetE0EEEvSP_: ; @_ZN7rocprim17ROCPRIM_400000_NS6detail17trampoline_kernelINS0_14default_configENS1_32segmented_reduce_config_selectorIfEEZNS1_21segmented_reduce_implIS3_PKfPfPKifN6hipcub16HIPCUB_304000_NS6detail27convert_result_type_wrapperIS8_S9_N2at6native12_GLOBAL__N_110CustomProdEEEEE10hipError_tPvRmT0_T1_jT2_SQ_T4_T3_P12ihipStream_tbEUlT_E_NS1_11comp_targetILNS1_3genE2ELNS1_11target_archE906ELNS1_3gpuE6ELNS1_3repE0EEENS1_30default_config_static_selectorELNS0_4arch9wavefront6targetE0EEEvSP_
; %bb.0:
	.section	.rodata,"a",@progbits
	.p2align	6, 0x0
	.amdhsa_kernel _ZN7rocprim17ROCPRIM_400000_NS6detail17trampoline_kernelINS0_14default_configENS1_32segmented_reduce_config_selectorIfEEZNS1_21segmented_reduce_implIS3_PKfPfPKifN6hipcub16HIPCUB_304000_NS6detail27convert_result_type_wrapperIS8_S9_N2at6native12_GLOBAL__N_110CustomProdEEEEE10hipError_tPvRmT0_T1_jT2_SQ_T4_T3_P12ihipStream_tbEUlT_E_NS1_11comp_targetILNS1_3genE2ELNS1_11target_archE906ELNS1_3gpuE6ELNS1_3repE0EEENS1_30default_config_static_selectorELNS0_4arch9wavefront6targetE0EEEvSP_
		.amdhsa_group_segment_fixed_size 0
		.amdhsa_private_segment_fixed_size 0
		.amdhsa_kernarg_size 48
		.amdhsa_user_sgpr_count 2
		.amdhsa_user_sgpr_dispatch_ptr 0
		.amdhsa_user_sgpr_queue_ptr 0
		.amdhsa_user_sgpr_kernarg_segment_ptr 1
		.amdhsa_user_sgpr_dispatch_id 0
		.amdhsa_user_sgpr_kernarg_preload_length 0
		.amdhsa_user_sgpr_kernarg_preload_offset 0
		.amdhsa_user_sgpr_private_segment_size 0
		.amdhsa_wavefront_size32 1
		.amdhsa_uses_dynamic_stack 0
		.amdhsa_enable_private_segment 0
		.amdhsa_system_sgpr_workgroup_id_x 1
		.amdhsa_system_sgpr_workgroup_id_y 0
		.amdhsa_system_sgpr_workgroup_id_z 0
		.amdhsa_system_sgpr_workgroup_info 0
		.amdhsa_system_vgpr_workitem_id 0
		.amdhsa_next_free_vgpr 1
		.amdhsa_next_free_sgpr 1
		.amdhsa_named_barrier_count 0
		.amdhsa_reserve_vcc 0
		.amdhsa_float_round_mode_32 0
		.amdhsa_float_round_mode_16_64 0
		.amdhsa_float_denorm_mode_32 3
		.amdhsa_float_denorm_mode_16_64 3
		.amdhsa_fp16_overflow 0
		.amdhsa_memory_ordered 1
		.amdhsa_forward_progress 1
		.amdhsa_inst_pref_size 0
		.amdhsa_round_robin_scheduling 0
		.amdhsa_exception_fp_ieee_invalid_op 0
		.amdhsa_exception_fp_denorm_src 0
		.amdhsa_exception_fp_ieee_div_zero 0
		.amdhsa_exception_fp_ieee_overflow 0
		.amdhsa_exception_fp_ieee_underflow 0
		.amdhsa_exception_fp_ieee_inexact 0
		.amdhsa_exception_int_div_zero 0
	.end_amdhsa_kernel
	.section	.text._ZN7rocprim17ROCPRIM_400000_NS6detail17trampoline_kernelINS0_14default_configENS1_32segmented_reduce_config_selectorIfEEZNS1_21segmented_reduce_implIS3_PKfPfPKifN6hipcub16HIPCUB_304000_NS6detail27convert_result_type_wrapperIS8_S9_N2at6native12_GLOBAL__N_110CustomProdEEEEE10hipError_tPvRmT0_T1_jT2_SQ_T4_T3_P12ihipStream_tbEUlT_E_NS1_11comp_targetILNS1_3genE2ELNS1_11target_archE906ELNS1_3gpuE6ELNS1_3repE0EEENS1_30default_config_static_selectorELNS0_4arch9wavefront6targetE0EEEvSP_,"axG",@progbits,_ZN7rocprim17ROCPRIM_400000_NS6detail17trampoline_kernelINS0_14default_configENS1_32segmented_reduce_config_selectorIfEEZNS1_21segmented_reduce_implIS3_PKfPfPKifN6hipcub16HIPCUB_304000_NS6detail27convert_result_type_wrapperIS8_S9_N2at6native12_GLOBAL__N_110CustomProdEEEEE10hipError_tPvRmT0_T1_jT2_SQ_T4_T3_P12ihipStream_tbEUlT_E_NS1_11comp_targetILNS1_3genE2ELNS1_11target_archE906ELNS1_3gpuE6ELNS1_3repE0EEENS1_30default_config_static_selectorELNS0_4arch9wavefront6targetE0EEEvSP_,comdat
.Lfunc_end73:
	.size	_ZN7rocprim17ROCPRIM_400000_NS6detail17trampoline_kernelINS0_14default_configENS1_32segmented_reduce_config_selectorIfEEZNS1_21segmented_reduce_implIS3_PKfPfPKifN6hipcub16HIPCUB_304000_NS6detail27convert_result_type_wrapperIS8_S9_N2at6native12_GLOBAL__N_110CustomProdEEEEE10hipError_tPvRmT0_T1_jT2_SQ_T4_T3_P12ihipStream_tbEUlT_E_NS1_11comp_targetILNS1_3genE2ELNS1_11target_archE906ELNS1_3gpuE6ELNS1_3repE0EEENS1_30default_config_static_selectorELNS0_4arch9wavefront6targetE0EEEvSP_, .Lfunc_end73-_ZN7rocprim17ROCPRIM_400000_NS6detail17trampoline_kernelINS0_14default_configENS1_32segmented_reduce_config_selectorIfEEZNS1_21segmented_reduce_implIS3_PKfPfPKifN6hipcub16HIPCUB_304000_NS6detail27convert_result_type_wrapperIS8_S9_N2at6native12_GLOBAL__N_110CustomProdEEEEE10hipError_tPvRmT0_T1_jT2_SQ_T4_T3_P12ihipStream_tbEUlT_E_NS1_11comp_targetILNS1_3genE2ELNS1_11target_archE906ELNS1_3gpuE6ELNS1_3repE0EEENS1_30default_config_static_selectorELNS0_4arch9wavefront6targetE0EEEvSP_
                                        ; -- End function
	.set _ZN7rocprim17ROCPRIM_400000_NS6detail17trampoline_kernelINS0_14default_configENS1_32segmented_reduce_config_selectorIfEEZNS1_21segmented_reduce_implIS3_PKfPfPKifN6hipcub16HIPCUB_304000_NS6detail27convert_result_type_wrapperIS8_S9_N2at6native12_GLOBAL__N_110CustomProdEEEEE10hipError_tPvRmT0_T1_jT2_SQ_T4_T3_P12ihipStream_tbEUlT_E_NS1_11comp_targetILNS1_3genE2ELNS1_11target_archE906ELNS1_3gpuE6ELNS1_3repE0EEENS1_30default_config_static_selectorELNS0_4arch9wavefront6targetE0EEEvSP_.num_vgpr, 0
	.set _ZN7rocprim17ROCPRIM_400000_NS6detail17trampoline_kernelINS0_14default_configENS1_32segmented_reduce_config_selectorIfEEZNS1_21segmented_reduce_implIS3_PKfPfPKifN6hipcub16HIPCUB_304000_NS6detail27convert_result_type_wrapperIS8_S9_N2at6native12_GLOBAL__N_110CustomProdEEEEE10hipError_tPvRmT0_T1_jT2_SQ_T4_T3_P12ihipStream_tbEUlT_E_NS1_11comp_targetILNS1_3genE2ELNS1_11target_archE906ELNS1_3gpuE6ELNS1_3repE0EEENS1_30default_config_static_selectorELNS0_4arch9wavefront6targetE0EEEvSP_.num_agpr, 0
	.set _ZN7rocprim17ROCPRIM_400000_NS6detail17trampoline_kernelINS0_14default_configENS1_32segmented_reduce_config_selectorIfEEZNS1_21segmented_reduce_implIS3_PKfPfPKifN6hipcub16HIPCUB_304000_NS6detail27convert_result_type_wrapperIS8_S9_N2at6native12_GLOBAL__N_110CustomProdEEEEE10hipError_tPvRmT0_T1_jT2_SQ_T4_T3_P12ihipStream_tbEUlT_E_NS1_11comp_targetILNS1_3genE2ELNS1_11target_archE906ELNS1_3gpuE6ELNS1_3repE0EEENS1_30default_config_static_selectorELNS0_4arch9wavefront6targetE0EEEvSP_.numbered_sgpr, 0
	.set _ZN7rocprim17ROCPRIM_400000_NS6detail17trampoline_kernelINS0_14default_configENS1_32segmented_reduce_config_selectorIfEEZNS1_21segmented_reduce_implIS3_PKfPfPKifN6hipcub16HIPCUB_304000_NS6detail27convert_result_type_wrapperIS8_S9_N2at6native12_GLOBAL__N_110CustomProdEEEEE10hipError_tPvRmT0_T1_jT2_SQ_T4_T3_P12ihipStream_tbEUlT_E_NS1_11comp_targetILNS1_3genE2ELNS1_11target_archE906ELNS1_3gpuE6ELNS1_3repE0EEENS1_30default_config_static_selectorELNS0_4arch9wavefront6targetE0EEEvSP_.num_named_barrier, 0
	.set _ZN7rocprim17ROCPRIM_400000_NS6detail17trampoline_kernelINS0_14default_configENS1_32segmented_reduce_config_selectorIfEEZNS1_21segmented_reduce_implIS3_PKfPfPKifN6hipcub16HIPCUB_304000_NS6detail27convert_result_type_wrapperIS8_S9_N2at6native12_GLOBAL__N_110CustomProdEEEEE10hipError_tPvRmT0_T1_jT2_SQ_T4_T3_P12ihipStream_tbEUlT_E_NS1_11comp_targetILNS1_3genE2ELNS1_11target_archE906ELNS1_3gpuE6ELNS1_3repE0EEENS1_30default_config_static_selectorELNS0_4arch9wavefront6targetE0EEEvSP_.private_seg_size, 0
	.set _ZN7rocprim17ROCPRIM_400000_NS6detail17trampoline_kernelINS0_14default_configENS1_32segmented_reduce_config_selectorIfEEZNS1_21segmented_reduce_implIS3_PKfPfPKifN6hipcub16HIPCUB_304000_NS6detail27convert_result_type_wrapperIS8_S9_N2at6native12_GLOBAL__N_110CustomProdEEEEE10hipError_tPvRmT0_T1_jT2_SQ_T4_T3_P12ihipStream_tbEUlT_E_NS1_11comp_targetILNS1_3genE2ELNS1_11target_archE906ELNS1_3gpuE6ELNS1_3repE0EEENS1_30default_config_static_selectorELNS0_4arch9wavefront6targetE0EEEvSP_.uses_vcc, 0
	.set _ZN7rocprim17ROCPRIM_400000_NS6detail17trampoline_kernelINS0_14default_configENS1_32segmented_reduce_config_selectorIfEEZNS1_21segmented_reduce_implIS3_PKfPfPKifN6hipcub16HIPCUB_304000_NS6detail27convert_result_type_wrapperIS8_S9_N2at6native12_GLOBAL__N_110CustomProdEEEEE10hipError_tPvRmT0_T1_jT2_SQ_T4_T3_P12ihipStream_tbEUlT_E_NS1_11comp_targetILNS1_3genE2ELNS1_11target_archE906ELNS1_3gpuE6ELNS1_3repE0EEENS1_30default_config_static_selectorELNS0_4arch9wavefront6targetE0EEEvSP_.uses_flat_scratch, 0
	.set _ZN7rocprim17ROCPRIM_400000_NS6detail17trampoline_kernelINS0_14default_configENS1_32segmented_reduce_config_selectorIfEEZNS1_21segmented_reduce_implIS3_PKfPfPKifN6hipcub16HIPCUB_304000_NS6detail27convert_result_type_wrapperIS8_S9_N2at6native12_GLOBAL__N_110CustomProdEEEEE10hipError_tPvRmT0_T1_jT2_SQ_T4_T3_P12ihipStream_tbEUlT_E_NS1_11comp_targetILNS1_3genE2ELNS1_11target_archE906ELNS1_3gpuE6ELNS1_3repE0EEENS1_30default_config_static_selectorELNS0_4arch9wavefront6targetE0EEEvSP_.has_dyn_sized_stack, 0
	.set _ZN7rocprim17ROCPRIM_400000_NS6detail17trampoline_kernelINS0_14default_configENS1_32segmented_reduce_config_selectorIfEEZNS1_21segmented_reduce_implIS3_PKfPfPKifN6hipcub16HIPCUB_304000_NS6detail27convert_result_type_wrapperIS8_S9_N2at6native12_GLOBAL__N_110CustomProdEEEEE10hipError_tPvRmT0_T1_jT2_SQ_T4_T3_P12ihipStream_tbEUlT_E_NS1_11comp_targetILNS1_3genE2ELNS1_11target_archE906ELNS1_3gpuE6ELNS1_3repE0EEENS1_30default_config_static_selectorELNS0_4arch9wavefront6targetE0EEEvSP_.has_recursion, 0
	.set _ZN7rocprim17ROCPRIM_400000_NS6detail17trampoline_kernelINS0_14default_configENS1_32segmented_reduce_config_selectorIfEEZNS1_21segmented_reduce_implIS3_PKfPfPKifN6hipcub16HIPCUB_304000_NS6detail27convert_result_type_wrapperIS8_S9_N2at6native12_GLOBAL__N_110CustomProdEEEEE10hipError_tPvRmT0_T1_jT2_SQ_T4_T3_P12ihipStream_tbEUlT_E_NS1_11comp_targetILNS1_3genE2ELNS1_11target_archE906ELNS1_3gpuE6ELNS1_3repE0EEENS1_30default_config_static_selectorELNS0_4arch9wavefront6targetE0EEEvSP_.has_indirect_call, 0
	.section	.AMDGPU.csdata,"",@progbits
; Kernel info:
; codeLenInByte = 0
; TotalNumSgprs: 0
; NumVgprs: 0
; ScratchSize: 0
; MemoryBound: 0
; FloatMode: 240
; IeeeMode: 1
; LDSByteSize: 0 bytes/workgroup (compile time only)
; SGPRBlocks: 0
; VGPRBlocks: 0
; NumSGPRsForWavesPerEU: 1
; NumVGPRsForWavesPerEU: 1
; NamedBarCnt: 0
; Occupancy: 16
; WaveLimiterHint : 0
; COMPUTE_PGM_RSRC2:SCRATCH_EN: 0
; COMPUTE_PGM_RSRC2:USER_SGPR: 2
; COMPUTE_PGM_RSRC2:TRAP_HANDLER: 0
; COMPUTE_PGM_RSRC2:TGID_X_EN: 1
; COMPUTE_PGM_RSRC2:TGID_Y_EN: 0
; COMPUTE_PGM_RSRC2:TGID_Z_EN: 0
; COMPUTE_PGM_RSRC2:TIDIG_COMP_CNT: 0
	.section	.text._ZN7rocprim17ROCPRIM_400000_NS6detail17trampoline_kernelINS0_14default_configENS1_32segmented_reduce_config_selectorIfEEZNS1_21segmented_reduce_implIS3_PKfPfPKifN6hipcub16HIPCUB_304000_NS6detail27convert_result_type_wrapperIS8_S9_N2at6native12_GLOBAL__N_110CustomProdEEEEE10hipError_tPvRmT0_T1_jT2_SQ_T4_T3_P12ihipStream_tbEUlT_E_NS1_11comp_targetILNS1_3genE9ELNS1_11target_archE1100ELNS1_3gpuE3ELNS1_3repE0EEENS1_30default_config_static_selectorELNS0_4arch9wavefront6targetE0EEEvSP_,"axG",@progbits,_ZN7rocprim17ROCPRIM_400000_NS6detail17trampoline_kernelINS0_14default_configENS1_32segmented_reduce_config_selectorIfEEZNS1_21segmented_reduce_implIS3_PKfPfPKifN6hipcub16HIPCUB_304000_NS6detail27convert_result_type_wrapperIS8_S9_N2at6native12_GLOBAL__N_110CustomProdEEEEE10hipError_tPvRmT0_T1_jT2_SQ_T4_T3_P12ihipStream_tbEUlT_E_NS1_11comp_targetILNS1_3genE9ELNS1_11target_archE1100ELNS1_3gpuE3ELNS1_3repE0EEENS1_30default_config_static_selectorELNS0_4arch9wavefront6targetE0EEEvSP_,comdat
	.globl	_ZN7rocprim17ROCPRIM_400000_NS6detail17trampoline_kernelINS0_14default_configENS1_32segmented_reduce_config_selectorIfEEZNS1_21segmented_reduce_implIS3_PKfPfPKifN6hipcub16HIPCUB_304000_NS6detail27convert_result_type_wrapperIS8_S9_N2at6native12_GLOBAL__N_110CustomProdEEEEE10hipError_tPvRmT0_T1_jT2_SQ_T4_T3_P12ihipStream_tbEUlT_E_NS1_11comp_targetILNS1_3genE9ELNS1_11target_archE1100ELNS1_3gpuE3ELNS1_3repE0EEENS1_30default_config_static_selectorELNS0_4arch9wavefront6targetE0EEEvSP_ ; -- Begin function _ZN7rocprim17ROCPRIM_400000_NS6detail17trampoline_kernelINS0_14default_configENS1_32segmented_reduce_config_selectorIfEEZNS1_21segmented_reduce_implIS3_PKfPfPKifN6hipcub16HIPCUB_304000_NS6detail27convert_result_type_wrapperIS8_S9_N2at6native12_GLOBAL__N_110CustomProdEEEEE10hipError_tPvRmT0_T1_jT2_SQ_T4_T3_P12ihipStream_tbEUlT_E_NS1_11comp_targetILNS1_3genE9ELNS1_11target_archE1100ELNS1_3gpuE3ELNS1_3repE0EEENS1_30default_config_static_selectorELNS0_4arch9wavefront6targetE0EEEvSP_
	.p2align	8
	.type	_ZN7rocprim17ROCPRIM_400000_NS6detail17trampoline_kernelINS0_14default_configENS1_32segmented_reduce_config_selectorIfEEZNS1_21segmented_reduce_implIS3_PKfPfPKifN6hipcub16HIPCUB_304000_NS6detail27convert_result_type_wrapperIS8_S9_N2at6native12_GLOBAL__N_110CustomProdEEEEE10hipError_tPvRmT0_T1_jT2_SQ_T4_T3_P12ihipStream_tbEUlT_E_NS1_11comp_targetILNS1_3genE9ELNS1_11target_archE1100ELNS1_3gpuE3ELNS1_3repE0EEENS1_30default_config_static_selectorELNS0_4arch9wavefront6targetE0EEEvSP_,@function
_ZN7rocprim17ROCPRIM_400000_NS6detail17trampoline_kernelINS0_14default_configENS1_32segmented_reduce_config_selectorIfEEZNS1_21segmented_reduce_implIS3_PKfPfPKifN6hipcub16HIPCUB_304000_NS6detail27convert_result_type_wrapperIS8_S9_N2at6native12_GLOBAL__N_110CustomProdEEEEE10hipError_tPvRmT0_T1_jT2_SQ_T4_T3_P12ihipStream_tbEUlT_E_NS1_11comp_targetILNS1_3genE9ELNS1_11target_archE1100ELNS1_3gpuE3ELNS1_3repE0EEENS1_30default_config_static_selectorELNS0_4arch9wavefront6targetE0EEEvSP_: ; @_ZN7rocprim17ROCPRIM_400000_NS6detail17trampoline_kernelINS0_14default_configENS1_32segmented_reduce_config_selectorIfEEZNS1_21segmented_reduce_implIS3_PKfPfPKifN6hipcub16HIPCUB_304000_NS6detail27convert_result_type_wrapperIS8_S9_N2at6native12_GLOBAL__N_110CustomProdEEEEE10hipError_tPvRmT0_T1_jT2_SQ_T4_T3_P12ihipStream_tbEUlT_E_NS1_11comp_targetILNS1_3genE9ELNS1_11target_archE1100ELNS1_3gpuE3ELNS1_3repE0EEENS1_30default_config_static_selectorELNS0_4arch9wavefront6targetE0EEEvSP_
; %bb.0:
	.section	.rodata,"a",@progbits
	.p2align	6, 0x0
	.amdhsa_kernel _ZN7rocprim17ROCPRIM_400000_NS6detail17trampoline_kernelINS0_14default_configENS1_32segmented_reduce_config_selectorIfEEZNS1_21segmented_reduce_implIS3_PKfPfPKifN6hipcub16HIPCUB_304000_NS6detail27convert_result_type_wrapperIS8_S9_N2at6native12_GLOBAL__N_110CustomProdEEEEE10hipError_tPvRmT0_T1_jT2_SQ_T4_T3_P12ihipStream_tbEUlT_E_NS1_11comp_targetILNS1_3genE9ELNS1_11target_archE1100ELNS1_3gpuE3ELNS1_3repE0EEENS1_30default_config_static_selectorELNS0_4arch9wavefront6targetE0EEEvSP_
		.amdhsa_group_segment_fixed_size 0
		.amdhsa_private_segment_fixed_size 0
		.amdhsa_kernarg_size 48
		.amdhsa_user_sgpr_count 2
		.amdhsa_user_sgpr_dispatch_ptr 0
		.amdhsa_user_sgpr_queue_ptr 0
		.amdhsa_user_sgpr_kernarg_segment_ptr 1
		.amdhsa_user_sgpr_dispatch_id 0
		.amdhsa_user_sgpr_kernarg_preload_length 0
		.amdhsa_user_sgpr_kernarg_preload_offset 0
		.amdhsa_user_sgpr_private_segment_size 0
		.amdhsa_wavefront_size32 1
		.amdhsa_uses_dynamic_stack 0
		.amdhsa_enable_private_segment 0
		.amdhsa_system_sgpr_workgroup_id_x 1
		.amdhsa_system_sgpr_workgroup_id_y 0
		.amdhsa_system_sgpr_workgroup_id_z 0
		.amdhsa_system_sgpr_workgroup_info 0
		.amdhsa_system_vgpr_workitem_id 0
		.amdhsa_next_free_vgpr 1
		.amdhsa_next_free_sgpr 1
		.amdhsa_named_barrier_count 0
		.amdhsa_reserve_vcc 0
		.amdhsa_float_round_mode_32 0
		.amdhsa_float_round_mode_16_64 0
		.amdhsa_float_denorm_mode_32 3
		.amdhsa_float_denorm_mode_16_64 3
		.amdhsa_fp16_overflow 0
		.amdhsa_memory_ordered 1
		.amdhsa_forward_progress 1
		.amdhsa_inst_pref_size 0
		.amdhsa_round_robin_scheduling 0
		.amdhsa_exception_fp_ieee_invalid_op 0
		.amdhsa_exception_fp_denorm_src 0
		.amdhsa_exception_fp_ieee_div_zero 0
		.amdhsa_exception_fp_ieee_overflow 0
		.amdhsa_exception_fp_ieee_underflow 0
		.amdhsa_exception_fp_ieee_inexact 0
		.amdhsa_exception_int_div_zero 0
	.end_amdhsa_kernel
	.section	.text._ZN7rocprim17ROCPRIM_400000_NS6detail17trampoline_kernelINS0_14default_configENS1_32segmented_reduce_config_selectorIfEEZNS1_21segmented_reduce_implIS3_PKfPfPKifN6hipcub16HIPCUB_304000_NS6detail27convert_result_type_wrapperIS8_S9_N2at6native12_GLOBAL__N_110CustomProdEEEEE10hipError_tPvRmT0_T1_jT2_SQ_T4_T3_P12ihipStream_tbEUlT_E_NS1_11comp_targetILNS1_3genE9ELNS1_11target_archE1100ELNS1_3gpuE3ELNS1_3repE0EEENS1_30default_config_static_selectorELNS0_4arch9wavefront6targetE0EEEvSP_,"axG",@progbits,_ZN7rocprim17ROCPRIM_400000_NS6detail17trampoline_kernelINS0_14default_configENS1_32segmented_reduce_config_selectorIfEEZNS1_21segmented_reduce_implIS3_PKfPfPKifN6hipcub16HIPCUB_304000_NS6detail27convert_result_type_wrapperIS8_S9_N2at6native12_GLOBAL__N_110CustomProdEEEEE10hipError_tPvRmT0_T1_jT2_SQ_T4_T3_P12ihipStream_tbEUlT_E_NS1_11comp_targetILNS1_3genE9ELNS1_11target_archE1100ELNS1_3gpuE3ELNS1_3repE0EEENS1_30default_config_static_selectorELNS0_4arch9wavefront6targetE0EEEvSP_,comdat
.Lfunc_end74:
	.size	_ZN7rocprim17ROCPRIM_400000_NS6detail17trampoline_kernelINS0_14default_configENS1_32segmented_reduce_config_selectorIfEEZNS1_21segmented_reduce_implIS3_PKfPfPKifN6hipcub16HIPCUB_304000_NS6detail27convert_result_type_wrapperIS8_S9_N2at6native12_GLOBAL__N_110CustomProdEEEEE10hipError_tPvRmT0_T1_jT2_SQ_T4_T3_P12ihipStream_tbEUlT_E_NS1_11comp_targetILNS1_3genE9ELNS1_11target_archE1100ELNS1_3gpuE3ELNS1_3repE0EEENS1_30default_config_static_selectorELNS0_4arch9wavefront6targetE0EEEvSP_, .Lfunc_end74-_ZN7rocprim17ROCPRIM_400000_NS6detail17trampoline_kernelINS0_14default_configENS1_32segmented_reduce_config_selectorIfEEZNS1_21segmented_reduce_implIS3_PKfPfPKifN6hipcub16HIPCUB_304000_NS6detail27convert_result_type_wrapperIS8_S9_N2at6native12_GLOBAL__N_110CustomProdEEEEE10hipError_tPvRmT0_T1_jT2_SQ_T4_T3_P12ihipStream_tbEUlT_E_NS1_11comp_targetILNS1_3genE9ELNS1_11target_archE1100ELNS1_3gpuE3ELNS1_3repE0EEENS1_30default_config_static_selectorELNS0_4arch9wavefront6targetE0EEEvSP_
                                        ; -- End function
	.set _ZN7rocprim17ROCPRIM_400000_NS6detail17trampoline_kernelINS0_14default_configENS1_32segmented_reduce_config_selectorIfEEZNS1_21segmented_reduce_implIS3_PKfPfPKifN6hipcub16HIPCUB_304000_NS6detail27convert_result_type_wrapperIS8_S9_N2at6native12_GLOBAL__N_110CustomProdEEEEE10hipError_tPvRmT0_T1_jT2_SQ_T4_T3_P12ihipStream_tbEUlT_E_NS1_11comp_targetILNS1_3genE9ELNS1_11target_archE1100ELNS1_3gpuE3ELNS1_3repE0EEENS1_30default_config_static_selectorELNS0_4arch9wavefront6targetE0EEEvSP_.num_vgpr, 0
	.set _ZN7rocprim17ROCPRIM_400000_NS6detail17trampoline_kernelINS0_14default_configENS1_32segmented_reduce_config_selectorIfEEZNS1_21segmented_reduce_implIS3_PKfPfPKifN6hipcub16HIPCUB_304000_NS6detail27convert_result_type_wrapperIS8_S9_N2at6native12_GLOBAL__N_110CustomProdEEEEE10hipError_tPvRmT0_T1_jT2_SQ_T4_T3_P12ihipStream_tbEUlT_E_NS1_11comp_targetILNS1_3genE9ELNS1_11target_archE1100ELNS1_3gpuE3ELNS1_3repE0EEENS1_30default_config_static_selectorELNS0_4arch9wavefront6targetE0EEEvSP_.num_agpr, 0
	.set _ZN7rocprim17ROCPRIM_400000_NS6detail17trampoline_kernelINS0_14default_configENS1_32segmented_reduce_config_selectorIfEEZNS1_21segmented_reduce_implIS3_PKfPfPKifN6hipcub16HIPCUB_304000_NS6detail27convert_result_type_wrapperIS8_S9_N2at6native12_GLOBAL__N_110CustomProdEEEEE10hipError_tPvRmT0_T1_jT2_SQ_T4_T3_P12ihipStream_tbEUlT_E_NS1_11comp_targetILNS1_3genE9ELNS1_11target_archE1100ELNS1_3gpuE3ELNS1_3repE0EEENS1_30default_config_static_selectorELNS0_4arch9wavefront6targetE0EEEvSP_.numbered_sgpr, 0
	.set _ZN7rocprim17ROCPRIM_400000_NS6detail17trampoline_kernelINS0_14default_configENS1_32segmented_reduce_config_selectorIfEEZNS1_21segmented_reduce_implIS3_PKfPfPKifN6hipcub16HIPCUB_304000_NS6detail27convert_result_type_wrapperIS8_S9_N2at6native12_GLOBAL__N_110CustomProdEEEEE10hipError_tPvRmT0_T1_jT2_SQ_T4_T3_P12ihipStream_tbEUlT_E_NS1_11comp_targetILNS1_3genE9ELNS1_11target_archE1100ELNS1_3gpuE3ELNS1_3repE0EEENS1_30default_config_static_selectorELNS0_4arch9wavefront6targetE0EEEvSP_.num_named_barrier, 0
	.set _ZN7rocprim17ROCPRIM_400000_NS6detail17trampoline_kernelINS0_14default_configENS1_32segmented_reduce_config_selectorIfEEZNS1_21segmented_reduce_implIS3_PKfPfPKifN6hipcub16HIPCUB_304000_NS6detail27convert_result_type_wrapperIS8_S9_N2at6native12_GLOBAL__N_110CustomProdEEEEE10hipError_tPvRmT0_T1_jT2_SQ_T4_T3_P12ihipStream_tbEUlT_E_NS1_11comp_targetILNS1_3genE9ELNS1_11target_archE1100ELNS1_3gpuE3ELNS1_3repE0EEENS1_30default_config_static_selectorELNS0_4arch9wavefront6targetE0EEEvSP_.private_seg_size, 0
	.set _ZN7rocprim17ROCPRIM_400000_NS6detail17trampoline_kernelINS0_14default_configENS1_32segmented_reduce_config_selectorIfEEZNS1_21segmented_reduce_implIS3_PKfPfPKifN6hipcub16HIPCUB_304000_NS6detail27convert_result_type_wrapperIS8_S9_N2at6native12_GLOBAL__N_110CustomProdEEEEE10hipError_tPvRmT0_T1_jT2_SQ_T4_T3_P12ihipStream_tbEUlT_E_NS1_11comp_targetILNS1_3genE9ELNS1_11target_archE1100ELNS1_3gpuE3ELNS1_3repE0EEENS1_30default_config_static_selectorELNS0_4arch9wavefront6targetE0EEEvSP_.uses_vcc, 0
	.set _ZN7rocprim17ROCPRIM_400000_NS6detail17trampoline_kernelINS0_14default_configENS1_32segmented_reduce_config_selectorIfEEZNS1_21segmented_reduce_implIS3_PKfPfPKifN6hipcub16HIPCUB_304000_NS6detail27convert_result_type_wrapperIS8_S9_N2at6native12_GLOBAL__N_110CustomProdEEEEE10hipError_tPvRmT0_T1_jT2_SQ_T4_T3_P12ihipStream_tbEUlT_E_NS1_11comp_targetILNS1_3genE9ELNS1_11target_archE1100ELNS1_3gpuE3ELNS1_3repE0EEENS1_30default_config_static_selectorELNS0_4arch9wavefront6targetE0EEEvSP_.uses_flat_scratch, 0
	.set _ZN7rocprim17ROCPRIM_400000_NS6detail17trampoline_kernelINS0_14default_configENS1_32segmented_reduce_config_selectorIfEEZNS1_21segmented_reduce_implIS3_PKfPfPKifN6hipcub16HIPCUB_304000_NS6detail27convert_result_type_wrapperIS8_S9_N2at6native12_GLOBAL__N_110CustomProdEEEEE10hipError_tPvRmT0_T1_jT2_SQ_T4_T3_P12ihipStream_tbEUlT_E_NS1_11comp_targetILNS1_3genE9ELNS1_11target_archE1100ELNS1_3gpuE3ELNS1_3repE0EEENS1_30default_config_static_selectorELNS0_4arch9wavefront6targetE0EEEvSP_.has_dyn_sized_stack, 0
	.set _ZN7rocprim17ROCPRIM_400000_NS6detail17trampoline_kernelINS0_14default_configENS1_32segmented_reduce_config_selectorIfEEZNS1_21segmented_reduce_implIS3_PKfPfPKifN6hipcub16HIPCUB_304000_NS6detail27convert_result_type_wrapperIS8_S9_N2at6native12_GLOBAL__N_110CustomProdEEEEE10hipError_tPvRmT0_T1_jT2_SQ_T4_T3_P12ihipStream_tbEUlT_E_NS1_11comp_targetILNS1_3genE9ELNS1_11target_archE1100ELNS1_3gpuE3ELNS1_3repE0EEENS1_30default_config_static_selectorELNS0_4arch9wavefront6targetE0EEEvSP_.has_recursion, 0
	.set _ZN7rocprim17ROCPRIM_400000_NS6detail17trampoline_kernelINS0_14default_configENS1_32segmented_reduce_config_selectorIfEEZNS1_21segmented_reduce_implIS3_PKfPfPKifN6hipcub16HIPCUB_304000_NS6detail27convert_result_type_wrapperIS8_S9_N2at6native12_GLOBAL__N_110CustomProdEEEEE10hipError_tPvRmT0_T1_jT2_SQ_T4_T3_P12ihipStream_tbEUlT_E_NS1_11comp_targetILNS1_3genE9ELNS1_11target_archE1100ELNS1_3gpuE3ELNS1_3repE0EEENS1_30default_config_static_selectorELNS0_4arch9wavefront6targetE0EEEvSP_.has_indirect_call, 0
	.section	.AMDGPU.csdata,"",@progbits
; Kernel info:
; codeLenInByte = 0
; TotalNumSgprs: 0
; NumVgprs: 0
; ScratchSize: 0
; MemoryBound: 0
; FloatMode: 240
; IeeeMode: 1
; LDSByteSize: 0 bytes/workgroup (compile time only)
; SGPRBlocks: 0
; VGPRBlocks: 0
; NumSGPRsForWavesPerEU: 1
; NumVGPRsForWavesPerEU: 1
; NamedBarCnt: 0
; Occupancy: 16
; WaveLimiterHint : 0
; COMPUTE_PGM_RSRC2:SCRATCH_EN: 0
; COMPUTE_PGM_RSRC2:USER_SGPR: 2
; COMPUTE_PGM_RSRC2:TRAP_HANDLER: 0
; COMPUTE_PGM_RSRC2:TGID_X_EN: 1
; COMPUTE_PGM_RSRC2:TGID_Y_EN: 0
; COMPUTE_PGM_RSRC2:TGID_Z_EN: 0
; COMPUTE_PGM_RSRC2:TIDIG_COMP_CNT: 0
	.section	.text._ZN7rocprim17ROCPRIM_400000_NS6detail17trampoline_kernelINS0_14default_configENS1_32segmented_reduce_config_selectorIfEEZNS1_21segmented_reduce_implIS3_PKfPfPKifN6hipcub16HIPCUB_304000_NS6detail27convert_result_type_wrapperIS8_S9_N2at6native12_GLOBAL__N_110CustomProdEEEEE10hipError_tPvRmT0_T1_jT2_SQ_T4_T3_P12ihipStream_tbEUlT_E_NS1_11comp_targetILNS1_3genE8ELNS1_11target_archE1030ELNS1_3gpuE2ELNS1_3repE0EEENS1_30default_config_static_selectorELNS0_4arch9wavefront6targetE0EEEvSP_,"axG",@progbits,_ZN7rocprim17ROCPRIM_400000_NS6detail17trampoline_kernelINS0_14default_configENS1_32segmented_reduce_config_selectorIfEEZNS1_21segmented_reduce_implIS3_PKfPfPKifN6hipcub16HIPCUB_304000_NS6detail27convert_result_type_wrapperIS8_S9_N2at6native12_GLOBAL__N_110CustomProdEEEEE10hipError_tPvRmT0_T1_jT2_SQ_T4_T3_P12ihipStream_tbEUlT_E_NS1_11comp_targetILNS1_3genE8ELNS1_11target_archE1030ELNS1_3gpuE2ELNS1_3repE0EEENS1_30default_config_static_selectorELNS0_4arch9wavefront6targetE0EEEvSP_,comdat
	.globl	_ZN7rocprim17ROCPRIM_400000_NS6detail17trampoline_kernelINS0_14default_configENS1_32segmented_reduce_config_selectorIfEEZNS1_21segmented_reduce_implIS3_PKfPfPKifN6hipcub16HIPCUB_304000_NS6detail27convert_result_type_wrapperIS8_S9_N2at6native12_GLOBAL__N_110CustomProdEEEEE10hipError_tPvRmT0_T1_jT2_SQ_T4_T3_P12ihipStream_tbEUlT_E_NS1_11comp_targetILNS1_3genE8ELNS1_11target_archE1030ELNS1_3gpuE2ELNS1_3repE0EEENS1_30default_config_static_selectorELNS0_4arch9wavefront6targetE0EEEvSP_ ; -- Begin function _ZN7rocprim17ROCPRIM_400000_NS6detail17trampoline_kernelINS0_14default_configENS1_32segmented_reduce_config_selectorIfEEZNS1_21segmented_reduce_implIS3_PKfPfPKifN6hipcub16HIPCUB_304000_NS6detail27convert_result_type_wrapperIS8_S9_N2at6native12_GLOBAL__N_110CustomProdEEEEE10hipError_tPvRmT0_T1_jT2_SQ_T4_T3_P12ihipStream_tbEUlT_E_NS1_11comp_targetILNS1_3genE8ELNS1_11target_archE1030ELNS1_3gpuE2ELNS1_3repE0EEENS1_30default_config_static_selectorELNS0_4arch9wavefront6targetE0EEEvSP_
	.p2align	8
	.type	_ZN7rocprim17ROCPRIM_400000_NS6detail17trampoline_kernelINS0_14default_configENS1_32segmented_reduce_config_selectorIfEEZNS1_21segmented_reduce_implIS3_PKfPfPKifN6hipcub16HIPCUB_304000_NS6detail27convert_result_type_wrapperIS8_S9_N2at6native12_GLOBAL__N_110CustomProdEEEEE10hipError_tPvRmT0_T1_jT2_SQ_T4_T3_P12ihipStream_tbEUlT_E_NS1_11comp_targetILNS1_3genE8ELNS1_11target_archE1030ELNS1_3gpuE2ELNS1_3repE0EEENS1_30default_config_static_selectorELNS0_4arch9wavefront6targetE0EEEvSP_,@function
_ZN7rocprim17ROCPRIM_400000_NS6detail17trampoline_kernelINS0_14default_configENS1_32segmented_reduce_config_selectorIfEEZNS1_21segmented_reduce_implIS3_PKfPfPKifN6hipcub16HIPCUB_304000_NS6detail27convert_result_type_wrapperIS8_S9_N2at6native12_GLOBAL__N_110CustomProdEEEEE10hipError_tPvRmT0_T1_jT2_SQ_T4_T3_P12ihipStream_tbEUlT_E_NS1_11comp_targetILNS1_3genE8ELNS1_11target_archE1030ELNS1_3gpuE2ELNS1_3repE0EEENS1_30default_config_static_selectorELNS0_4arch9wavefront6targetE0EEEvSP_: ; @_ZN7rocprim17ROCPRIM_400000_NS6detail17trampoline_kernelINS0_14default_configENS1_32segmented_reduce_config_selectorIfEEZNS1_21segmented_reduce_implIS3_PKfPfPKifN6hipcub16HIPCUB_304000_NS6detail27convert_result_type_wrapperIS8_S9_N2at6native12_GLOBAL__N_110CustomProdEEEEE10hipError_tPvRmT0_T1_jT2_SQ_T4_T3_P12ihipStream_tbEUlT_E_NS1_11comp_targetILNS1_3genE8ELNS1_11target_archE1030ELNS1_3gpuE2ELNS1_3repE0EEENS1_30default_config_static_selectorELNS0_4arch9wavefront6targetE0EEEvSP_
; %bb.0:
	.section	.rodata,"a",@progbits
	.p2align	6, 0x0
	.amdhsa_kernel _ZN7rocprim17ROCPRIM_400000_NS6detail17trampoline_kernelINS0_14default_configENS1_32segmented_reduce_config_selectorIfEEZNS1_21segmented_reduce_implIS3_PKfPfPKifN6hipcub16HIPCUB_304000_NS6detail27convert_result_type_wrapperIS8_S9_N2at6native12_GLOBAL__N_110CustomProdEEEEE10hipError_tPvRmT0_T1_jT2_SQ_T4_T3_P12ihipStream_tbEUlT_E_NS1_11comp_targetILNS1_3genE8ELNS1_11target_archE1030ELNS1_3gpuE2ELNS1_3repE0EEENS1_30default_config_static_selectorELNS0_4arch9wavefront6targetE0EEEvSP_
		.amdhsa_group_segment_fixed_size 0
		.amdhsa_private_segment_fixed_size 0
		.amdhsa_kernarg_size 48
		.amdhsa_user_sgpr_count 2
		.amdhsa_user_sgpr_dispatch_ptr 0
		.amdhsa_user_sgpr_queue_ptr 0
		.amdhsa_user_sgpr_kernarg_segment_ptr 1
		.amdhsa_user_sgpr_dispatch_id 0
		.amdhsa_user_sgpr_kernarg_preload_length 0
		.amdhsa_user_sgpr_kernarg_preload_offset 0
		.amdhsa_user_sgpr_private_segment_size 0
		.amdhsa_wavefront_size32 1
		.amdhsa_uses_dynamic_stack 0
		.amdhsa_enable_private_segment 0
		.amdhsa_system_sgpr_workgroup_id_x 1
		.amdhsa_system_sgpr_workgroup_id_y 0
		.amdhsa_system_sgpr_workgroup_id_z 0
		.amdhsa_system_sgpr_workgroup_info 0
		.amdhsa_system_vgpr_workitem_id 0
		.amdhsa_next_free_vgpr 1
		.amdhsa_next_free_sgpr 1
		.amdhsa_named_barrier_count 0
		.amdhsa_reserve_vcc 0
		.amdhsa_float_round_mode_32 0
		.amdhsa_float_round_mode_16_64 0
		.amdhsa_float_denorm_mode_32 3
		.amdhsa_float_denorm_mode_16_64 3
		.amdhsa_fp16_overflow 0
		.amdhsa_memory_ordered 1
		.amdhsa_forward_progress 1
		.amdhsa_inst_pref_size 0
		.amdhsa_round_robin_scheduling 0
		.amdhsa_exception_fp_ieee_invalid_op 0
		.amdhsa_exception_fp_denorm_src 0
		.amdhsa_exception_fp_ieee_div_zero 0
		.amdhsa_exception_fp_ieee_overflow 0
		.amdhsa_exception_fp_ieee_underflow 0
		.amdhsa_exception_fp_ieee_inexact 0
		.amdhsa_exception_int_div_zero 0
	.end_amdhsa_kernel
	.section	.text._ZN7rocprim17ROCPRIM_400000_NS6detail17trampoline_kernelINS0_14default_configENS1_32segmented_reduce_config_selectorIfEEZNS1_21segmented_reduce_implIS3_PKfPfPKifN6hipcub16HIPCUB_304000_NS6detail27convert_result_type_wrapperIS8_S9_N2at6native12_GLOBAL__N_110CustomProdEEEEE10hipError_tPvRmT0_T1_jT2_SQ_T4_T3_P12ihipStream_tbEUlT_E_NS1_11comp_targetILNS1_3genE8ELNS1_11target_archE1030ELNS1_3gpuE2ELNS1_3repE0EEENS1_30default_config_static_selectorELNS0_4arch9wavefront6targetE0EEEvSP_,"axG",@progbits,_ZN7rocprim17ROCPRIM_400000_NS6detail17trampoline_kernelINS0_14default_configENS1_32segmented_reduce_config_selectorIfEEZNS1_21segmented_reduce_implIS3_PKfPfPKifN6hipcub16HIPCUB_304000_NS6detail27convert_result_type_wrapperIS8_S9_N2at6native12_GLOBAL__N_110CustomProdEEEEE10hipError_tPvRmT0_T1_jT2_SQ_T4_T3_P12ihipStream_tbEUlT_E_NS1_11comp_targetILNS1_3genE8ELNS1_11target_archE1030ELNS1_3gpuE2ELNS1_3repE0EEENS1_30default_config_static_selectorELNS0_4arch9wavefront6targetE0EEEvSP_,comdat
.Lfunc_end75:
	.size	_ZN7rocprim17ROCPRIM_400000_NS6detail17trampoline_kernelINS0_14default_configENS1_32segmented_reduce_config_selectorIfEEZNS1_21segmented_reduce_implIS3_PKfPfPKifN6hipcub16HIPCUB_304000_NS6detail27convert_result_type_wrapperIS8_S9_N2at6native12_GLOBAL__N_110CustomProdEEEEE10hipError_tPvRmT0_T1_jT2_SQ_T4_T3_P12ihipStream_tbEUlT_E_NS1_11comp_targetILNS1_3genE8ELNS1_11target_archE1030ELNS1_3gpuE2ELNS1_3repE0EEENS1_30default_config_static_selectorELNS0_4arch9wavefront6targetE0EEEvSP_, .Lfunc_end75-_ZN7rocprim17ROCPRIM_400000_NS6detail17trampoline_kernelINS0_14default_configENS1_32segmented_reduce_config_selectorIfEEZNS1_21segmented_reduce_implIS3_PKfPfPKifN6hipcub16HIPCUB_304000_NS6detail27convert_result_type_wrapperIS8_S9_N2at6native12_GLOBAL__N_110CustomProdEEEEE10hipError_tPvRmT0_T1_jT2_SQ_T4_T3_P12ihipStream_tbEUlT_E_NS1_11comp_targetILNS1_3genE8ELNS1_11target_archE1030ELNS1_3gpuE2ELNS1_3repE0EEENS1_30default_config_static_selectorELNS0_4arch9wavefront6targetE0EEEvSP_
                                        ; -- End function
	.set _ZN7rocprim17ROCPRIM_400000_NS6detail17trampoline_kernelINS0_14default_configENS1_32segmented_reduce_config_selectorIfEEZNS1_21segmented_reduce_implIS3_PKfPfPKifN6hipcub16HIPCUB_304000_NS6detail27convert_result_type_wrapperIS8_S9_N2at6native12_GLOBAL__N_110CustomProdEEEEE10hipError_tPvRmT0_T1_jT2_SQ_T4_T3_P12ihipStream_tbEUlT_E_NS1_11comp_targetILNS1_3genE8ELNS1_11target_archE1030ELNS1_3gpuE2ELNS1_3repE0EEENS1_30default_config_static_selectorELNS0_4arch9wavefront6targetE0EEEvSP_.num_vgpr, 0
	.set _ZN7rocprim17ROCPRIM_400000_NS6detail17trampoline_kernelINS0_14default_configENS1_32segmented_reduce_config_selectorIfEEZNS1_21segmented_reduce_implIS3_PKfPfPKifN6hipcub16HIPCUB_304000_NS6detail27convert_result_type_wrapperIS8_S9_N2at6native12_GLOBAL__N_110CustomProdEEEEE10hipError_tPvRmT0_T1_jT2_SQ_T4_T3_P12ihipStream_tbEUlT_E_NS1_11comp_targetILNS1_3genE8ELNS1_11target_archE1030ELNS1_3gpuE2ELNS1_3repE0EEENS1_30default_config_static_selectorELNS0_4arch9wavefront6targetE0EEEvSP_.num_agpr, 0
	.set _ZN7rocprim17ROCPRIM_400000_NS6detail17trampoline_kernelINS0_14default_configENS1_32segmented_reduce_config_selectorIfEEZNS1_21segmented_reduce_implIS3_PKfPfPKifN6hipcub16HIPCUB_304000_NS6detail27convert_result_type_wrapperIS8_S9_N2at6native12_GLOBAL__N_110CustomProdEEEEE10hipError_tPvRmT0_T1_jT2_SQ_T4_T3_P12ihipStream_tbEUlT_E_NS1_11comp_targetILNS1_3genE8ELNS1_11target_archE1030ELNS1_3gpuE2ELNS1_3repE0EEENS1_30default_config_static_selectorELNS0_4arch9wavefront6targetE0EEEvSP_.numbered_sgpr, 0
	.set _ZN7rocprim17ROCPRIM_400000_NS6detail17trampoline_kernelINS0_14default_configENS1_32segmented_reduce_config_selectorIfEEZNS1_21segmented_reduce_implIS3_PKfPfPKifN6hipcub16HIPCUB_304000_NS6detail27convert_result_type_wrapperIS8_S9_N2at6native12_GLOBAL__N_110CustomProdEEEEE10hipError_tPvRmT0_T1_jT2_SQ_T4_T3_P12ihipStream_tbEUlT_E_NS1_11comp_targetILNS1_3genE8ELNS1_11target_archE1030ELNS1_3gpuE2ELNS1_3repE0EEENS1_30default_config_static_selectorELNS0_4arch9wavefront6targetE0EEEvSP_.num_named_barrier, 0
	.set _ZN7rocprim17ROCPRIM_400000_NS6detail17trampoline_kernelINS0_14default_configENS1_32segmented_reduce_config_selectorIfEEZNS1_21segmented_reduce_implIS3_PKfPfPKifN6hipcub16HIPCUB_304000_NS6detail27convert_result_type_wrapperIS8_S9_N2at6native12_GLOBAL__N_110CustomProdEEEEE10hipError_tPvRmT0_T1_jT2_SQ_T4_T3_P12ihipStream_tbEUlT_E_NS1_11comp_targetILNS1_3genE8ELNS1_11target_archE1030ELNS1_3gpuE2ELNS1_3repE0EEENS1_30default_config_static_selectorELNS0_4arch9wavefront6targetE0EEEvSP_.private_seg_size, 0
	.set _ZN7rocprim17ROCPRIM_400000_NS6detail17trampoline_kernelINS0_14default_configENS1_32segmented_reduce_config_selectorIfEEZNS1_21segmented_reduce_implIS3_PKfPfPKifN6hipcub16HIPCUB_304000_NS6detail27convert_result_type_wrapperIS8_S9_N2at6native12_GLOBAL__N_110CustomProdEEEEE10hipError_tPvRmT0_T1_jT2_SQ_T4_T3_P12ihipStream_tbEUlT_E_NS1_11comp_targetILNS1_3genE8ELNS1_11target_archE1030ELNS1_3gpuE2ELNS1_3repE0EEENS1_30default_config_static_selectorELNS0_4arch9wavefront6targetE0EEEvSP_.uses_vcc, 0
	.set _ZN7rocprim17ROCPRIM_400000_NS6detail17trampoline_kernelINS0_14default_configENS1_32segmented_reduce_config_selectorIfEEZNS1_21segmented_reduce_implIS3_PKfPfPKifN6hipcub16HIPCUB_304000_NS6detail27convert_result_type_wrapperIS8_S9_N2at6native12_GLOBAL__N_110CustomProdEEEEE10hipError_tPvRmT0_T1_jT2_SQ_T4_T3_P12ihipStream_tbEUlT_E_NS1_11comp_targetILNS1_3genE8ELNS1_11target_archE1030ELNS1_3gpuE2ELNS1_3repE0EEENS1_30default_config_static_selectorELNS0_4arch9wavefront6targetE0EEEvSP_.uses_flat_scratch, 0
	.set _ZN7rocprim17ROCPRIM_400000_NS6detail17trampoline_kernelINS0_14default_configENS1_32segmented_reduce_config_selectorIfEEZNS1_21segmented_reduce_implIS3_PKfPfPKifN6hipcub16HIPCUB_304000_NS6detail27convert_result_type_wrapperIS8_S9_N2at6native12_GLOBAL__N_110CustomProdEEEEE10hipError_tPvRmT0_T1_jT2_SQ_T4_T3_P12ihipStream_tbEUlT_E_NS1_11comp_targetILNS1_3genE8ELNS1_11target_archE1030ELNS1_3gpuE2ELNS1_3repE0EEENS1_30default_config_static_selectorELNS0_4arch9wavefront6targetE0EEEvSP_.has_dyn_sized_stack, 0
	.set _ZN7rocprim17ROCPRIM_400000_NS6detail17trampoline_kernelINS0_14default_configENS1_32segmented_reduce_config_selectorIfEEZNS1_21segmented_reduce_implIS3_PKfPfPKifN6hipcub16HIPCUB_304000_NS6detail27convert_result_type_wrapperIS8_S9_N2at6native12_GLOBAL__N_110CustomProdEEEEE10hipError_tPvRmT0_T1_jT2_SQ_T4_T3_P12ihipStream_tbEUlT_E_NS1_11comp_targetILNS1_3genE8ELNS1_11target_archE1030ELNS1_3gpuE2ELNS1_3repE0EEENS1_30default_config_static_selectorELNS0_4arch9wavefront6targetE0EEEvSP_.has_recursion, 0
	.set _ZN7rocprim17ROCPRIM_400000_NS6detail17trampoline_kernelINS0_14default_configENS1_32segmented_reduce_config_selectorIfEEZNS1_21segmented_reduce_implIS3_PKfPfPKifN6hipcub16HIPCUB_304000_NS6detail27convert_result_type_wrapperIS8_S9_N2at6native12_GLOBAL__N_110CustomProdEEEEE10hipError_tPvRmT0_T1_jT2_SQ_T4_T3_P12ihipStream_tbEUlT_E_NS1_11comp_targetILNS1_3genE8ELNS1_11target_archE1030ELNS1_3gpuE2ELNS1_3repE0EEENS1_30default_config_static_selectorELNS0_4arch9wavefront6targetE0EEEvSP_.has_indirect_call, 0
	.section	.AMDGPU.csdata,"",@progbits
; Kernel info:
; codeLenInByte = 0
; TotalNumSgprs: 0
; NumVgprs: 0
; ScratchSize: 0
; MemoryBound: 0
; FloatMode: 240
; IeeeMode: 1
; LDSByteSize: 0 bytes/workgroup (compile time only)
; SGPRBlocks: 0
; VGPRBlocks: 0
; NumSGPRsForWavesPerEU: 1
; NumVGPRsForWavesPerEU: 1
; NamedBarCnt: 0
; Occupancy: 16
; WaveLimiterHint : 0
; COMPUTE_PGM_RSRC2:SCRATCH_EN: 0
; COMPUTE_PGM_RSRC2:USER_SGPR: 2
; COMPUTE_PGM_RSRC2:TRAP_HANDLER: 0
; COMPUTE_PGM_RSRC2:TGID_X_EN: 1
; COMPUTE_PGM_RSRC2:TGID_Y_EN: 0
; COMPUTE_PGM_RSRC2:TGID_Z_EN: 0
; COMPUTE_PGM_RSRC2:TIDIG_COMP_CNT: 0
	.section	.text._ZN2at6native12_GLOBAL__N_129segment_reduce_forward_kernelIN3c104HalfEiEEvNS0_13ReductionTypeEPT_PKS6_PKT0_SC_llbS6_lllllll,"axG",@progbits,_ZN2at6native12_GLOBAL__N_129segment_reduce_forward_kernelIN3c104HalfEiEEvNS0_13ReductionTypeEPT_PKS6_PKT0_SC_llbS6_lllllll,comdat
	.globl	_ZN2at6native12_GLOBAL__N_129segment_reduce_forward_kernelIN3c104HalfEiEEvNS0_13ReductionTypeEPT_PKS6_PKT0_SC_llbS6_lllllll ; -- Begin function _ZN2at6native12_GLOBAL__N_129segment_reduce_forward_kernelIN3c104HalfEiEEvNS0_13ReductionTypeEPT_PKS6_PKT0_SC_llbS6_lllllll
	.p2align	8
	.type	_ZN2at6native12_GLOBAL__N_129segment_reduce_forward_kernelIN3c104HalfEiEEvNS0_13ReductionTypeEPT_PKS6_PKT0_SC_llbS6_lllllll,@function
_ZN2at6native12_GLOBAL__N_129segment_reduce_forward_kernelIN3c104HalfEiEEvNS0_13ReductionTypeEPT_PKS6_PKT0_SC_llbS6_lllllll: ; @_ZN2at6native12_GLOBAL__N_129segment_reduce_forward_kernelIN3c104HalfEiEEvNS0_13ReductionTypeEPT_PKS6_PKT0_SC_llbS6_lllllll
; %bb.0:
	s_clause 0x2
	s_load_b32 s2, s[0:1], 0x84
	s_load_b128 s[28:31], s[0:1], 0x28
	s_load_b256 s[4:11], s[0:1], 0x40
	s_bfe_u32 s3, ttmp6, 0x4000c
	v_mov_b32_e32 v2, 0
	s_add_co_i32 s3, s3, 1
	s_and_b32 s12, ttmp6, 15
	s_mul_i32 s3, ttmp9, s3
	s_getreg_b32 s13, hwreg(HW_REG_IB_STS2, 6, 4)
	v_mov_b32_e32 v1, v2
	s_add_co_i32 s12, s12, s3
	s_wait_kmcnt 0x0
	s_and_b32 s2, s2, 0xffff
	s_cmp_eq_u32 s13, 0
	s_cselect_b32 s3, ttmp9, s12
	s_delay_alu instid0(SALU_CYCLE_1) | instskip(SKIP_1) | instid1(SALU_CYCLE_1)
	v_mad_nc_u64_u32 v[0:1], s2, s3, v[0:1]
	s_mul_u64 s[2:3], s[4:5], s[28:29]
	s_mul_u64 s[2:3], s[2:3], s[6:7]
	s_delay_alu instid0(VALU_DEP_1) | instid1(SALU_CYCLE_1)
	v_cmp_gt_i64_e32 vcc_lo, s[2:3], v[0:1]
	s_and_saveexec_b32 s2, vcc_lo
	s_cbranch_execz .LBB76_37
; %bb.1:
	v_or_b32_e32 v3, s7, v1
                                        ; implicit-def: $vgpr4_vgpr5
	s_mov_b32 s2, exec_lo
	s_delay_alu instid0(VALU_DEP_1)
	v_cmpx_ne_u64_e32 0, v[2:3]
	s_xor_b32 s3, exec_lo, s2
	s_cbranch_execz .LBB76_3
; %bb.2:
	s_ashr_i32 s4, s7, 31
	s_mov_b32 s21, 0
	s_mov_b32 s5, s4
	v_dual_mov_b32 v7, 0 :: v_dual_ashrrev_i32 v2, 31, v1
	s_add_nc_u64 s[12:13], s[6:7], s[4:5]
	s_delay_alu instid0(SALU_CYCLE_1) | instskip(NEXT) | instid1(VALU_DEP_1)
	s_xor_b64 s[12:13], s[12:13], s[4:5]
	v_mov_b32_e32 v3, v2
	s_cvt_f32_u32 s2, s12
	s_cvt_f32_u32 s5, s13
	s_sub_nc_u64 s[16:17], 0, s[12:13]
	s_delay_alu instid0(VALU_DEP_1) | instskip(NEXT) | instid1(SALU_CYCLE_1)
	v_add_nc_u64_e32 v[4:5], v[0:1], v[2:3]
	s_fmamk_f32 s2, s5, 0x4f800000, s2
	v_mov_b32_e32 v9, v7
	s_delay_alu instid0(SALU_CYCLE_2) | instskip(NEXT) | instid1(VALU_DEP_2)
	v_s_rcp_f32 s2, s2
	v_xor_b32_e32 v6, v4, v2
	s_delay_alu instid0(VALU_DEP_3) | instskip(SKIP_1) | instid1(TRANS32_DEP_1)
	v_dual_mov_b32 v15, v7 :: v_dual_bitop2_b32 v8, v5, v2 bitop3:0x14
	v_xor_b32_e32 v2, s4, v2
	s_mul_f32 s2, s2, 0x5f7ffffc
	s_delay_alu instid0(SALU_CYCLE_3) | instskip(NEXT) | instid1(SALU_CYCLE_3)
	s_mul_f32 s5, s2, 0x2f800000
	s_trunc_f32 s5, s5
	s_delay_alu instid0(SALU_CYCLE_3) | instskip(SKIP_1) | instid1(SALU_CYCLE_2)
	s_fmamk_f32 s2, s5, 0xcf800000, s2
	s_cvt_u32_f32 s15, s5
	s_cvt_u32_f32 s14, s2
	s_delay_alu instid0(SALU_CYCLE_3) | instskip(NEXT) | instid1(SALU_CYCLE_1)
	s_mul_u64 s[18:19], s[16:17], s[14:15]
	s_mul_hi_u32 s23, s14, s19
	s_mul_i32 s22, s14, s19
	s_mul_hi_u32 s20, s14, s18
	s_mul_i32 s5, s15, s18
	s_add_nc_u64 s[22:23], s[20:21], s[22:23]
	s_mul_hi_u32 s2, s15, s18
	s_mul_hi_u32 s24, s15, s19
	s_add_co_u32 s5, s22, s5
	s_add_co_ci_u32 s20, s23, s2
	s_mul_i32 s18, s15, s19
	s_add_co_ci_u32 s19, s24, 0
	s_delay_alu instid0(SALU_CYCLE_1) | instskip(NEXT) | instid1(SALU_CYCLE_1)
	s_add_nc_u64 s[18:19], s[20:21], s[18:19]
	s_add_co_u32 s14, s14, s18
	s_cselect_b32 s2, -1, 0
	s_delay_alu instid0(SALU_CYCLE_1) | instskip(SKIP_1) | instid1(SALU_CYCLE_1)
	s_cmp_lg_u32 s2, 0
	s_add_co_ci_u32 s15, s15, s19
	s_mul_u64 s[16:17], s[16:17], s[14:15]
	s_delay_alu instid0(SALU_CYCLE_1)
	s_mul_hi_u32 s19, s14, s17
	s_mul_i32 s18, s14, s17
	s_mul_hi_u32 s20, s14, s16
	s_mul_i32 s5, s15, s16
	s_add_nc_u64 s[18:19], s[20:21], s[18:19]
	s_mul_hi_u32 s2, s15, s16
	s_mul_hi_u32 s22, s15, s17
	s_add_co_u32 s5, s18, s5
	s_add_co_ci_u32 s20, s19, s2
	s_mul_i32 s16, s15, s17
	s_add_co_ci_u32 s17, s22, 0
	s_delay_alu instid0(SALU_CYCLE_1) | instskip(NEXT) | instid1(SALU_CYCLE_1)
	s_add_nc_u64 s[16:17], s[20:21], s[16:17]
	s_add_co_u32 s2, s14, s16
	s_cselect_b32 s5, -1, 0
	v_mul_hi_u32 v14, v6, s2
	s_cmp_lg_u32 s5, 0
	s_add_co_ci_u32 s20, s15, s17
	s_mov_b64 s[14:15], 0xffffffff
	v_mul_u64_e32 v[10:11], s[20:21], v[6:7]
	s_and_b64 s[14:15], s[2:3], s[14:15]
	v_mul_u64_e32 v[12:13], s[20:21], v[8:9]
	v_mul_u64_e32 v[4:5], s[14:15], v[8:9]
	s_delay_alu instid0(VALU_DEP_3) | instskip(NEXT) | instid1(VALU_DEP_1)
	v_add_nc_u64_e32 v[10:11], v[14:15], v[10:11]
	v_add_co_u32 v3, vcc_lo, v10, v4
	s_delay_alu instid0(VALU_DEP_2) | instskip(SKIP_1) | instid1(VALU_DEP_1)
	v_add_co_ci_u32_e32 v14, vcc_lo, v11, v5, vcc_lo
	v_add_co_ci_u32_e32 v13, vcc_lo, 0, v13, vcc_lo
	v_add_nc_u64_e32 v[4:5], v[14:15], v[12:13]
	s_delay_alu instid0(VALU_DEP_1) | instskip(NEXT) | instid1(VALU_DEP_1)
	v_mul_u64_e32 v[10:11], s[12:13], v[4:5]
	v_sub_nc_u32_e32 v3, v8, v11
	s_delay_alu instid0(VALU_DEP_2) | instskip(NEXT) | instid1(VALU_DEP_1)
	v_sub_co_u32 v6, vcc_lo, v6, v10
	v_sub_co_ci_u32_e64 v10, null, v8, v11, vcc_lo
	s_delay_alu instid0(VALU_DEP_3) | instskip(NEXT) | instid1(VALU_DEP_3)
	v_subrev_co_ci_u32_e64 v3, null, s13, v3, vcc_lo
	v_sub_co_u32 v7, s2, v6, s12
	s_delay_alu instid0(VALU_DEP_1) | instskip(NEXT) | instid1(VALU_DEP_2)
	v_subrev_co_ci_u32_e64 v3, null, 0, v3, s2
	v_cmp_le_u32_e32 vcc_lo, s12, v7
	v_cndmask_b32_e64 v7, 0, -1, vcc_lo
	s_delay_alu instid0(VALU_DEP_3)
	v_cmp_le_u32_e32 vcc_lo, s13, v3
	v_cndmask_b32_e64 v8, 0, -1, vcc_lo
	v_cmp_le_u32_e32 vcc_lo, s12, v6
	v_cndmask_b32_e64 v11, 0, -1, vcc_lo
	;; [unrolled: 2-line block ×3, first 2 shown]
	v_cmp_eq_u32_e32 vcc_lo, s13, v3
	v_cndmask_b32_e32 v3, v8, v7, vcc_lo
	v_cmp_eq_u32_e32 vcc_lo, s13, v10
	v_add_nc_u64_e32 v[6:7], 2, v[4:5]
	v_add_nc_u64_e32 v[8:9], 1, v[4:5]
	v_cndmask_b32_e32 v10, v12, v11, vcc_lo
	v_cmp_ne_u32_e32 vcc_lo, 0, v3
	s_delay_alu instid0(VALU_DEP_2) | instskip(NEXT) | instid1(VALU_DEP_4)
	v_cmp_ne_u32_e64 s2, 0, v10
	v_dual_cndmask_b32 v6, v8, v6 :: v_dual_cndmask_b32 v3, v9, v7
	s_delay_alu instid0(VALU_DEP_1) | instskip(NEXT) | instid1(VALU_DEP_1)
	v_dual_cndmask_b32 v4, v4, v6, s2 :: v_dual_cndmask_b32 v5, v5, v3, s2
	v_dual_mov_b32 v3, v2 :: v_dual_bitop2_b32 v4, v4, v2 bitop3:0x14
	s_delay_alu instid0(VALU_DEP_2) | instskip(NEXT) | instid1(VALU_DEP_1)
	v_xor_b32_e32 v5, v5, v2
	v_sub_nc_u64_e32 v[4:5], v[4:5], v[2:3]
.LBB76_3:
	s_or_saveexec_b32 s2, s3
	s_clause 0x1
	s_load_b256 s[12:19], s[0:1], 0x8
	s_load_b256 s[20:27], s[0:1], 0x60
	s_xor_b32 exec_lo, exec_lo, s2
	s_cbranch_execz .LBB76_5
; %bb.4:
	v_cvt_f32_u32_e32 v2, s6
	s_sub_co_i32 s3, 0, s6
	s_delay_alu instid0(VALU_DEP_1) | instskip(SKIP_1) | instid1(TRANS32_DEP_1)
	v_rcp_iflag_f32_e32 v2, v2
	v_nop
	v_mul_f32_e32 v2, 0x4f7ffffe, v2
	s_delay_alu instid0(VALU_DEP_1) | instskip(NEXT) | instid1(VALU_DEP_1)
	v_cvt_u32_f32_e32 v2, v2
	v_mul_lo_u32 v3, s3, v2
	s_delay_alu instid0(VALU_DEP_1) | instskip(NEXT) | instid1(VALU_DEP_1)
	v_mul_hi_u32 v3, v2, v3
	v_add_nc_u32_e32 v2, v2, v3
	s_delay_alu instid0(VALU_DEP_1) | instskip(NEXT) | instid1(VALU_DEP_1)
	v_mul_hi_u32 v2, v0, v2
	v_mul_lo_u32 v3, v2, s6
	s_delay_alu instid0(VALU_DEP_1) | instskip(NEXT) | instid1(VALU_DEP_1)
	v_dual_add_nc_u32 v4, 1, v2 :: v_dual_sub_nc_u32 v3, v0, v3
	v_subrev_nc_u32_e32 v5, s6, v3
	v_cmp_le_u32_e32 vcc_lo, s6, v3
	s_delay_alu instid0(VALU_DEP_2) | instskip(NEXT) | instid1(VALU_DEP_4)
	v_dual_cndmask_b32 v3, v3, v5, vcc_lo :: v_dual_mov_b32 v5, 0
	v_cndmask_b32_e32 v2, v2, v4, vcc_lo
	s_delay_alu instid0(VALU_DEP_2) | instskip(NEXT) | instid1(VALU_DEP_2)
	v_cmp_le_u32_e32 vcc_lo, s6, v3
	v_add_nc_u32_e32 v4, 1, v2
	s_delay_alu instid0(VALU_DEP_1)
	v_cndmask_b32_e32 v4, v2, v4, vcc_lo
.LBB76_5:
	s_or_b32 exec_lo, exec_lo, s2
	v_dual_mov_b32 v6, 0 :: v_dual_bitop2_b32 v7, s29, v5 bitop3:0x54
                                        ; implicit-def: $vgpr2_vgpr3
	s_mov_b32 s2, exec_lo
	s_delay_alu instid0(VALU_DEP_1)
	v_cmpx_ne_u64_e32 0, v[6:7]
	s_xor_b32 s3, exec_lo, s2
	s_cbranch_execz .LBB76_7
; %bb.6:
	s_ashr_i32 s4, s29, 31
	s_mov_b32 s41, 0
	s_mov_b32 s5, s4
	v_dual_mov_b32 v11, v6 :: v_dual_ashrrev_i32 v2, 31, v5
	s_wait_kmcnt 0x0
	s_add_nc_u64 s[26:27], s[28:29], s[4:5]
	v_dual_mov_b32 v19, v6 :: v_dual_mov_b32 v7, v6
	s_xor_b64 s[26:27], s[26:27], s[4:5]
	v_mov_b32_e32 v3, v2
	s_cvt_f32_u32 s2, s26
	s_cvt_f32_u32 s5, s27
	s_sub_nc_u64 s[36:37], 0, s[26:27]
	s_delay_alu instid0(VALU_DEP_1) | instskip(NEXT) | instid1(SALU_CYCLE_1)
	v_add_nc_u64_e32 v[8:9], v[4:5], v[2:3]
	s_fmamk_f32 s2, s5, 0x4f800000, s2
	v_mov_b32_e32 v13, v6
	s_delay_alu instid0(SALU_CYCLE_2) | instskip(NEXT) | instid1(VALU_DEP_2)
	v_s_rcp_f32 s2, s2
	v_xor_b32_e32 v10, v8, v2
	s_delay_alu instid0(VALU_DEP_3) | instskip(SKIP_1) | instid1(TRANS32_DEP_1)
	v_xor_b32_e32 v12, v9, v2
	v_xor_b32_e32 v2, s4, v2
	s_mul_f32 s2, s2, 0x5f7ffffc
	s_delay_alu instid0(SALU_CYCLE_3) | instskip(NEXT) | instid1(SALU_CYCLE_3)
	s_mul_f32 s5, s2, 0x2f800000
	s_trunc_f32 s5, s5
	s_delay_alu instid0(SALU_CYCLE_3) | instskip(SKIP_1) | instid1(SALU_CYCLE_2)
	s_fmamk_f32 s2, s5, 0xcf800000, s2
	s_cvt_u32_f32 s35, s5
	s_cvt_u32_f32 s34, s2
	s_delay_alu instid0(SALU_CYCLE_3) | instskip(NEXT) | instid1(SALU_CYCLE_1)
	s_mul_u64 s[38:39], s[36:37], s[34:35]
	s_mul_hi_u32 s43, s34, s39
	s_mul_i32 s42, s34, s39
	s_mul_hi_u32 s40, s34, s38
	s_mul_i32 s5, s35, s38
	s_add_nc_u64 s[42:43], s[40:41], s[42:43]
	s_mul_hi_u32 s2, s35, s38
	s_mul_hi_u32 s33, s35, s39
	s_add_co_u32 s5, s42, s5
	s_add_co_ci_u32 s40, s43, s2
	s_mul_i32 s38, s35, s39
	s_add_co_ci_u32 s39, s33, 0
	s_delay_alu instid0(SALU_CYCLE_1) | instskip(NEXT) | instid1(SALU_CYCLE_1)
	s_add_nc_u64 s[38:39], s[40:41], s[38:39]
	s_add_co_u32 s34, s34, s38
	s_cselect_b32 s2, -1, 0
	s_delay_alu instid0(SALU_CYCLE_1) | instskip(SKIP_1) | instid1(SALU_CYCLE_1)
	s_cmp_lg_u32 s2, 0
	s_add_co_ci_u32 s35, s35, s39
	s_mul_u64 s[36:37], s[36:37], s[34:35]
	s_delay_alu instid0(SALU_CYCLE_1)
	s_mul_hi_u32 s39, s34, s37
	s_mul_i32 s38, s34, s37
	s_mul_hi_u32 s40, s34, s36
	s_mul_i32 s5, s35, s36
	s_add_nc_u64 s[38:39], s[40:41], s[38:39]
	s_mul_hi_u32 s2, s35, s36
	s_mul_hi_u32 s33, s35, s37
	s_add_co_u32 s5, s38, s5
	s_add_co_ci_u32 s40, s39, s2
	s_mul_i32 s36, s35, s37
	s_add_co_ci_u32 s37, s33, 0
	s_delay_alu instid0(SALU_CYCLE_1) | instskip(NEXT) | instid1(SALU_CYCLE_1)
	s_add_nc_u64 s[36:37], s[40:41], s[36:37]
	s_add_co_u32 s2, s34, s36
	s_cselect_b32 s5, -1, 0
	v_mul_hi_u32 v18, v10, s2
	s_cmp_lg_u32 s5, 0
	s_add_co_ci_u32 s40, s35, s37
	s_mov_b64 s[34:35], 0xffffffff
	v_mul_u64_e32 v[14:15], s[40:41], v[10:11]
	s_and_b64 s[34:35], s[2:3], s[34:35]
	v_mul_u64_e32 v[16:17], s[40:41], v[12:13]
	v_mul_u64_e32 v[8:9], s[34:35], v[12:13]
	s_delay_alu instid0(VALU_DEP_3) | instskip(NEXT) | instid1(VALU_DEP_1)
	v_add_nc_u64_e32 v[14:15], v[18:19], v[14:15]
	v_add_co_u32 v3, vcc_lo, v14, v8
	s_delay_alu instid0(VALU_DEP_2) | instskip(SKIP_1) | instid1(VALU_DEP_1)
	v_add_co_ci_u32_e32 v6, vcc_lo, v15, v9, vcc_lo
	v_add_co_ci_u32_e32 v17, vcc_lo, 0, v17, vcc_lo
	v_add_nc_u64_e32 v[6:7], v[6:7], v[16:17]
	s_delay_alu instid0(VALU_DEP_1) | instskip(NEXT) | instid1(VALU_DEP_1)
	v_mul_u64_e32 v[8:9], s[26:27], v[6:7]
	v_sub_nc_u32_e32 v3, v12, v9
	s_delay_alu instid0(VALU_DEP_2) | instskip(NEXT) | instid1(VALU_DEP_1)
	v_sub_co_u32 v8, vcc_lo, v10, v8
	v_sub_co_ci_u32_e64 v12, null, v12, v9, vcc_lo
	s_delay_alu instid0(VALU_DEP_3) | instskip(NEXT) | instid1(VALU_DEP_3)
	v_subrev_co_ci_u32_e64 v3, null, s27, v3, vcc_lo
	v_sub_co_u32 v10, s2, v8, s26
	s_delay_alu instid0(VALU_DEP_1) | instskip(NEXT) | instid1(VALU_DEP_2)
	v_subrev_co_ci_u32_e64 v3, null, 0, v3, s2
	v_cmp_le_u32_e32 vcc_lo, s26, v10
	v_cndmask_b32_e64 v9, 0, -1, vcc_lo
	s_delay_alu instid0(VALU_DEP_3)
	v_cmp_le_u32_e32 vcc_lo, s27, v3
	v_cndmask_b32_e64 v10, 0, -1, vcc_lo
	v_cmp_le_u32_e32 vcc_lo, s26, v8
	v_cndmask_b32_e64 v13, 0, -1, vcc_lo
	;; [unrolled: 2-line block ×3, first 2 shown]
	v_cmp_eq_u32_e32 vcc_lo, s27, v3
	v_cndmask_b32_e32 v3, v10, v9, vcc_lo
	v_cmp_eq_u32_e32 vcc_lo, s27, v12
	v_add_nc_u64_e32 v[8:9], 2, v[6:7]
	v_add_nc_u64_e32 v[10:11], 1, v[6:7]
	v_cndmask_b32_e32 v12, v14, v13, vcc_lo
	v_cmp_ne_u32_e32 vcc_lo, 0, v3
	s_delay_alu instid0(VALU_DEP_2) | instskip(NEXT) | instid1(VALU_DEP_4)
	v_cmp_ne_u32_e64 s2, 0, v12
	v_dual_cndmask_b32 v8, v10, v8 :: v_dual_cndmask_b32 v3, v11, v9
	s_delay_alu instid0(VALU_DEP_1) | instskip(SKIP_1) | instid1(VALU_DEP_2)
	v_dual_cndmask_b32 v6, v6, v8, s2 :: v_dual_cndmask_b32 v7, v7, v3, s2
	v_mov_b32_e32 v3, v2
	v_xor_b32_e32 v6, v6, v2
	s_delay_alu instid0(VALU_DEP_3) | instskip(NEXT) | instid1(VALU_DEP_1)
	v_xor_b32_e32 v7, v7, v2
	v_sub_nc_u64_e32 v[2:3], v[6:7], v[2:3]
.LBB76_7:
	s_and_not1_saveexec_b32 s2, s3
	s_cbranch_execz .LBB76_9
; %bb.8:
	v_cvt_f32_u32_e32 v2, s28
	s_sub_co_i32 s3, 0, s28
	s_delay_alu instid0(VALU_DEP_1) | instskip(SKIP_1) | instid1(TRANS32_DEP_1)
	v_rcp_iflag_f32_e32 v2, v2
	v_nop
	v_mul_f32_e32 v2, 0x4f7ffffe, v2
	s_delay_alu instid0(VALU_DEP_1) | instskip(NEXT) | instid1(VALU_DEP_1)
	v_cvt_u32_f32_e32 v2, v2
	v_mul_lo_u32 v3, s3, v2
	s_delay_alu instid0(VALU_DEP_1) | instskip(NEXT) | instid1(VALU_DEP_1)
	v_mul_hi_u32 v3, v2, v3
	v_add_nc_u32_e32 v2, v2, v3
	s_delay_alu instid0(VALU_DEP_1) | instskip(NEXT) | instid1(VALU_DEP_1)
	v_mul_hi_u32 v2, v4, v2
	v_mul_lo_u32 v3, v2, s28
	s_delay_alu instid0(VALU_DEP_1) | instskip(NEXT) | instid1(VALU_DEP_1)
	v_sub_nc_u32_e32 v3, v4, v3
	v_subrev_nc_u32_e32 v7, s28, v3
	v_cmp_le_u32_e32 vcc_lo, s28, v3
	s_delay_alu instid0(VALU_DEP_2) | instskip(NEXT) | instid1(VALU_DEP_1)
	v_dual_cndmask_b32 v3, v3, v7 :: v_dual_add_nc_u32 v6, 1, v2
	v_cndmask_b32_e32 v2, v2, v6, vcc_lo
	s_delay_alu instid0(VALU_DEP_2) | instskip(NEXT) | instid1(VALU_DEP_2)
	v_cmp_le_u32_e32 vcc_lo, s28, v3
	v_dual_mov_b32 v3, 0 :: v_dual_add_nc_u32 v6, 1, v2
	s_delay_alu instid0(VALU_DEP_1)
	v_cndmask_b32_e32 v2, v2, v6, vcc_lo
.LBB76_9:
	s_or_b32 exec_lo, exec_lo, s2
	s_add_nc_u64 s[2:3], s[28:29], 1
	s_delay_alu instid0(VALU_DEP_1) | instskip(SKIP_2) | instid1(SALU_CYCLE_1)
	v_mul_u64_e32 v[8:9], s[28:29], v[2:3]
	s_wait_kmcnt 0x0
	s_mul_u64 s[2:3], s[24:25], s[2:3]
	v_mul_u64_e32 v[10:11], s[2:3], v[2:3]
	s_delay_alu instid0(VALU_DEP_2) | instskip(SKIP_1) | instid1(VALU_DEP_3)
	v_sub_nc_u64_e32 v[6:7], v[4:5], v[8:9]
	v_mul_u64_e32 v[4:5], s[6:7], v[4:5]
	v_lshl_add_u64 v[10:11], v[10:11], 2, s[18:19]
	s_delay_alu instid0(VALU_DEP_1)
	v_lshl_add_u64 v[10:11], v[6:7], 2, v[10:11]
	global_load_b64 v[10:11], v[10:11], off
	s_clause 0x1
	s_load_b32 s5, s[0:1], 0x38
	s_load_b32 s4, s[0:1], 0x0
	s_wait_xcnt 0x0
	s_mov_b32 s1, exec_lo
	s_wait_kmcnt 0x0
	s_lshr_b32 s0, s5, 16
	s_delay_alu instid0(SALU_CYCLE_1)
	v_mov_b32_e32 v14, s0
	s_wait_loadcnt 0x0
	v_cmpx_lt_i32_e64 v10, v11
	s_cbranch_execz .LBB76_28
; %bb.10:
	v_mul_u64_e32 v[12:13], s[10:11], v[2:3]
	v_dual_mov_b32 v14, v10 :: v_dual_ashrrev_i32 v15, 31, v10
	v_lshlrev_b64_e32 v[16:17], 1, v[0:1]
	s_cmp_lg_u32 s4, 0
	s_mov_b32 s7, 0
	s_cselect_b32 s6, -1, 0
	v_lshlrev_b64_e32 v[14:15], 1, v[14:15]
	s_and_b32 s2, s4, -3
	s_delay_alu instid0(SALU_CYCLE_1) | instskip(SKIP_2) | instid1(VALU_DEP_1)
	s_cmp_lg_u32 s2, 1
	s_cselect_b32 s10, -1, 0
	s_lshl_b64 s[2:3], s[8:9], 1
	v_lshl_add_u64 v[12:13], v[12:13], 1, v[14:15]
	s_delay_alu instid0(VALU_DEP_1) | instskip(NEXT) | instid1(VALU_DEP_1)
	v_mad_nc_u64_u32 v[14:15], s8, v12, v[16:17]
	v_mad_u32 v12, s9, v12, v15
	s_delay_alu instid0(VALU_DEP_1) | instskip(SKIP_1) | instid1(VALU_DEP_1)
	v_mad_u32 v15, s8, v13, v12
	v_lshlrev_b64_e32 v[12:13], 1, v[4:5]
	v_sub_nc_u64_e32 v[12:13], v[14:15], v[12:13]
	v_mov_b32_e32 v15, s0
	s_delay_alu instid0(VALU_DEP_2)
	v_add_nc_u64_e32 v[12:13], s[14:15], v[12:13]
	s_branch .LBB76_12
.LBB76_11:                              ;   in Loop: Header=BB76_12 Depth=1
	s_delay_alu instid0(VALU_DEP_1) | instskip(SKIP_2) | instid1(VALU_DEP_2)
	v_dual_mov_b32 v15, v14 :: v_dual_add_nc_u32 v10, 1, v10
	s_wait_xcnt 0x0
	v_add_nc_u64_e32 v[12:13], s[2:3], v[12:13]
	v_cmp_ge_i32_e32 vcc_lo, v10, v11
	s_or_b32 s7, vcc_lo, s7
	s_delay_alu instid0(SALU_CYCLE_1)
	s_and_not1_b32 exec_lo, exec_lo, s7
	s_cbranch_execz .LBB76_27
.LBB76_12:                              ; =>This Inner Loop Header: Depth=1
	s_wait_loadcnt 0x0
	global_load_u16 v16, v[12:13], off
	s_and_b32 vcc_lo, exec_lo, s6
	s_cbranch_vccz .LBB76_25
; %bb.13:                               ;   in Loop: Header=BB76_12 Depth=1
	s_and_b32 vcc_lo, exec_lo, s10
	s_mov_b32 s0, -1
                                        ; implicit-def: $vgpr14
	s_cbranch_vccz .LBB76_22
; %bb.14:                               ;   in Loop: Header=BB76_12 Depth=1
	s_cmp_lt_i32 s4, 4
                                        ; implicit-def: $vgpr14
	s_cbranch_scc1 .LBB76_18
; %bb.15:                               ;   in Loop: Header=BB76_12 Depth=1
	v_mov_b32_e32 v14, v15
	s_cmp_eq_u32 s4, 4
	s_cbranch_scc0 .LBB76_17
; %bb.16:                               ;   in Loop: Header=BB76_12 Depth=1
	s_wait_loadcnt 0x0
	v_mul_f16_e32 v14, v15, v16
.LBB76_17:                              ;   in Loop: Header=BB76_12 Depth=1
	s_mov_b32 s0, 0
.LBB76_18:                              ;   in Loop: Header=BB76_12 Depth=1
	s_delay_alu instid0(SALU_CYCLE_1)
	s_and_not1_b32 vcc_lo, exec_lo, s0
	s_cbranch_vccnz .LBB76_21
; %bb.19:                               ;   in Loop: Header=BB76_12 Depth=1
	v_mov_b32_e32 v14, v15
	s_cmp_lg_u32 s4, 2
	s_cbranch_scc1 .LBB76_21
; %bb.20:                               ;   in Loop: Header=BB76_12 Depth=1
	s_wait_loadcnt 0x0
	v_cmp_u_f16_e32 vcc_lo, v16, v16
	v_cmp_gt_f16_e64 s0, v15, v16
	s_or_b32 vcc_lo, vcc_lo, s0
	v_cndmask_b32_e32 v14, v15, v16, vcc_lo
.LBB76_21:                              ;   in Loop: Header=BB76_12 Depth=1
	s_mov_b32 s0, 0
.LBB76_22:                              ;   in Loop: Header=BB76_12 Depth=1
	s_delay_alu instid0(SALU_CYCLE_1)
	s_and_b32 vcc_lo, exec_lo, s0
	s_cbranch_vccz .LBB76_24
; %bb.23:                               ;   in Loop: Header=BB76_12 Depth=1
	s_wait_loadcnt 0x0
	v_add_f16_e32 v14, v15, v16
.LBB76_24:                              ;   in Loop: Header=BB76_12 Depth=1
	s_cbranch_execnz .LBB76_11
	s_branch .LBB76_26
.LBB76_25:                              ;   in Loop: Header=BB76_12 Depth=1
                                        ; implicit-def: $vgpr14
.LBB76_26:                              ;   in Loop: Header=BB76_12 Depth=1
	s_wait_loadcnt 0x0
	v_cmp_u_f16_e32 vcc_lo, v16, v16
	v_cmp_lt_f16_e64 s0, v15, v16
	s_or_b32 vcc_lo, vcc_lo, s0
	v_cndmask_b32_e32 v14, v15, v16, vcc_lo
	s_branch .LBB76_11
.LBB76_27:
	s_or_b32 exec_lo, exec_lo, s7
.LBB76_28:
	s_delay_alu instid0(SALU_CYCLE_1) | instskip(SKIP_2) | instid1(VALU_DEP_1)
	s_or_b32 exec_lo, exec_lo, s1
	v_mul_u64_e32 v[8:9], s[30:31], v[8:9]
	s_mov_b32 s0, exec_lo
	v_lshl_add_u64 v[8:9], v[8:9], 2, s[16:17]
	s_delay_alu instid0(VALU_DEP_1)
	v_lshl_add_u64 v[8:9], v[6:7], 2, v[8:9]
	global_load_b32 v8, v[8:9], off
	s_wait_loadcnt 0x0
	v_cmpx_lt_i32_e32 -1, v8
	s_xor_b32 s0, exec_lo, s0
	s_cbranch_execz .LBB76_36
; %bb.29:
	v_cmp_ne_u32_e32 vcc_lo, 0, v8
	s_bitcmp1_b32 s5, 0
	v_mov_b32_e32 v9, 0x7e00
	s_cselect_b32 s1, -1, 0
	s_delay_alu instid0(SALU_CYCLE_1) | instskip(SKIP_2) | instid1(SALU_CYCLE_1)
	s_or_b32 s1, s1, vcc_lo
	s_cmp_lg_u32 s4, 1
	s_cselect_b32 s2, -1, 0
	s_or_b32 s3, s2, s1
	s_delay_alu instid0(SALU_CYCLE_1)
	s_and_saveexec_b32 s1, s3
	s_cbranch_execz .LBB76_35
; %bb.30:
	v_cmp_ne_u32_e32 vcc_lo, 0, v8
	s_xor_b32 s2, s2, -1
	s_delay_alu instid0(SALU_CYCLE_1) | instskip(NEXT) | instid1(SALU_CYCLE_1)
	s_and_b32 s3, s2, vcc_lo
	s_and_saveexec_b32 s2, s3
	s_cbranch_execz .LBB76_34
; %bb.31:
	s_mov_b32 s3, exec_lo
	v_cmpx_o_f16_e32 v14, v14
	s_cbranch_execz .LBB76_33
; %bb.32:
	v_cvt_f32_u32_e32 v8, v8
	v_cvt_f32_f16_e32 v10, v14
	s_delay_alu instid0(VALU_DEP_2) | instskip(NEXT) | instid1(VALU_DEP_1)
	v_cvt_f16_f32_e32 v8, v8
	v_cvt_f32_f16_e32 v9, v8
	s_delay_alu instid0(VALU_DEP_1) | instskip(SKIP_1) | instid1(TRANS32_DEP_1)
	v_rcp_f32_e32 v9, v9
	v_nop
	v_mul_f32_e32 v10, v10, v9
	s_delay_alu instid0(VALU_DEP_1) | instskip(NEXT) | instid1(VALU_DEP_1)
	v_fma_mix_f32 v11, -v8, v10, v14 op_sel_hi:[1,0,1]
	v_fmac_f32_e32 v10, v11, v9
	s_delay_alu instid0(VALU_DEP_1) | instskip(NEXT) | instid1(VALU_DEP_1)
	v_fma_mix_f32 v11, -v8, v10, v14 op_sel_hi:[1,0,1]
	v_mul_f32_e32 v9, v11, v9
	s_delay_alu instid0(VALU_DEP_1) | instskip(NEXT) | instid1(VALU_DEP_1)
	v_and_b32_e32 v9, 0xff800000, v9
	v_add_f32_e32 v9, v9, v10
	s_delay_alu instid0(VALU_DEP_1) | instskip(NEXT) | instid1(VALU_DEP_1)
	v_cvt_f16_f32_e32 v9, v9
	v_div_fixup_f16 v14, v9, v8, v14
.LBB76_33:
	s_or_b32 exec_lo, exec_lo, s3
.LBB76_34:
	s_delay_alu instid0(SALU_CYCLE_1) | instskip(NEXT) | instid1(VALU_DEP_1)
	s_or_b32 exec_lo, exec_lo, s2
	v_mov_b32_e32 v9, v14
.LBB76_35:
	s_or_b32 exec_lo, exec_lo, s1
	s_mul_u64 s[2:3], s[22:23], s[20:21]
	v_mul_u64_e32 v[6:7], s[20:21], v[6:7]
	v_mul_u64_e32 v[2:3], s[2:3], v[2:3]
	v_sub_nc_u64_e32 v[0:1], v[0:1], v[4:5]
	s_delay_alu instid0(VALU_DEP_2) | instskip(NEXT) | instid1(VALU_DEP_1)
	v_lshl_add_u64 v[2:3], v[2:3], 1, s[12:13]
	v_lshl_add_u64 v[2:3], v[6:7], 1, v[2:3]
	s_delay_alu instid0(VALU_DEP_1)
	v_lshl_add_u64 v[0:1], v[0:1], 1, v[2:3]
	global_store_b16 v[0:1], v9, off
.LBB76_36:
	s_wait_xcnt 0x0
	s_and_not1_saveexec_b32 s0, s0
	s_cbranch_execnz .LBB76_38
.LBB76_37:
	s_endpgm
.LBB76_38:
	s_trap 2
	; divergent unreachable
	s_endpgm
	.section	.rodata,"a",@progbits
	.p2align	6, 0x0
	.amdhsa_kernel _ZN2at6native12_GLOBAL__N_129segment_reduce_forward_kernelIN3c104HalfEiEEvNS0_13ReductionTypeEPT_PKS6_PKT0_SC_llbS6_lllllll
		.amdhsa_group_segment_fixed_size 0
		.amdhsa_private_segment_fixed_size 0
		.amdhsa_kernarg_size 376
		.amdhsa_user_sgpr_count 2
		.amdhsa_user_sgpr_dispatch_ptr 0
		.amdhsa_user_sgpr_queue_ptr 0
		.amdhsa_user_sgpr_kernarg_segment_ptr 1
		.amdhsa_user_sgpr_dispatch_id 0
		.amdhsa_user_sgpr_kernarg_preload_length 0
		.amdhsa_user_sgpr_kernarg_preload_offset 0
		.amdhsa_user_sgpr_private_segment_size 0
		.amdhsa_wavefront_size32 1
		.amdhsa_uses_dynamic_stack 0
		.amdhsa_enable_private_segment 0
		.amdhsa_system_sgpr_workgroup_id_x 1
		.amdhsa_system_sgpr_workgroup_id_y 0
		.amdhsa_system_sgpr_workgroup_id_z 0
		.amdhsa_system_sgpr_workgroup_info 0
		.amdhsa_system_vgpr_workitem_id 0
		.amdhsa_next_free_vgpr 20
		.amdhsa_next_free_sgpr 44
		.amdhsa_named_barrier_count 0
		.amdhsa_reserve_vcc 1
		.amdhsa_float_round_mode_32 0
		.amdhsa_float_round_mode_16_64 0
		.amdhsa_float_denorm_mode_32 3
		.amdhsa_float_denorm_mode_16_64 3
		.amdhsa_fp16_overflow 0
		.amdhsa_memory_ordered 1
		.amdhsa_forward_progress 1
		.amdhsa_inst_pref_size 20
		.amdhsa_round_robin_scheduling 0
		.amdhsa_exception_fp_ieee_invalid_op 0
		.amdhsa_exception_fp_denorm_src 0
		.amdhsa_exception_fp_ieee_div_zero 0
		.amdhsa_exception_fp_ieee_overflow 0
		.amdhsa_exception_fp_ieee_underflow 0
		.amdhsa_exception_fp_ieee_inexact 0
		.amdhsa_exception_int_div_zero 0
	.end_amdhsa_kernel
	.section	.text._ZN2at6native12_GLOBAL__N_129segment_reduce_forward_kernelIN3c104HalfEiEEvNS0_13ReductionTypeEPT_PKS6_PKT0_SC_llbS6_lllllll,"axG",@progbits,_ZN2at6native12_GLOBAL__N_129segment_reduce_forward_kernelIN3c104HalfEiEEvNS0_13ReductionTypeEPT_PKS6_PKT0_SC_llbS6_lllllll,comdat
.Lfunc_end76:
	.size	_ZN2at6native12_GLOBAL__N_129segment_reduce_forward_kernelIN3c104HalfEiEEvNS0_13ReductionTypeEPT_PKS6_PKT0_SC_llbS6_lllllll, .Lfunc_end76-_ZN2at6native12_GLOBAL__N_129segment_reduce_forward_kernelIN3c104HalfEiEEvNS0_13ReductionTypeEPT_PKS6_PKT0_SC_llbS6_lllllll
                                        ; -- End function
	.set _ZN2at6native12_GLOBAL__N_129segment_reduce_forward_kernelIN3c104HalfEiEEvNS0_13ReductionTypeEPT_PKS6_PKT0_SC_llbS6_lllllll.num_vgpr, 20
	.set _ZN2at6native12_GLOBAL__N_129segment_reduce_forward_kernelIN3c104HalfEiEEvNS0_13ReductionTypeEPT_PKS6_PKT0_SC_llbS6_lllllll.num_agpr, 0
	.set _ZN2at6native12_GLOBAL__N_129segment_reduce_forward_kernelIN3c104HalfEiEEvNS0_13ReductionTypeEPT_PKS6_PKT0_SC_llbS6_lllllll.numbered_sgpr, 44
	.set _ZN2at6native12_GLOBAL__N_129segment_reduce_forward_kernelIN3c104HalfEiEEvNS0_13ReductionTypeEPT_PKS6_PKT0_SC_llbS6_lllllll.num_named_barrier, 0
	.set _ZN2at6native12_GLOBAL__N_129segment_reduce_forward_kernelIN3c104HalfEiEEvNS0_13ReductionTypeEPT_PKS6_PKT0_SC_llbS6_lllllll.private_seg_size, 0
	.set _ZN2at6native12_GLOBAL__N_129segment_reduce_forward_kernelIN3c104HalfEiEEvNS0_13ReductionTypeEPT_PKS6_PKT0_SC_llbS6_lllllll.uses_vcc, 1
	.set _ZN2at6native12_GLOBAL__N_129segment_reduce_forward_kernelIN3c104HalfEiEEvNS0_13ReductionTypeEPT_PKS6_PKT0_SC_llbS6_lllllll.uses_flat_scratch, 0
	.set _ZN2at6native12_GLOBAL__N_129segment_reduce_forward_kernelIN3c104HalfEiEEvNS0_13ReductionTypeEPT_PKS6_PKT0_SC_llbS6_lllllll.has_dyn_sized_stack, 0
	.set _ZN2at6native12_GLOBAL__N_129segment_reduce_forward_kernelIN3c104HalfEiEEvNS0_13ReductionTypeEPT_PKS6_PKT0_SC_llbS6_lllllll.has_recursion, 0
	.set _ZN2at6native12_GLOBAL__N_129segment_reduce_forward_kernelIN3c104HalfEiEEvNS0_13ReductionTypeEPT_PKS6_PKT0_SC_llbS6_lllllll.has_indirect_call, 0
	.section	.AMDGPU.csdata,"",@progbits
; Kernel info:
; codeLenInByte = 2468
; TotalNumSgprs: 46
; NumVgprs: 20
; ScratchSize: 0
; MemoryBound: 0
; FloatMode: 240
; IeeeMode: 1
; LDSByteSize: 0 bytes/workgroup (compile time only)
; SGPRBlocks: 0
; VGPRBlocks: 1
; NumSGPRsForWavesPerEU: 46
; NumVGPRsForWavesPerEU: 20
; NamedBarCnt: 0
; Occupancy: 16
; WaveLimiterHint : 0
; COMPUTE_PGM_RSRC2:SCRATCH_EN: 0
; COMPUTE_PGM_RSRC2:USER_SGPR: 2
; COMPUTE_PGM_RSRC2:TRAP_HANDLER: 0
; COMPUTE_PGM_RSRC2:TGID_X_EN: 1
; COMPUTE_PGM_RSRC2:TGID_Y_EN: 0
; COMPUTE_PGM_RSRC2:TGID_Z_EN: 0
; COMPUTE_PGM_RSRC2:TIDIG_COMP_CNT: 0
	.section	.text._ZN7rocprim17ROCPRIM_400000_NS6detail17trampoline_kernelINS0_14default_configENS1_32segmented_reduce_config_selectorIN3c104HalfEEEZNS1_21segmented_reduce_implIS3_PKS6_PS6_PKiS6_N6hipcub16HIPCUB_304000_NS6detail27convert_result_type_wrapperISA_SB_N2at6native12_GLOBAL__N_19CustomMaxEEEEE10hipError_tPvRmT0_T1_jT2_SS_T4_T3_P12ihipStream_tbEUlT_E_NS1_11comp_targetILNS1_3genE0ELNS1_11target_archE4294967295ELNS1_3gpuE0ELNS1_3repE0EEENS1_30default_config_static_selectorELNS0_4arch9wavefront6targetE0EEEvSR_,"axG",@progbits,_ZN7rocprim17ROCPRIM_400000_NS6detail17trampoline_kernelINS0_14default_configENS1_32segmented_reduce_config_selectorIN3c104HalfEEEZNS1_21segmented_reduce_implIS3_PKS6_PS6_PKiS6_N6hipcub16HIPCUB_304000_NS6detail27convert_result_type_wrapperISA_SB_N2at6native12_GLOBAL__N_19CustomMaxEEEEE10hipError_tPvRmT0_T1_jT2_SS_T4_T3_P12ihipStream_tbEUlT_E_NS1_11comp_targetILNS1_3genE0ELNS1_11target_archE4294967295ELNS1_3gpuE0ELNS1_3repE0EEENS1_30default_config_static_selectorELNS0_4arch9wavefront6targetE0EEEvSR_,comdat
	.globl	_ZN7rocprim17ROCPRIM_400000_NS6detail17trampoline_kernelINS0_14default_configENS1_32segmented_reduce_config_selectorIN3c104HalfEEEZNS1_21segmented_reduce_implIS3_PKS6_PS6_PKiS6_N6hipcub16HIPCUB_304000_NS6detail27convert_result_type_wrapperISA_SB_N2at6native12_GLOBAL__N_19CustomMaxEEEEE10hipError_tPvRmT0_T1_jT2_SS_T4_T3_P12ihipStream_tbEUlT_E_NS1_11comp_targetILNS1_3genE0ELNS1_11target_archE4294967295ELNS1_3gpuE0ELNS1_3repE0EEENS1_30default_config_static_selectorELNS0_4arch9wavefront6targetE0EEEvSR_ ; -- Begin function _ZN7rocprim17ROCPRIM_400000_NS6detail17trampoline_kernelINS0_14default_configENS1_32segmented_reduce_config_selectorIN3c104HalfEEEZNS1_21segmented_reduce_implIS3_PKS6_PS6_PKiS6_N6hipcub16HIPCUB_304000_NS6detail27convert_result_type_wrapperISA_SB_N2at6native12_GLOBAL__N_19CustomMaxEEEEE10hipError_tPvRmT0_T1_jT2_SS_T4_T3_P12ihipStream_tbEUlT_E_NS1_11comp_targetILNS1_3genE0ELNS1_11target_archE4294967295ELNS1_3gpuE0ELNS1_3repE0EEENS1_30default_config_static_selectorELNS0_4arch9wavefront6targetE0EEEvSR_
	.p2align	8
	.type	_ZN7rocprim17ROCPRIM_400000_NS6detail17trampoline_kernelINS0_14default_configENS1_32segmented_reduce_config_selectorIN3c104HalfEEEZNS1_21segmented_reduce_implIS3_PKS6_PS6_PKiS6_N6hipcub16HIPCUB_304000_NS6detail27convert_result_type_wrapperISA_SB_N2at6native12_GLOBAL__N_19CustomMaxEEEEE10hipError_tPvRmT0_T1_jT2_SS_T4_T3_P12ihipStream_tbEUlT_E_NS1_11comp_targetILNS1_3genE0ELNS1_11target_archE4294967295ELNS1_3gpuE0ELNS1_3repE0EEENS1_30default_config_static_selectorELNS0_4arch9wavefront6targetE0EEEvSR_,@function
_ZN7rocprim17ROCPRIM_400000_NS6detail17trampoline_kernelINS0_14default_configENS1_32segmented_reduce_config_selectorIN3c104HalfEEEZNS1_21segmented_reduce_implIS3_PKS6_PS6_PKiS6_N6hipcub16HIPCUB_304000_NS6detail27convert_result_type_wrapperISA_SB_N2at6native12_GLOBAL__N_19CustomMaxEEEEE10hipError_tPvRmT0_T1_jT2_SS_T4_T3_P12ihipStream_tbEUlT_E_NS1_11comp_targetILNS1_3genE0ELNS1_11target_archE4294967295ELNS1_3gpuE0ELNS1_3repE0EEENS1_30default_config_static_selectorELNS0_4arch9wavefront6targetE0EEEvSR_: ; @_ZN7rocprim17ROCPRIM_400000_NS6detail17trampoline_kernelINS0_14default_configENS1_32segmented_reduce_config_selectorIN3c104HalfEEEZNS1_21segmented_reduce_implIS3_PKS6_PS6_PKiS6_N6hipcub16HIPCUB_304000_NS6detail27convert_result_type_wrapperISA_SB_N2at6native12_GLOBAL__N_19CustomMaxEEEEE10hipError_tPvRmT0_T1_jT2_SS_T4_T3_P12ihipStream_tbEUlT_E_NS1_11comp_targetILNS1_3genE0ELNS1_11target_archE4294967295ELNS1_3gpuE0ELNS1_3repE0EEENS1_30default_config_static_selectorELNS0_4arch9wavefront6targetE0EEEvSR_
; %bb.0:
	v_mov_b32_e32 v1, 0
	s_clause 0x1
	s_load_b256 s[16:23], s[0:1], 0x0
	s_load_b64 s[2:3], s[0:1], 0x20
	s_bfe_u32 s4, ttmp6, 0x4000c
	s_and_b32 s5, ttmp6, 15
	s_add_co_i32 s4, s4, 1
	global_load_u16 v1, v1, s[0:1] offset:42
	s_mul_i32 s4, ttmp9, s4
	s_getreg_b32 s6, hwreg(HW_REG_IB_STS2, 6, 4)
	s_add_co_i32 s7, s5, s4
	s_mov_b32 s15, 0
	v_cmp_eq_u32_e32 vcc_lo, 0, v0
	s_wait_kmcnt 0x0
	s_lshl_b64 s[0:1], s[20:21], 2
	s_cmp_eq_u32 s6, 0
	s_add_nc_u64 s[4:5], s[22:23], s[0:1]
	s_cselect_b32 s22, ttmp9, s7
	s_add_nc_u64 s[0:1], s[2:3], s[0:1]
	s_load_b32 s24, s[4:5], s22 offset:0x0 scale_offset
	s_load_b32 s28, s[0:1], s22 offset:0x0 scale_offset
	s_mov_b32 s23, 0
	s_wait_xcnt 0x0
	s_mov_b32 s0, -1
	s_wait_kmcnt 0x0
	s_cmp_gt_i32 s28, s24
	s_cbranch_scc0 .LBB77_4
; %bb.1:
	s_and_not1_b32 vcc_lo, exec_lo, s0
	s_cbranch_vccz .LBB77_5
.LBB77_2:
	s_and_saveexec_b32 s0, s15
	s_cbranch_execnz .LBB77_408
.LBB77_3:
	s_endpgm
.LBB77_4:
	s_and_b32 s15, vcc_lo, exec_lo
	s_cbranch_execnz .LBB77_2
.LBB77_5:
	s_add_co_i32 s0, s24, 0x1000
	s_delay_alu instid0(SALU_CYCLE_1)
	s_cmp_le_i32 s0, s28
	s_cbranch_scc0 .LBB77_133
; %bb.6:
	s_ashr_i32 s25, s24, 31
	s_mov_b32 s1, exec_lo
	s_lshl_b64 s[2:3], s[24:25], 1
	s_delay_alu instid0(SALU_CYCLE_1)
	s_add_nc_u64 s[2:3], s[16:17], s[2:3]
	s_clause 0xf
	global_load_u16 v20, v0, s[2:3] scale_offset
	global_load_u16 v19, v0, s[2:3] offset:512 scale_offset
	global_load_u16 v18, v0, s[2:3] offset:1024 scale_offset
	;; [unrolled: 1-line block ×15, first 2 shown]
	s_wait_loadcnt 0xf
	v_mov_b32_e32 v12, v20
	s_wait_xcnt 0x0
	v_cmpx_o_f16_e32 v20, v20
	s_cbranch_execz .LBB77_10
; %bb.7:
	s_wait_loadcnt 0xe
	v_mov_b32_e32 v12, v19
	s_mov_b32 s2, exec_lo
	v_cmpx_o_f16_e32 v19, v19
; %bb.8:
	v_cmp_gt_f16_e32 vcc_lo, v19, v20
	v_cndmask_b32_e32 v12, v20, v19, vcc_lo
; %bb.9:
	s_or_b32 exec_lo, exec_lo, s2
.LBB77_10:
	s_delay_alu instid0(SALU_CYCLE_1) | instskip(NEXT) | instid1(SALU_CYCLE_1)
	s_or_b32 exec_lo, exec_lo, s1
	s_mov_b32 s1, exec_lo
	s_delay_alu instid0(VALU_DEP_1)
	v_cmpx_o_f16_e32 v12, v12
	s_cbranch_execz .LBB77_14
; %bb.11:
	s_wait_loadcnt 0xd
	v_mov_b32_e32 v2, v18
	s_mov_b32 s2, exec_lo
	v_cmpx_o_f16_e32 v18, v18
; %bb.12:
	v_cmp_lt_f16_e32 vcc_lo, v12, v18
	v_cndmask_b32_e32 v2, v12, v18, vcc_lo
; %bb.13:
	s_or_b32 exec_lo, exec_lo, s2
	s_delay_alu instid0(VALU_DEP_1)
	v_mov_b32_e32 v12, v2
.LBB77_14:
	s_or_b32 exec_lo, exec_lo, s1
	s_delay_alu instid0(SALU_CYCLE_1) | instskip(NEXT) | instid1(VALU_DEP_1)
	s_mov_b32 s1, exec_lo
	v_cmpx_o_f16_e32 v12, v12
	s_cbranch_execz .LBB77_18
; %bb.15:
	s_wait_loadcnt 0xc
	v_mov_b32_e32 v2, v17
	s_mov_b32 s2, exec_lo
	v_cmpx_o_f16_e32 v17, v17
; %bb.16:
	v_cmp_lt_f16_e32 vcc_lo, v12, v17
	v_cndmask_b32_e32 v2, v12, v17, vcc_lo
; %bb.17:
	s_or_b32 exec_lo, exec_lo, s2
	s_delay_alu instid0(VALU_DEP_1)
	v_mov_b32_e32 v12, v2
.LBB77_18:
	s_or_b32 exec_lo, exec_lo, s1
	s_delay_alu instid0(SALU_CYCLE_1) | instskip(NEXT) | instid1(VALU_DEP_1)
	s_mov_b32 s1, exec_lo
	;; [unrolled: 18-line block ×13, first 2 shown]
	v_cmpx_o_f16_e32 v12, v12
	s_cbranch_execz .LBB77_66
; %bb.63:
	s_wait_loadcnt 0x0
	v_mov_b32_e32 v2, v4
	s_mov_b32 s2, exec_lo
	v_cmpx_o_f16_e32 v4, v4
; %bb.64:
	v_cmp_lt_f16_e32 vcc_lo, v12, v4
	v_cndmask_b32_e32 v2, v12, v4, vcc_lo
; %bb.65:
	s_or_b32 exec_lo, exec_lo, s2
	s_delay_alu instid0(VALU_DEP_1)
	v_mov_b32_e32 v12, v2
.LBB77_66:
	s_or_b32 exec_lo, exec_lo, s1
	s_add_co_i32 s1, s24, 0x2000
	s_delay_alu instid0(SALU_CYCLE_1)
	s_cmp_ge_i32 s1, s28
	s_cbranch_scc1 .LBB77_134
; %bb.67:
	v_dual_mov_b32 v3, 0 :: v_dual_lshlrev_b32 v2, 1, v0
	s_delay_alu instid0(VALU_DEP_1)
	v_add_nc_u64_e32 v[2:3], s[16:17], v[2:3]
	s_branch .LBB77_70
.LBB77_68:                              ;   in Loop: Header=BB77_70 Depth=1
	s_or_b32 exec_lo, exec_lo, s2
	s_delay_alu instid0(VALU_DEP_1)
	v_mov_b32_e32 v12, v22
.LBB77_69:                              ;   in Loop: Header=BB77_70 Depth=1
	s_or_b32 exec_lo, exec_lo, s1
	s_add_co_i32 s1, s0, 0x2000
	s_addk_co_i32 s0, 0x1000
	s_cmp_lt_i32 s1, s28
	s_cbranch_scc0 .LBB77_134
.LBB77_70:                              ; =>This Inner Loop Header: Depth=1
	s_ashr_i32 s1, s0, 31
	v_mov_b32_e32 v21, v12
	s_delay_alu instid0(VALU_DEP_2)
	v_lshl_add_u64 v[22:23], s[0:1], 1, v[2:3]
	s_mov_b32 s1, exec_lo
	s_wait_loadcnt 0xf
	global_load_u16 v20, v[22:23], off
	s_wait_loadcnt 0xf
	global_load_u16 v19, v[22:23], off offset:512
	s_wait_loadcnt 0xf
	global_load_u16 v18, v[22:23], off offset:1024
	;; [unrolled: 2-line block ×15, first 2 shown]
	s_wait_xcnt 0x0
	v_cmpx_o_f16_e32 v12, v12
	s_cbranch_execz .LBB77_74
; %bb.71:                               ;   in Loop: Header=BB77_70 Depth=1
	s_wait_loadcnt 0xf
	v_mov_b32_e32 v21, v20
	s_mov_b32 s2, exec_lo
	v_cmpx_o_f16_e32 v20, v20
; %bb.72:                               ;   in Loop: Header=BB77_70 Depth=1
	v_cmp_gt_f16_e32 vcc_lo, v20, v12
	v_cndmask_b32_e32 v21, v12, v20, vcc_lo
; %bb.73:                               ;   in Loop: Header=BB77_70 Depth=1
	s_or_b32 exec_lo, exec_lo, s2
	s_delay_alu instid0(VALU_DEP_1)
	v_mov_b32_e32 v12, v21
.LBB77_74:                              ;   in Loop: Header=BB77_70 Depth=1
	s_or_b32 exec_lo, exec_lo, s1
	s_delay_alu instid0(SALU_CYCLE_1)
	s_mov_b32 s1, exec_lo
	v_cmpx_o_f16_e32 v21, v21
	s_cbranch_execz .LBB77_78
; %bb.75:                               ;   in Loop: Header=BB77_70 Depth=1
	s_wait_loadcnt 0xe
	v_mov_b32_e32 v22, v19
	s_mov_b32 s2, exec_lo
	v_cmpx_o_f16_e32 v19, v19
; %bb.76:                               ;   in Loop: Header=BB77_70 Depth=1
	v_cmp_lt_f16_e32 vcc_lo, v21, v19
	v_cndmask_b32_e32 v22, v12, v19, vcc_lo
; %bb.77:                               ;   in Loop: Header=BB77_70 Depth=1
	s_or_b32 exec_lo, exec_lo, s2
	s_delay_alu instid0(VALU_DEP_1)
	v_dual_mov_b32 v21, v22 :: v_dual_mov_b32 v12, v22
.LBB77_78:                              ;   in Loop: Header=BB77_70 Depth=1
	s_or_b32 exec_lo, exec_lo, s1
	s_delay_alu instid0(SALU_CYCLE_1) | instskip(NEXT) | instid1(VALU_DEP_1)
	s_mov_b32 s1, exec_lo
	v_cmpx_o_f16_e32 v21, v21
	s_cbranch_execz .LBB77_82
; %bb.79:                               ;   in Loop: Header=BB77_70 Depth=1
	s_wait_loadcnt 0xd
	v_mov_b32_e32 v22, v18
	s_mov_b32 s2, exec_lo
	v_cmpx_o_f16_e32 v18, v18
; %bb.80:                               ;   in Loop: Header=BB77_70 Depth=1
	v_cmp_lt_f16_e32 vcc_lo, v21, v18
	v_cndmask_b32_e32 v22, v12, v18, vcc_lo
; %bb.81:                               ;   in Loop: Header=BB77_70 Depth=1
	s_or_b32 exec_lo, exec_lo, s2
	s_delay_alu instid0(VALU_DEP_1)
	v_dual_mov_b32 v21, v22 :: v_dual_mov_b32 v12, v22
.LBB77_82:                              ;   in Loop: Header=BB77_70 Depth=1
	s_or_b32 exec_lo, exec_lo, s1
	s_delay_alu instid0(SALU_CYCLE_1) | instskip(NEXT) | instid1(VALU_DEP_1)
	;; [unrolled: 18-line block ×6, first 2 shown]
	s_mov_b32 s1, exec_lo
	v_cmpx_o_f16_e32 v21, v21
	s_cbranch_execz .LBB77_102
; %bb.99:                               ;   in Loop: Header=BB77_70 Depth=1
	s_wait_loadcnt 0x8
	v_mov_b32_e32 v22, v13
	s_mov_b32 s2, exec_lo
	v_cmpx_o_f16_e32 v13, v13
; %bb.100:                              ;   in Loop: Header=BB77_70 Depth=1
	v_cmp_lt_f16_e32 vcc_lo, v21, v13
	v_cndmask_b32_e32 v22, v12, v13, vcc_lo
; %bb.101:                              ;   in Loop: Header=BB77_70 Depth=1
	s_or_b32 exec_lo, exec_lo, s2
	s_delay_alu instid0(VALU_DEP_1)
	v_dual_mov_b32 v21, v22 :: v_dual_mov_b32 v12, v22
.LBB77_102:                             ;   in Loop: Header=BB77_70 Depth=1
	s_or_b32 exec_lo, exec_lo, s1
	s_delay_alu instid0(SALU_CYCLE_1) | instskip(NEXT) | instid1(VALU_DEP_1)
	s_mov_b32 s1, exec_lo
	v_cmpx_o_f16_e32 v21, v21
	s_cbranch_execz .LBB77_106
; %bb.103:                              ;   in Loop: Header=BB77_70 Depth=1
	s_wait_loadcnt 0x7
	v_mov_b32_e32 v22, v11
	s_mov_b32 s2, exec_lo
	v_cmpx_o_f16_e32 v11, v11
; %bb.104:                              ;   in Loop: Header=BB77_70 Depth=1
	v_cmp_lt_f16_e32 vcc_lo, v21, v11
	v_cndmask_b32_e32 v22, v12, v11, vcc_lo
; %bb.105:                              ;   in Loop: Header=BB77_70 Depth=1
	s_or_b32 exec_lo, exec_lo, s2
	s_delay_alu instid0(VALU_DEP_1)
	v_dual_mov_b32 v21, v22 :: v_dual_mov_b32 v12, v22
.LBB77_106:                             ;   in Loop: Header=BB77_70 Depth=1
	s_or_b32 exec_lo, exec_lo, s1
	s_delay_alu instid0(SALU_CYCLE_1) | instskip(NEXT) | instid1(VALU_DEP_1)
	s_mov_b32 s1, exec_lo
	v_cmpx_o_f16_e32 v21, v21
	s_cbranch_execz .LBB77_110
; %bb.107:                              ;   in Loop: Header=BB77_70 Depth=1
	s_wait_loadcnt 0x6
	v_mov_b32_e32 v22, v10
	s_mov_b32 s2, exec_lo
	v_cmpx_o_f16_e32 v10, v10
; %bb.108:                              ;   in Loop: Header=BB77_70 Depth=1
	v_cmp_lt_f16_e32 vcc_lo, v21, v10
	v_cndmask_b32_e32 v22, v12, v10, vcc_lo
; %bb.109:                              ;   in Loop: Header=BB77_70 Depth=1
	s_or_b32 exec_lo, exec_lo, s2
	s_delay_alu instid0(VALU_DEP_1)
	v_dual_mov_b32 v21, v22 :: v_dual_mov_b32 v12, v22
.LBB77_110:                             ;   in Loop: Header=BB77_70 Depth=1
	;; [unrolled: 18-line block ×7, first 2 shown]
	s_or_b32 exec_lo, exec_lo, s1
	s_delay_alu instid0(SALU_CYCLE_1) | instskip(NEXT) | instid1(VALU_DEP_1)
	s_mov_b32 s1, exec_lo
	v_cmpx_o_f16_e32 v21, v21
	s_cbranch_execz .LBB77_69
; %bb.131:                              ;   in Loop: Header=BB77_70 Depth=1
	s_wait_loadcnt 0x0
	v_mov_b32_e32 v22, v4
	s_mov_b32 s2, exec_lo
	v_cmpx_o_f16_e32 v4, v4
	s_cbranch_execz .LBB77_68
; %bb.132:                              ;   in Loop: Header=BB77_70 Depth=1
	v_cmp_lt_f16_e32 vcc_lo, v21, v4
	v_cndmask_b32_e32 v22, v12, v4, vcc_lo
	s_branch .LBB77_68
.LBB77_133:
                                        ; implicit-def: $vgpr3
	s_cbranch_execnz .LBB77_299
	s_branch .LBB77_401
.LBB77_134:
	s_sub_co_i32 s25, s28, s0
	s_ashr_i32 s1, s0, 31
	v_cmp_gt_u32_e64 s14, s25, v0
	s_lshl_b64 s[0:1], s[0:1], 1
	s_delay_alu instid0(SALU_CYCLE_1)
	s_add_nc_u64 s[26:27], s[16:17], s[0:1]
	s_and_saveexec_b32 s0, s14
	s_cbranch_execz .LBB77_136
; %bb.135:
	s_wait_loadcnt 0xf
	global_load_u16 v20, v0, s[26:27] scale_offset
.LBB77_136:
	s_wait_xcnt 0x0
	s_or_b32 exec_lo, exec_lo, s0
	v_or_b32_e32 v2, 0x100, v0
	s_delay_alu instid0(VALU_DEP_1)
	v_cmp_gt_u32_e64 s13, s25, v2
	s_and_saveexec_b32 s0, s13
	s_cbranch_execz .LBB77_138
; %bb.137:
	s_wait_loadcnt 0xe
	global_load_u16 v19, v0, s[26:27] offset:512 scale_offset
.LBB77_138:
	s_wait_xcnt 0x0
	s_or_b32 exec_lo, exec_lo, s0
	v_or_b32_e32 v2, 0x200, v0
	s_delay_alu instid0(VALU_DEP_1)
	v_cmp_gt_u32_e64 s12, s25, v2
	s_and_saveexec_b32 s0, s12
	s_cbranch_execz .LBB77_140
; %bb.139:
	s_wait_loadcnt 0xd
	global_load_u16 v18, v0, s[26:27] offset:1024 scale_offset
.LBB77_140:
	;; [unrolled: 11-line block ×14, first 2 shown]
	s_wait_xcnt 0x0
	s_or_b32 exec_lo, exec_lo, s29
	v_or_b32_e32 v2, 0xf00, v0
	s_delay_alu instid0(VALU_DEP_1)
	v_cmp_gt_u32_e32 vcc_lo, s25, v2
	s_and_saveexec_b32 s25, vcc_lo
	s_cbranch_execnz .LBB77_181
; %bb.165:
	s_or_b32 exec_lo, exec_lo, s25
	s_and_saveexec_b32 s25, s14
	s_cbranch_execnz .LBB77_182
.LBB77_166:
	s_or_b32 exec_lo, exec_lo, s25
	s_and_saveexec_b32 s14, s13
	s_cbranch_execnz .LBB77_187
.LBB77_167:
	s_or_b32 exec_lo, exec_lo, s14
	s_and_saveexec_b32 s13, s12
	s_cbranch_execnz .LBB77_192
.LBB77_168:
	s_or_b32 exec_lo, exec_lo, s13
	s_and_saveexec_b32 s12, s11
	s_cbranch_execnz .LBB77_197
.LBB77_169:
	s_or_b32 exec_lo, exec_lo, s12
	s_and_saveexec_b32 s11, s10
	s_cbranch_execnz .LBB77_202
.LBB77_170:
	s_or_b32 exec_lo, exec_lo, s11
	s_and_saveexec_b32 s10, s9
	s_cbranch_execnz .LBB77_207
.LBB77_171:
	s_or_b32 exec_lo, exec_lo, s10
	s_and_saveexec_b32 s9, s8
	s_cbranch_execnz .LBB77_212
.LBB77_172:
	s_or_b32 exec_lo, exec_lo, s9
	s_and_saveexec_b32 s8, s7
	s_cbranch_execnz .LBB77_217
.LBB77_173:
	s_or_b32 exec_lo, exec_lo, s8
	s_and_saveexec_b32 s7, s6
	s_cbranch_execnz .LBB77_222
.LBB77_174:
	s_or_b32 exec_lo, exec_lo, s7
	s_and_saveexec_b32 s6, s5
	s_cbranch_execnz .LBB77_227
.LBB77_175:
	s_or_b32 exec_lo, exec_lo, s6
	s_and_saveexec_b32 s5, s4
	s_cbranch_execnz .LBB77_232
.LBB77_176:
	s_or_b32 exec_lo, exec_lo, s5
	s_and_saveexec_b32 s4, s3
	s_cbranch_execnz .LBB77_237
.LBB77_177:
	s_or_b32 exec_lo, exec_lo, s4
	s_and_saveexec_b32 s3, s2
	s_cbranch_execnz .LBB77_242
.LBB77_178:
	s_or_b32 exec_lo, exec_lo, s3
	s_and_saveexec_b32 s2, s1
	s_cbranch_execnz .LBB77_247
.LBB77_179:
	s_or_b32 exec_lo, exec_lo, s2
	s_and_saveexec_b32 s1, s0
	s_cbranch_execnz .LBB77_252
.LBB77_180:
	s_or_b32 exec_lo, exec_lo, s1
	s_and_saveexec_b32 s0, vcc_lo
	s_cbranch_execnz .LBB77_257
	s_branch .LBB77_262
.LBB77_181:
	s_wait_loadcnt 0x0
	global_load_u16 v4, v0, s[26:27] offset:7680 scale_offset
	s_wait_xcnt 0x0
	s_or_b32 exec_lo, exec_lo, s25
	s_and_saveexec_b32 s25, s14
	s_cbranch_execz .LBB77_166
.LBB77_182:
	s_mov_b32 s26, exec_lo
	v_cmpx_o_f16_e32 v12, v12
	s_cbranch_execz .LBB77_186
; %bb.183:
	s_mov_b32 s27, exec_lo
	s_wait_loadcnt 0x0
	v_cmpx_o_f16_e32 v20, v20
; %bb.184:
	v_cmp_gt_f16_e64 s14, v20, v12
	s_delay_alu instid0(VALU_DEP_1)
	v_cndmask_b32_e64 v20, v12, v20, s14
; %bb.185:
	s_or_b32 exec_lo, exec_lo, s27
	s_delay_alu instid0(VALU_DEP_1)
	v_mov_b32_e32 v12, v20
.LBB77_186:
	s_or_b32 exec_lo, exec_lo, s26
	s_delay_alu instid0(SALU_CYCLE_1)
	s_or_b32 exec_lo, exec_lo, s25
	s_and_saveexec_b32 s14, s13
	s_cbranch_execz .LBB77_167
.LBB77_187:
	s_mov_b32 s25, exec_lo
	v_cmpx_o_f16_e32 v12, v12
	s_cbranch_execz .LBB77_191
; %bb.188:
	s_mov_b32 s26, exec_lo
	s_wait_loadcnt 0x0
	v_cmpx_o_f16_e32 v19, v19
; %bb.189:
	v_cmp_gt_f16_e64 s13, v19, v12
	s_delay_alu instid0(VALU_DEP_1)
	v_cndmask_b32_e64 v19, v12, v19, s13
; %bb.190:
	s_or_b32 exec_lo, exec_lo, s26
	s_delay_alu instid0(VALU_DEP_1)
	v_mov_b32_e32 v12, v19
.LBB77_191:
	s_or_b32 exec_lo, exec_lo, s25
	s_delay_alu instid0(SALU_CYCLE_1)
	s_or_b32 exec_lo, exec_lo, s14
	s_and_saveexec_b32 s13, s12
	s_cbranch_execz .LBB77_168
.LBB77_192:
	s_mov_b32 s14, exec_lo
	v_cmpx_o_f16_e32 v12, v12
	s_cbranch_execz .LBB77_196
; %bb.193:
	s_mov_b32 s25, exec_lo
	s_wait_loadcnt 0x0
	v_cmpx_o_f16_e32 v18, v18
; %bb.194:
	v_cmp_gt_f16_e64 s12, v18, v12
	s_delay_alu instid0(VALU_DEP_1)
	v_cndmask_b32_e64 v18, v12, v18, s12
; %bb.195:
	s_or_b32 exec_lo, exec_lo, s25
	s_delay_alu instid0(VALU_DEP_1)
	v_mov_b32_e32 v12, v18
.LBB77_196:
	s_or_b32 exec_lo, exec_lo, s14
	s_delay_alu instid0(SALU_CYCLE_1)
	s_or_b32 exec_lo, exec_lo, s13
	s_and_saveexec_b32 s12, s11
	s_cbranch_execz .LBB77_169
.LBB77_197:
	s_mov_b32 s13, exec_lo
	v_cmpx_o_f16_e32 v12, v12
	s_cbranch_execz .LBB77_201
; %bb.198:
	s_mov_b32 s14, exec_lo
	s_wait_loadcnt 0x0
	v_cmpx_o_f16_e32 v17, v17
; %bb.199:
	v_cmp_gt_f16_e64 s11, v17, v12
	s_delay_alu instid0(VALU_DEP_1)
	v_cndmask_b32_e64 v17, v12, v17, s11
; %bb.200:
	s_or_b32 exec_lo, exec_lo, s14
	s_delay_alu instid0(VALU_DEP_1)
	v_mov_b32_e32 v12, v17
.LBB77_201:
	s_or_b32 exec_lo, exec_lo, s13
	s_delay_alu instid0(SALU_CYCLE_1)
	s_or_b32 exec_lo, exec_lo, s12
	s_and_saveexec_b32 s11, s10
	s_cbranch_execz .LBB77_170
.LBB77_202:
	s_mov_b32 s12, exec_lo
	v_cmpx_o_f16_e32 v12, v12
	s_cbranch_execz .LBB77_206
; %bb.203:
	s_mov_b32 s13, exec_lo
	s_wait_loadcnt 0x0
	v_cmpx_o_f16_e32 v16, v16
; %bb.204:
	v_cmp_gt_f16_e64 s10, v16, v12
	s_delay_alu instid0(VALU_DEP_1)
	v_cndmask_b32_e64 v16, v12, v16, s10
; %bb.205:
	s_or_b32 exec_lo, exec_lo, s13
	s_delay_alu instid0(VALU_DEP_1)
	v_mov_b32_e32 v12, v16
.LBB77_206:
	s_or_b32 exec_lo, exec_lo, s12
	s_delay_alu instid0(SALU_CYCLE_1)
	s_or_b32 exec_lo, exec_lo, s11
	s_and_saveexec_b32 s10, s9
	s_cbranch_execz .LBB77_171
.LBB77_207:
	s_mov_b32 s11, exec_lo
	v_cmpx_o_f16_e32 v12, v12
	s_cbranch_execz .LBB77_211
; %bb.208:
	s_mov_b32 s12, exec_lo
	s_wait_loadcnt 0x0
	v_cmpx_o_f16_e32 v15, v15
; %bb.209:
	v_cmp_gt_f16_e64 s9, v15, v12
	s_delay_alu instid0(VALU_DEP_1)
	v_cndmask_b32_e64 v15, v12, v15, s9
; %bb.210:
	s_or_b32 exec_lo, exec_lo, s12
	s_delay_alu instid0(VALU_DEP_1)
	v_mov_b32_e32 v12, v15
.LBB77_211:
	s_or_b32 exec_lo, exec_lo, s11
	s_delay_alu instid0(SALU_CYCLE_1)
	s_or_b32 exec_lo, exec_lo, s10
	s_and_saveexec_b32 s9, s8
	s_cbranch_execz .LBB77_172
.LBB77_212:
	s_mov_b32 s10, exec_lo
	v_cmpx_o_f16_e32 v12, v12
	s_cbranch_execz .LBB77_216
; %bb.213:
	s_mov_b32 s11, exec_lo
	s_wait_loadcnt 0x0
	v_cmpx_o_f16_e32 v14, v14
; %bb.214:
	v_cmp_gt_f16_e64 s8, v14, v12
	s_delay_alu instid0(VALU_DEP_1)
	v_cndmask_b32_e64 v14, v12, v14, s8
; %bb.215:
	s_or_b32 exec_lo, exec_lo, s11
	s_delay_alu instid0(VALU_DEP_1)
	v_mov_b32_e32 v12, v14
.LBB77_216:
	s_or_b32 exec_lo, exec_lo, s10
	s_delay_alu instid0(SALU_CYCLE_1)
	s_or_b32 exec_lo, exec_lo, s9
	s_and_saveexec_b32 s8, s7
	s_cbranch_execz .LBB77_173
.LBB77_217:
	s_mov_b32 s9, exec_lo
	v_cmpx_o_f16_e32 v12, v12
	s_cbranch_execz .LBB77_221
; %bb.218:
	s_mov_b32 s10, exec_lo
	s_wait_loadcnt 0x0
	v_cmpx_o_f16_e32 v13, v13
; %bb.219:
	v_cmp_gt_f16_e64 s7, v13, v12
	s_delay_alu instid0(VALU_DEP_1)
	v_cndmask_b32_e64 v13, v12, v13, s7
; %bb.220:
	s_or_b32 exec_lo, exec_lo, s10
	s_delay_alu instid0(VALU_DEP_1)
	v_mov_b32_e32 v12, v13
.LBB77_221:
	s_or_b32 exec_lo, exec_lo, s9
	s_delay_alu instid0(SALU_CYCLE_1)
	s_or_b32 exec_lo, exec_lo, s8
	s_and_saveexec_b32 s7, s6
	s_cbranch_execz .LBB77_174
.LBB77_222:
	s_mov_b32 s8, exec_lo
	v_cmpx_o_f16_e32 v12, v12
	s_cbranch_execz .LBB77_226
; %bb.223:
	s_mov_b32 s9, exec_lo
	s_wait_loadcnt 0x0
	v_cmpx_o_f16_e32 v11, v11
; %bb.224:
	v_cmp_gt_f16_e64 s6, v11, v12
	s_delay_alu instid0(VALU_DEP_1)
	v_cndmask_b32_e64 v11, v12, v11, s6
; %bb.225:
	s_or_b32 exec_lo, exec_lo, s9
	s_delay_alu instid0(VALU_DEP_1)
	v_mov_b32_e32 v12, v11
.LBB77_226:
	s_or_b32 exec_lo, exec_lo, s8
	s_delay_alu instid0(SALU_CYCLE_1)
	s_or_b32 exec_lo, exec_lo, s7
	s_and_saveexec_b32 s6, s5
	s_cbranch_execz .LBB77_175
.LBB77_227:
	s_mov_b32 s7, exec_lo
	v_cmpx_o_f16_e32 v12, v12
	s_cbranch_execz .LBB77_231
; %bb.228:
	s_mov_b32 s8, exec_lo
	s_wait_loadcnt 0x0
	v_cmpx_o_f16_e32 v10, v10
; %bb.229:
	v_cmp_gt_f16_e64 s5, v10, v12
	s_delay_alu instid0(VALU_DEP_1)
	v_cndmask_b32_e64 v10, v12, v10, s5
; %bb.230:
	s_or_b32 exec_lo, exec_lo, s8
	s_delay_alu instid0(VALU_DEP_1)
	v_mov_b32_e32 v12, v10
.LBB77_231:
	s_or_b32 exec_lo, exec_lo, s7
	s_delay_alu instid0(SALU_CYCLE_1)
	s_or_b32 exec_lo, exec_lo, s6
	s_and_saveexec_b32 s5, s4
	s_cbranch_execz .LBB77_176
.LBB77_232:
	s_mov_b32 s6, exec_lo
	v_cmpx_o_f16_e32 v12, v12
	s_cbranch_execz .LBB77_236
; %bb.233:
	s_mov_b32 s7, exec_lo
	s_wait_loadcnt 0x0
	v_cmpx_o_f16_e32 v9, v9
; %bb.234:
	v_cmp_gt_f16_e64 s4, v9, v12
	s_delay_alu instid0(VALU_DEP_1)
	v_cndmask_b32_e64 v9, v12, v9, s4
; %bb.235:
	s_or_b32 exec_lo, exec_lo, s7
	s_delay_alu instid0(VALU_DEP_1)
	v_mov_b32_e32 v12, v9
.LBB77_236:
	s_or_b32 exec_lo, exec_lo, s6
	s_delay_alu instid0(SALU_CYCLE_1)
	s_or_b32 exec_lo, exec_lo, s5
	s_and_saveexec_b32 s4, s3
	s_cbranch_execz .LBB77_177
.LBB77_237:
	s_mov_b32 s5, exec_lo
	v_cmpx_o_f16_e32 v12, v12
	s_cbranch_execz .LBB77_241
; %bb.238:
	s_mov_b32 s6, exec_lo
	s_wait_loadcnt 0x0
	v_cmpx_o_f16_e32 v8, v8
; %bb.239:
	v_cmp_gt_f16_e64 s3, v8, v12
	s_delay_alu instid0(VALU_DEP_1)
	v_cndmask_b32_e64 v8, v12, v8, s3
; %bb.240:
	s_or_b32 exec_lo, exec_lo, s6
	s_delay_alu instid0(VALU_DEP_1)
	v_mov_b32_e32 v12, v8
.LBB77_241:
	s_or_b32 exec_lo, exec_lo, s5
	s_delay_alu instid0(SALU_CYCLE_1)
	s_or_b32 exec_lo, exec_lo, s4
	s_and_saveexec_b32 s3, s2
	s_cbranch_execz .LBB77_178
.LBB77_242:
	s_mov_b32 s4, exec_lo
	v_cmpx_o_f16_e32 v12, v12
	s_cbranch_execz .LBB77_246
; %bb.243:
	s_mov_b32 s5, exec_lo
	s_wait_loadcnt 0x0
	v_cmpx_o_f16_e32 v7, v7
; %bb.244:
	v_cmp_gt_f16_e64 s2, v7, v12
	s_delay_alu instid0(VALU_DEP_1)
	v_cndmask_b32_e64 v7, v12, v7, s2
; %bb.245:
	s_or_b32 exec_lo, exec_lo, s5
	s_delay_alu instid0(VALU_DEP_1)
	v_mov_b32_e32 v12, v7
.LBB77_246:
	s_or_b32 exec_lo, exec_lo, s4
	s_delay_alu instid0(SALU_CYCLE_1)
	s_or_b32 exec_lo, exec_lo, s3
	s_and_saveexec_b32 s2, s1
	s_cbranch_execz .LBB77_179
.LBB77_247:
	s_mov_b32 s3, exec_lo
	v_cmpx_o_f16_e32 v12, v12
	s_cbranch_execz .LBB77_251
; %bb.248:
	s_mov_b32 s4, exec_lo
	s_wait_loadcnt 0x0
	v_cmpx_o_f16_e32 v6, v6
; %bb.249:
	v_cmp_gt_f16_e64 s1, v6, v12
	s_delay_alu instid0(VALU_DEP_1)
	v_cndmask_b32_e64 v6, v12, v6, s1
; %bb.250:
	s_or_b32 exec_lo, exec_lo, s4
	s_delay_alu instid0(VALU_DEP_1)
	v_mov_b32_e32 v12, v6
.LBB77_251:
	s_or_b32 exec_lo, exec_lo, s3
	s_delay_alu instid0(SALU_CYCLE_1)
	s_or_b32 exec_lo, exec_lo, s2
	s_and_saveexec_b32 s1, s0
	s_cbranch_execz .LBB77_180
.LBB77_252:
	s_mov_b32 s2, exec_lo
	v_cmpx_o_f16_e32 v12, v12
	s_cbranch_execz .LBB77_256
; %bb.253:
	s_mov_b32 s3, exec_lo
	s_wait_loadcnt 0x0
	v_cmpx_o_f16_e32 v5, v5
; %bb.254:
	v_cmp_gt_f16_e64 s0, v5, v12
	s_delay_alu instid0(VALU_DEP_1)
	v_cndmask_b32_e64 v5, v12, v5, s0
; %bb.255:
	s_or_b32 exec_lo, exec_lo, s3
	s_delay_alu instid0(VALU_DEP_1)
	v_mov_b32_e32 v12, v5
.LBB77_256:
	s_or_b32 exec_lo, exec_lo, s2
	s_delay_alu instid0(SALU_CYCLE_1)
	s_or_b32 exec_lo, exec_lo, s1
	s_and_saveexec_b32 s0, vcc_lo
	s_cbranch_execz .LBB77_262
.LBB77_257:
	s_mov_b32 s1, exec_lo
	v_cmpx_o_f16_e32 v12, v12
	s_cbranch_execz .LBB77_261
; %bb.258:
	s_mov_b32 s2, exec_lo
	s_wait_loadcnt 0x0
	v_cmpx_o_f16_e32 v4, v4
; %bb.259:
	v_cmp_gt_f16_e32 vcc_lo, v4, v12
	v_cndmask_b32_e32 v4, v12, v4, vcc_lo
; %bb.260:
	s_or_b32 exec_lo, exec_lo, s2
	s_delay_alu instid0(VALU_DEP_1)
	v_mov_b32_e32 v12, v4
.LBB77_261:
	s_or_b32 exec_lo, exec_lo, s1
.LBB77_262:
	s_delay_alu instid0(SALU_CYCLE_1) | instskip(NEXT) | instid1(VALU_DEP_1)
	s_or_b32 exec_lo, exec_lo, s0
	v_and_b32_e32 v2, 0xffff, v12
	s_mov_b32 s0, exec_lo
	s_delay_alu instid0(VALU_DEP_1) | instskip(NEXT) | instid1(VALU_DEP_1)
	v_mov_b32_dpp v2, v2 quad_perm:[1,0,3,2] row_mask:0xf bank_mask:0xf
	v_cmpx_o_f16_e32 v2, v2
	s_xor_b32 s0, exec_lo, s0
	s_cbranch_execz .LBB77_266
; %bb.263:
	s_mov_b32 s1, exec_lo
	v_cmpx_o_f16_e32 v12, v12
; %bb.264:
	v_cmp_gt_f16_e32 vcc_lo, v12, v2
	v_cndmask_b32_e32 v12, v2, v12, vcc_lo
; %bb.265:
	s_or_b32 exec_lo, exec_lo, s1
	s_delay_alu instid0(VALU_DEP_1)
	v_mov_b32_e32 v2, v12
.LBB77_266:
	s_or_b32 exec_lo, exec_lo, s0
	s_delay_alu instid0(VALU_DEP_1) | instskip(SKIP_1) | instid1(VALU_DEP_1)
	v_and_b32_e32 v3, 0xffff, v2
	s_mov_b32 s0, exec_lo
	v_mov_b32_dpp v3, v3 quad_perm:[2,3,0,1] row_mask:0xf bank_mask:0xf
	s_delay_alu instid0(VALU_DEP_1)
	v_cmpx_o_f16_e32 v3, v3
	s_cbranch_execz .LBB77_270
; %bb.267:
	s_mov_b32 s1, exec_lo
	v_cmpx_o_f16_e32 v2, v2
; %bb.268:
	v_cmp_gt_f16_e32 vcc_lo, v2, v3
	v_cndmask_b32_e32 v2, v3, v2, vcc_lo
; %bb.269:
	s_or_b32 exec_lo, exec_lo, s1
	s_delay_alu instid0(VALU_DEP_1)
	v_mov_b32_e32 v3, v2
.LBB77_270:
	s_or_b32 exec_lo, exec_lo, s0
	s_delay_alu instid0(VALU_DEP_1) | instskip(SKIP_1) | instid1(VALU_DEP_1)
	v_and_b32_e32 v2, 0xffff, v3
	s_mov_b32 s0, exec_lo
	v_mov_b32_dpp v2, v2 row_ror:4 row_mask:0xf bank_mask:0xf
	s_delay_alu instid0(VALU_DEP_1)
	v_cmpx_o_f16_e32 v2, v2
	s_cbranch_execz .LBB77_274
; %bb.271:
	s_mov_b32 s1, exec_lo
	v_cmpx_o_f16_e32 v3, v3
; %bb.272:
	v_cmp_gt_f16_e32 vcc_lo, v3, v2
	v_cndmask_b32_e32 v3, v2, v3, vcc_lo
; %bb.273:
	s_or_b32 exec_lo, exec_lo, s1
	s_delay_alu instid0(VALU_DEP_1)
	v_mov_b32_e32 v2, v3
.LBB77_274:
	s_or_b32 exec_lo, exec_lo, s0
	s_delay_alu instid0(VALU_DEP_1) | instskip(SKIP_1) | instid1(VALU_DEP_1)
	v_and_b32_e32 v3, 0xffff, v2
	s_mov_b32 s0, exec_lo
	v_mov_b32_dpp v3, v3 row_ror:8 row_mask:0xf bank_mask:0xf
	s_delay_alu instid0(VALU_DEP_1)
	v_cmpx_o_f16_e32 v3, v3
	s_cbranch_execz .LBB77_278
; %bb.275:
	s_mov_b32 s1, exec_lo
	v_cmpx_o_f16_e32 v2, v2
; %bb.276:
	v_cmp_gt_f16_e32 vcc_lo, v2, v3
	v_cndmask_b32_e32 v2, v3, v2, vcc_lo
; %bb.277:
	s_or_b32 exec_lo, exec_lo, s1
	s_delay_alu instid0(VALU_DEP_1)
	v_mov_b32_e32 v3, v2
.LBB77_278:
	s_or_b32 exec_lo, exec_lo, s0
	s_delay_alu instid0(VALU_DEP_1)
	v_and_b32_e32 v2, 0xffff, v3
	s_mov_b32 s0, exec_lo
	ds_swizzle_b32 v2, v2 offset:swizzle(BROADCAST,32,15)
	s_wait_dscnt 0x0
	v_cmpx_o_f16_e32 v2, v2
	s_cbranch_execz .LBB77_282
; %bb.279:
	s_mov_b32 s1, exec_lo
	v_cmpx_o_f16_e32 v3, v3
; %bb.280:
	v_cmp_gt_f16_e32 vcc_lo, v3, v2
	v_cndmask_b32_e32 v3, v2, v3, vcc_lo
; %bb.281:
	s_or_b32 exec_lo, exec_lo, s1
	s_delay_alu instid0(VALU_DEP_1)
	v_mov_b32_e32 v2, v3
.LBB77_282:
	s_or_b32 exec_lo, exec_lo, s0
	s_delay_alu instid0(VALU_DEP_1) | instskip(SKIP_4) | instid1(VALU_DEP_1)
	v_and_b32_e32 v2, 0xffff, v2
	v_mov_b32_e32 v3, 0
	s_mov_b32 s0, exec_lo
	ds_bpermute_b32 v3, v3, v2 offset:124
	v_mbcnt_lo_u32_b32 v2, -1, 0
	v_cmpx_eq_u32_e32 0, v2
	s_cbranch_execz .LBB77_284
; %bb.283:
	s_wait_loadcnt 0x0
	v_lshrrev_b32_e32 v4, 4, v0
	s_delay_alu instid0(VALU_DEP_1)
	v_and_b32_e32 v4, 14, v4
	s_wait_dscnt 0x0
	ds_store_b16 v4, v3
.LBB77_284:
	s_or_b32 exec_lo, exec_lo, s0
	s_delay_alu instid0(SALU_CYCLE_1)
	s_mov_b32 s0, exec_lo
	s_wait_loadcnt_dscnt 0x0
	s_barrier_signal -1
	s_barrier_wait -1
	v_cmpx_gt_u32_e32 32, v0
	s_cbranch_execz .LBB77_298
; %bb.285:
	v_and_b32_e32 v4, 7, v2
	s_mov_b32 s1, exec_lo
	s_delay_alu instid0(VALU_DEP_1) | instskip(SKIP_1) | instid1(VALU_DEP_1)
	v_cmp_ne_u32_e32 vcc_lo, 7, v4
	v_add_co_ci_u32_e64 v5, null, 0, v2, vcc_lo
	v_dual_lshlrev_b32 v5, 2, v5 :: v_dual_lshlrev_b32 v3, 1, v4
	ds_load_u16 v3, v3
	s_wait_dscnt 0x0
	v_and_b32_e32 v6, 0xffff, v3
	ds_bpermute_b32 v5, v5, v6
	v_cmpx_o_f16_e32 v3, v3
	s_cbranch_execz .LBB77_289
; %bb.286:
	s_mov_b32 s2, exec_lo
	s_wait_dscnt 0x0
	v_cmpx_o_f16_e32 v5, v5
; %bb.287:
	v_cmp_lt_f16_e32 vcc_lo, v3, v5
	v_cndmask_b32_e32 v5, v3, v5, vcc_lo
; %bb.288:
	s_or_b32 exec_lo, exec_lo, s2
	s_delay_alu instid0(VALU_DEP_1)
	v_mov_b32_e32 v3, v5
.LBB77_289:
	s_or_b32 exec_lo, exec_lo, s1
	v_cmp_gt_u32_e32 vcc_lo, 6, v4
	s_wait_dscnt 0x0
	s_delay_alu instid0(VALU_DEP_2) | instskip(SKIP_2) | instid1(VALU_DEP_1)
	v_and_b32_e32 v5, 0xffff, v3
	s_mov_b32 s1, exec_lo
	v_cndmask_b32_e64 v4, 0, 2, vcc_lo
	v_add_lshl_u32 v4, v4, v2, 2
	v_lshlrev_b32_e32 v2, 2, v2
	ds_bpermute_b32 v4, v4, v5
	v_cmpx_o_f16_e32 v3, v3
	s_cbranch_execz .LBB77_293
; %bb.290:
	s_mov_b32 s2, exec_lo
	s_wait_dscnt 0x0
	v_cmpx_o_f16_e32 v4, v4
; %bb.291:
	v_cmp_lt_f16_e32 vcc_lo, v3, v4
	v_cndmask_b32_e32 v4, v3, v4, vcc_lo
; %bb.292:
	s_or_b32 exec_lo, exec_lo, s2
	s_delay_alu instid0(VALU_DEP_1)
	v_mov_b32_e32 v3, v4
.LBB77_293:
	s_or_b32 exec_lo, exec_lo, s1
	v_or_b32_e32 v2, 16, v2
	s_wait_dscnt 0x0
	s_delay_alu instid0(VALU_DEP_2)
	v_and_b32_e32 v4, 0xffff, v3
	s_mov_b32 s1, exec_lo
	ds_bpermute_b32 v2, v2, v4
	v_cmpx_o_f16_e32 v3, v3
	s_cbranch_execz .LBB77_297
; %bb.294:
	s_mov_b32 s2, exec_lo
	s_wait_dscnt 0x0
	v_cmpx_o_f16_e32 v2, v2
; %bb.295:
	v_cmp_lt_f16_e32 vcc_lo, v3, v2
	v_cndmask_b32_e32 v2, v3, v2, vcc_lo
; %bb.296:
	s_or_b32 exec_lo, exec_lo, s2
	s_delay_alu instid0(VALU_DEP_1)
	v_mov_b32_e32 v3, v2
.LBB77_297:
	s_or_b32 exec_lo, exec_lo, s1
.LBB77_298:
	s_delay_alu instid0(SALU_CYCLE_1)
	s_or_b32 exec_lo, exec_lo, s0
	s_branch .LBB77_401
.LBB77_299:
	s_sub_co_i32 s0, s28, s24
	s_mov_b32 s1, exec_lo
                                        ; implicit-def: $vgpr5
	v_cmpx_gt_u32_e64 s0, v0
	s_cbranch_execz .LBB77_309
; %bb.300:
	s_wait_dscnt 0x0
	v_add_nc_u32_e32 v2, s24, v0
	s_mov_b32 s2, exec_lo
	global_load_u16 v5, v2, s[16:17] scale_offset
	s_wait_xcnt 0x0
	v_add_nc_u32_e32 v2, 0x100, v2
	s_delay_alu instid0(VALU_DEP_1)
	v_cmpx_gt_i32_e64 s28, v2
	s_cbranch_execz .LBB77_308
; %bb.301:
	s_mov_b32 s3, 0
	s_branch .LBB77_304
.LBB77_302:                             ;   in Loop: Header=BB77_304 Depth=1
	s_or_b32 exec_lo, exec_lo, s5
	s_delay_alu instid0(VALU_DEP_1)
	v_mov_b32_e32 v5, v3
.LBB77_303:                             ;   in Loop: Header=BB77_304 Depth=1
	s_or_b32 exec_lo, exec_lo, s4
	v_add_nc_u32_e32 v2, 0x100, v2
	s_delay_alu instid0(VALU_DEP_1) | instskip(SKIP_1) | instid1(SALU_CYCLE_1)
	v_cmp_le_i32_e32 vcc_lo, s28, v2
	s_or_b32 s3, vcc_lo, s3
	s_and_not1_b32 exec_lo, exec_lo, s3
	s_cbranch_execz .LBB77_307
.LBB77_304:                             ; =>This Inner Loop Header: Depth=1
	s_mov_b32 s4, exec_lo
	s_wait_loadcnt 0x0
	v_cmpx_o_f16_e32 v5, v5
	s_cbranch_execz .LBB77_303
; %bb.305:                              ;   in Loop: Header=BB77_304 Depth=1
	global_load_u16 v3, v2, s[16:17] scale_offset
	s_mov_b32 s5, exec_lo
	s_wait_loadcnt 0x0
	v_cmpx_o_f16_e32 v3, v3
	s_cbranch_execz .LBB77_302
; %bb.306:                              ;   in Loop: Header=BB77_304 Depth=1
	v_cmp_lt_f16_e32 vcc_lo, v5, v3
	v_cndmask_b32_e32 v3, v5, v3, vcc_lo
	s_branch .LBB77_302
.LBB77_307:
	s_or_b32 exec_lo, exec_lo, s3
.LBB77_308:
	s_delay_alu instid0(SALU_CYCLE_1)
	s_or_b32 exec_lo, exec_lo, s2
.LBB77_309:
	s_delay_alu instid0(SALU_CYCLE_1)
	s_or_b32 exec_lo, exec_lo, s1
	v_lshrrev_b32_e32 v4, 5, v0
	s_wait_dscnt 0x0
	v_mbcnt_lo_u32_b32 v2, -1, 0
	s_wait_loadcnt 0x0
	v_and_b32_e32 v6, 0xffff, v5
	s_cmp_lt_u32 s0, 0x100
	s_mov_b32 s1, -1
                                        ; implicit-def: $vgpr3
	s_cbranch_scc0 .LBB77_363
; %bb.310:
	v_cmp_ne_u32_e32 vcc_lo, 31, v2
	v_mov_b32_e32 v9, v6
	v_add_co_ci_u32_e64 v3, null, 0, v2, vcc_lo
	s_delay_alu instid0(VALU_DEP_1) | instskip(SKIP_2) | instid1(VALU_DEP_1)
	v_lshlrev_b32_e32 v3, 2, v3
	ds_bpermute_b32 v8, v3, v6
	v_and_b32_e32 v3, 0xe0, v0
	v_sub_nc_u32_e64 v7, s0, v3 clamp
	v_add_nc_u32_e32 v3, 1, v2
	s_delay_alu instid0(VALU_DEP_1)
	v_cmp_lt_u32_e32 vcc_lo, v3, v7
	v_mov_b32_e32 v3, v5
	s_and_saveexec_b32 s1, vcc_lo
	s_cbranch_execz .LBB77_316
; %bb.311:
	v_mov_b32_e32 v3, v5
	s_mov_b32 s2, exec_lo
	v_cmpx_o_f16_e32 v5, v5
	s_cbranch_execz .LBB77_315
; %bb.312:
	s_mov_b32 s3, exec_lo
	s_wait_dscnt 0x0
	v_cmpx_o_f16_e32 v8, v8
; %bb.313:
	v_cmp_lt_f16_e32 vcc_lo, v5, v8
	v_cndmask_b32_e32 v8, v5, v8, vcc_lo
; %bb.314:
	s_or_b32 exec_lo, exec_lo, s3
	s_delay_alu instid0(VALU_DEP_1)
	v_mov_b32_e32 v3, v8
.LBB77_315:
	s_or_b32 exec_lo, exec_lo, s2
	s_delay_alu instid0(VALU_DEP_1)
	v_and_b32_e32 v9, 0xffff, v3
.LBB77_316:
	s_or_b32 exec_lo, exec_lo, s1
	v_cmp_gt_u32_e32 vcc_lo, 30, v2
	v_add_nc_u32_e32 v10, 2, v2
	s_mov_b32 s1, exec_lo
	s_wait_dscnt 0x0
	v_cndmask_b32_e64 v8, 0, 2, vcc_lo
	s_delay_alu instid0(VALU_DEP_1)
	v_add_lshl_u32 v8, v8, v2, 2
	ds_bpermute_b32 v8, v8, v9
	v_cmpx_lt_u32_e64 v10, v7
	s_cbranch_execz .LBB77_322
; %bb.317:
	s_mov_b32 s2, exec_lo
	v_cmpx_o_f16_e32 v3, v3
	s_cbranch_execz .LBB77_321
; %bb.318:
	s_mov_b32 s3, exec_lo
	s_wait_dscnt 0x0
	v_cmpx_o_f16_e32 v8, v8
; %bb.319:
	v_cmp_lt_f16_e32 vcc_lo, v3, v8
	v_cndmask_b32_e32 v8, v3, v8, vcc_lo
; %bb.320:
	s_or_b32 exec_lo, exec_lo, s3
	s_delay_alu instid0(VALU_DEP_1)
	v_mov_b32_e32 v3, v8
.LBB77_321:
	s_or_b32 exec_lo, exec_lo, s2
	s_delay_alu instid0(VALU_DEP_1)
	v_and_b32_e32 v9, 0xffff, v3
.LBB77_322:
	s_or_b32 exec_lo, exec_lo, s1
	v_cmp_gt_u32_e32 vcc_lo, 28, v2
	v_add_nc_u32_e32 v10, 4, v2
	s_mov_b32 s1, exec_lo
	s_wait_dscnt 0x0
	v_cndmask_b32_e64 v8, 0, 4, vcc_lo
	s_delay_alu instid0(VALU_DEP_1)
	v_add_lshl_u32 v8, v8, v2, 2
	ds_bpermute_b32 v8, v8, v9
	v_cmpx_lt_u32_e64 v10, v7
	s_cbranch_execz .LBB77_328
; %bb.323:
	s_mov_b32 s2, exec_lo
	v_cmpx_o_f16_e32 v3, v3
	s_cbranch_execz .LBB77_327
; %bb.324:
	s_mov_b32 s3, exec_lo
	s_wait_dscnt 0x0
	v_cmpx_o_f16_e32 v8, v8
; %bb.325:
	v_cmp_lt_f16_e32 vcc_lo, v3, v8
	v_cndmask_b32_e32 v8, v3, v8, vcc_lo
; %bb.326:
	s_or_b32 exec_lo, exec_lo, s3
	s_delay_alu instid0(VALU_DEP_1)
	v_mov_b32_e32 v3, v8
.LBB77_327:
	s_or_b32 exec_lo, exec_lo, s2
	s_delay_alu instid0(VALU_DEP_1)
	v_and_b32_e32 v9, 0xffff, v3
.LBB77_328:
	;; [unrolled: 31-line block ×3, first 2 shown]
	s_or_b32 exec_lo, exec_lo, s1
	s_wait_dscnt 0x0
	v_lshlrev_b32_e32 v8, 2, v2
	s_mov_b32 s1, exec_lo
	s_delay_alu instid0(VALU_DEP_1) | instskip(SKIP_2) | instid1(VALU_DEP_1)
	v_or_b32_e32 v10, 64, v8
	ds_bpermute_b32 v9, v10, v9
	v_add_nc_u32_e32 v10, 16, v2
	v_cmpx_lt_u32_e64 v10, v7
	s_cbranch_execz .LBB77_340
; %bb.335:
	s_mov_b32 s2, exec_lo
	v_cmpx_o_f16_e32 v3, v3
	s_cbranch_execz .LBB77_339
; %bb.336:
	s_mov_b32 s3, exec_lo
	s_wait_dscnt 0x0
	v_cmpx_o_f16_e32 v9, v9
; %bb.337:
	v_cmp_lt_f16_e32 vcc_lo, v3, v9
	v_cndmask_b32_e32 v9, v3, v9, vcc_lo
; %bb.338:
	s_or_b32 exec_lo, exec_lo, s3
	s_delay_alu instid0(VALU_DEP_1)
	v_mov_b32_e32 v3, v9
.LBB77_339:
	s_or_b32 exec_lo, exec_lo, s2
.LBB77_340:
	s_delay_alu instid0(SALU_CYCLE_1) | instskip(NEXT) | instid1(SALU_CYCLE_1)
	s_or_b32 exec_lo, exec_lo, s1
	s_mov_b32 s1, exec_lo
	v_cmpx_eq_u32_e32 0, v2
; %bb.341:
	v_lshlrev_b32_e32 v7, 1, v4
	ds_store_b16 v7, v3
; %bb.342:
	s_or_b32 exec_lo, exec_lo, s1
	s_delay_alu instid0(SALU_CYCLE_1)
	s_mov_b32 s1, exec_lo
	s_wait_dscnt 0x0
	s_barrier_signal -1
	s_barrier_wait -1
	v_cmpx_gt_u32_e32 8, v0
	s_cbranch_execz .LBB77_362
; %bb.343:
	v_dual_lshlrev_b32 v3, 1, v2 :: v_dual_bitop2_b32 v7, 7, v2 bitop3:0x40
	s_add_co_i32 s0, s0, 31
	s_mov_b32 s2, exec_lo
	s_lshr_b32 s0, s0, 5
	ds_load_u16 v3, v3
	v_cmp_ne_u32_e32 vcc_lo, 7, v7
	v_add_nc_u32_e32 v11, 1, v7
	v_add_co_ci_u32_e64 v9, null, 0, v2, vcc_lo
	s_delay_alu instid0(VALU_DEP_1)
	v_lshlrev_b32_e32 v10, 2, v9
	s_wait_dscnt 0x0
	v_and_b32_e32 v9, 0xffff, v3
	ds_bpermute_b32 v10, v10, v9
	v_cmpx_gt_u32_e64 s0, v11
	s_cbranch_execz .LBB77_349
; %bb.344:
	s_mov_b32 s3, exec_lo
	v_cmpx_o_f16_e32 v3, v3
	s_cbranch_execz .LBB77_348
; %bb.345:
	s_mov_b32 s4, exec_lo
	s_wait_dscnt 0x0
	v_cmpx_o_f16_e32 v10, v10
; %bb.346:
	v_cmp_lt_f16_e32 vcc_lo, v3, v10
	v_cndmask_b32_e32 v10, v3, v10, vcc_lo
; %bb.347:
	s_or_b32 exec_lo, exec_lo, s4
	s_delay_alu instid0(VALU_DEP_1)
	v_mov_b32_e32 v3, v10
.LBB77_348:
	s_or_b32 exec_lo, exec_lo, s3
	s_delay_alu instid0(VALU_DEP_1)
	v_and_b32_e32 v9, 0xffff, v3
.LBB77_349:
	s_or_b32 exec_lo, exec_lo, s2
	v_cmp_gt_u32_e32 vcc_lo, 6, v7
	v_add_nc_u32_e32 v11, 2, v7
	s_mov_b32 s2, exec_lo
	s_wait_dscnt 0x0
	v_cndmask_b32_e64 v10, 0, 2, vcc_lo
	s_delay_alu instid0(VALU_DEP_1)
	v_add_lshl_u32 v10, v10, v2, 2
	ds_bpermute_b32 v10, v10, v9
	v_cmpx_gt_u32_e64 s0, v11
	s_cbranch_execz .LBB77_355
; %bb.350:
	s_mov_b32 s3, exec_lo
	v_cmpx_o_f16_e32 v3, v3
	s_cbranch_execz .LBB77_354
; %bb.351:
	s_mov_b32 s4, exec_lo
	s_wait_dscnt 0x0
	v_cmpx_o_f16_e32 v10, v10
; %bb.352:
	v_cmp_lt_f16_e32 vcc_lo, v3, v10
	v_cndmask_b32_e32 v10, v3, v10, vcc_lo
; %bb.353:
	s_or_b32 exec_lo, exec_lo, s4
	s_delay_alu instid0(VALU_DEP_1)
	v_mov_b32_e32 v3, v10
.LBB77_354:
	s_or_b32 exec_lo, exec_lo, s3
	s_delay_alu instid0(VALU_DEP_1)
	v_and_b32_e32 v9, 0xffff, v3
.LBB77_355:
	s_or_b32 exec_lo, exec_lo, s2
	v_dual_add_nc_u32 v7, 4, v7 :: v_dual_bitop2_b32 v8, 16, v8 bitop3:0x54
	ds_bpermute_b32 v8, v8, v9
	v_cmp_gt_u32_e32 vcc_lo, s0, v7
	s_and_saveexec_b32 s0, vcc_lo
	s_cbranch_execz .LBB77_361
; %bb.356:
	s_mov_b32 s2, exec_lo
	v_cmpx_o_f16_e32 v3, v3
	s_cbranch_execz .LBB77_360
; %bb.357:
	s_mov_b32 s3, exec_lo
	s_wait_dscnt 0x0
	v_cmpx_o_f16_e32 v8, v8
; %bb.358:
	v_cmp_lt_f16_e32 vcc_lo, v3, v8
	v_cndmask_b32_e32 v8, v3, v8, vcc_lo
; %bb.359:
	s_or_b32 exec_lo, exec_lo, s3
	s_delay_alu instid0(VALU_DEP_1)
	v_mov_b32_e32 v3, v8
.LBB77_360:
	s_or_b32 exec_lo, exec_lo, s2
.LBB77_361:
	s_delay_alu instid0(SALU_CYCLE_1)
	s_or_b32 exec_lo, exec_lo, s0
.LBB77_362:
	s_delay_alu instid0(SALU_CYCLE_1)
	s_or_b32 exec_lo, exec_lo, s1
	s_mov_b32 s1, 0
.LBB77_363:
	s_delay_alu instid0(SALU_CYCLE_1)
	s_and_b32 vcc_lo, exec_lo, s1
	s_cbranch_vccz .LBB77_401
; %bb.364:
	v_mov_b32_dpp v3, v6 quad_perm:[1,0,3,2] row_mask:0xf bank_mask:0xf
	s_mov_b32 s0, exec_lo
	s_delay_alu instid0(VALU_DEP_1)
	v_cmpx_o_f16_e32 v3, v3
	s_cbranch_execz .LBB77_368
; %bb.365:
	s_mov_b32 s1, exec_lo
	v_cmpx_o_f16_e32 v5, v5
; %bb.366:
	v_cmp_gt_f16_e32 vcc_lo, v5, v3
	v_cndmask_b32_e32 v5, v3, v5, vcc_lo
; %bb.367:
	s_or_b32 exec_lo, exec_lo, s1
	s_delay_alu instid0(VALU_DEP_1)
	v_mov_b32_e32 v3, v5
.LBB77_368:
	s_or_b32 exec_lo, exec_lo, s0
	s_delay_alu instid0(VALU_DEP_1) | instskip(SKIP_1) | instid1(VALU_DEP_1)
	v_and_b32_e32 v5, 0xffff, v3
	s_mov_b32 s0, exec_lo
	v_mov_b32_dpp v5, v5 quad_perm:[2,3,0,1] row_mask:0xf bank_mask:0xf
	s_delay_alu instid0(VALU_DEP_1)
	v_cmpx_o_f16_e32 v5, v5
	s_cbranch_execz .LBB77_372
; %bb.369:
	s_mov_b32 s1, exec_lo
	v_cmpx_o_f16_e32 v3, v3
; %bb.370:
	v_cmp_gt_f16_e32 vcc_lo, v3, v5
	v_cndmask_b32_e32 v3, v5, v3, vcc_lo
; %bb.371:
	s_or_b32 exec_lo, exec_lo, s1
	s_delay_alu instid0(VALU_DEP_1)
	v_mov_b32_e32 v5, v3
.LBB77_372:
	s_or_b32 exec_lo, exec_lo, s0
	s_delay_alu instid0(VALU_DEP_1) | instskip(SKIP_1) | instid1(VALU_DEP_1)
	v_and_b32_e32 v3, 0xffff, v5
	s_mov_b32 s0, exec_lo
	v_mov_b32_dpp v3, v3 row_ror:4 row_mask:0xf bank_mask:0xf
	s_delay_alu instid0(VALU_DEP_1)
	v_cmpx_o_f16_e32 v3, v3
	s_cbranch_execz .LBB77_376
; %bb.373:
	s_mov_b32 s1, exec_lo
	v_cmpx_o_f16_e32 v5, v5
; %bb.374:
	v_cmp_gt_f16_e32 vcc_lo, v5, v3
	v_cndmask_b32_e32 v5, v3, v5, vcc_lo
; %bb.375:
	s_or_b32 exec_lo, exec_lo, s1
	s_delay_alu instid0(VALU_DEP_1)
	v_mov_b32_e32 v3, v5
.LBB77_376:
	s_or_b32 exec_lo, exec_lo, s0
	s_delay_alu instid0(VALU_DEP_1) | instskip(SKIP_1) | instid1(VALU_DEP_1)
	v_and_b32_e32 v5, 0xffff, v3
	s_mov_b32 s0, exec_lo
	v_mov_b32_dpp v5, v5 row_ror:8 row_mask:0xf bank_mask:0xf
	s_delay_alu instid0(VALU_DEP_1)
	v_cmpx_o_f16_e32 v5, v5
	s_cbranch_execz .LBB77_380
; %bb.377:
	s_mov_b32 s1, exec_lo
	v_cmpx_o_f16_e32 v3, v3
; %bb.378:
	v_cmp_gt_f16_e32 vcc_lo, v3, v5
	v_cndmask_b32_e32 v3, v5, v3, vcc_lo
; %bb.379:
	s_or_b32 exec_lo, exec_lo, s1
	s_delay_alu instid0(VALU_DEP_1)
	v_mov_b32_e32 v5, v3
.LBB77_380:
	s_or_b32 exec_lo, exec_lo, s0
	s_delay_alu instid0(VALU_DEP_1)
	v_and_b32_e32 v3, 0xffff, v5
	s_mov_b32 s0, exec_lo
	ds_swizzle_b32 v3, v3 offset:swizzle(BROADCAST,32,15)
	s_wait_dscnt 0x0
	v_cmpx_o_f16_e32 v3, v3
	s_cbranch_execz .LBB77_384
; %bb.381:
	s_mov_b32 s1, exec_lo
	v_cmpx_o_f16_e32 v5, v5
; %bb.382:
	v_cmp_gt_f16_e32 vcc_lo, v5, v3
	v_cndmask_b32_e32 v5, v3, v5, vcc_lo
; %bb.383:
	s_or_b32 exec_lo, exec_lo, s1
	s_delay_alu instid0(VALU_DEP_1)
	v_mov_b32_e32 v3, v5
.LBB77_384:
	s_or_b32 exec_lo, exec_lo, s0
	s_delay_alu instid0(VALU_DEP_1)
	v_and_b32_e32 v3, 0xffff, v3
	v_mov_b32_e32 v5, 0
	s_mov_b32 s0, exec_lo
	ds_bpermute_b32 v3, v5, v3 offset:124
	v_cmpx_eq_u32_e32 0, v2
	s_cbranch_execz .LBB77_386
; %bb.385:
	v_lshlrev_b32_e32 v4, 1, v4
	s_wait_dscnt 0x0
	ds_store_b16 v4, v3
.LBB77_386:
	s_or_b32 exec_lo, exec_lo, s0
	s_delay_alu instid0(SALU_CYCLE_1)
	s_mov_b32 s0, exec_lo
	s_wait_dscnt 0x0
	s_barrier_signal -1
	s_barrier_wait -1
	v_cmpx_gt_u32_e32 32, v0
	s_cbranch_execz .LBB77_400
; %bb.387:
	v_and_b32_e32 v4, 7, v2
	s_mov_b32 s1, exec_lo
	s_delay_alu instid0(VALU_DEP_1) | instskip(SKIP_1) | instid1(VALU_DEP_1)
	v_cmp_ne_u32_e32 vcc_lo, 7, v4
	v_add_co_ci_u32_e64 v5, null, 0, v2, vcc_lo
	v_dual_lshlrev_b32 v5, 2, v5 :: v_dual_lshlrev_b32 v3, 1, v4
	ds_load_u16 v3, v3
	s_wait_dscnt 0x0
	v_and_b32_e32 v6, 0xffff, v3
	ds_bpermute_b32 v5, v5, v6
	v_cmpx_o_f16_e32 v3, v3
	s_cbranch_execz .LBB77_391
; %bb.388:
	s_mov_b32 s2, exec_lo
	s_wait_dscnt 0x0
	v_cmpx_o_f16_e32 v5, v5
; %bb.389:
	v_cmp_lt_f16_e32 vcc_lo, v3, v5
	v_cndmask_b32_e32 v5, v3, v5, vcc_lo
; %bb.390:
	s_or_b32 exec_lo, exec_lo, s2
	s_delay_alu instid0(VALU_DEP_1)
	v_mov_b32_e32 v3, v5
.LBB77_391:
	s_or_b32 exec_lo, exec_lo, s1
	v_cmp_gt_u32_e32 vcc_lo, 6, v4
	s_wait_dscnt 0x0
	s_delay_alu instid0(VALU_DEP_2) | instskip(SKIP_2) | instid1(VALU_DEP_1)
	v_and_b32_e32 v5, 0xffff, v3
	s_mov_b32 s1, exec_lo
	v_cndmask_b32_e64 v4, 0, 2, vcc_lo
	v_add_lshl_u32 v4, v4, v2, 2
	v_lshlrev_b32_e32 v2, 2, v2
	ds_bpermute_b32 v4, v4, v5
	v_cmpx_o_f16_e32 v3, v3
	s_cbranch_execz .LBB77_395
; %bb.392:
	s_mov_b32 s2, exec_lo
	s_wait_dscnt 0x0
	v_cmpx_o_f16_e32 v4, v4
; %bb.393:
	v_cmp_lt_f16_e32 vcc_lo, v3, v4
	v_cndmask_b32_e32 v4, v3, v4, vcc_lo
; %bb.394:
	s_or_b32 exec_lo, exec_lo, s2
	s_delay_alu instid0(VALU_DEP_1)
	v_mov_b32_e32 v3, v4
.LBB77_395:
	s_or_b32 exec_lo, exec_lo, s1
	v_or_b32_e32 v2, 16, v2
	s_wait_dscnt 0x0
	s_delay_alu instid0(VALU_DEP_2)
	v_and_b32_e32 v4, 0xffff, v3
	s_mov_b32 s1, exec_lo
	ds_bpermute_b32 v2, v2, v4
	v_cmpx_o_f16_e32 v3, v3
	s_cbranch_execz .LBB77_399
; %bb.396:
	s_mov_b32 s2, exec_lo
	s_wait_dscnt 0x0
	v_cmpx_o_f16_e32 v2, v2
; %bb.397:
	v_cmp_lt_f16_e32 vcc_lo, v3, v2
	v_cndmask_b32_e32 v2, v3, v2, vcc_lo
; %bb.398:
	s_or_b32 exec_lo, exec_lo, s2
	s_delay_alu instid0(VALU_DEP_1)
	v_mov_b32_e32 v3, v2
.LBB77_399:
	s_or_b32 exec_lo, exec_lo, s1
.LBB77_400:
	s_delay_alu instid0(SALU_CYCLE_1)
	s_or_b32 exec_lo, exec_lo, s0
.LBB77_401:
	s_delay_alu instid0(SALU_CYCLE_1)
	s_mov_b32 s0, exec_lo
	v_cmpx_eq_u32_e32 0, v0
	s_cbranch_execz .LBB77_407
; %bb.402:
	s_wait_loadcnt 0x0
	v_cmp_u_f16_e32 vcc_lo, v1, v1
	s_cbranch_vccnz .LBB77_406
; %bb.403:
	s_mov_b32 s1, exec_lo
	v_cmpx_o_f16_e32 v3, v3
; %bb.404:
	v_cmp_lt_f16_e32 vcc_lo, v1, v3
	v_cndmask_b32_e32 v3, v1, v3, vcc_lo
; %bb.405:
	s_or_b32 exec_lo, exec_lo, s1
	s_delay_alu instid0(VALU_DEP_1)
	v_mov_b32_e32 v1, v3
.LBB77_406:
	s_or_b32 s15, s15, exec_lo
.LBB77_407:
	s_or_b32 exec_lo, exec_lo, s0
	s_and_saveexec_b32 s0, s15
	s_cbranch_execz .LBB77_3
.LBB77_408:
	s_lshl_b64 s[0:1], s[20:21], 1
	v_mov_b32_e32 v0, 0
	s_add_nc_u64 s[0:1], s[18:19], s[0:1]
	s_lshl_b64 s[2:3], s[22:23], 1
	s_delay_alu instid0(SALU_CYCLE_1)
	s_add_nc_u64 s[0:1], s[0:1], s[2:3]
	s_wait_loadcnt 0x0
	global_store_b16 v0, v1, s[0:1]
	s_endpgm
	.section	.rodata,"a",@progbits
	.p2align	6, 0x0
	.amdhsa_kernel _ZN7rocprim17ROCPRIM_400000_NS6detail17trampoline_kernelINS0_14default_configENS1_32segmented_reduce_config_selectorIN3c104HalfEEEZNS1_21segmented_reduce_implIS3_PKS6_PS6_PKiS6_N6hipcub16HIPCUB_304000_NS6detail27convert_result_type_wrapperISA_SB_N2at6native12_GLOBAL__N_19CustomMaxEEEEE10hipError_tPvRmT0_T1_jT2_SS_T4_T3_P12ihipStream_tbEUlT_E_NS1_11comp_targetILNS1_3genE0ELNS1_11target_archE4294967295ELNS1_3gpuE0ELNS1_3repE0EEENS1_30default_config_static_selectorELNS0_4arch9wavefront6targetE0EEEvSR_
		.amdhsa_group_segment_fixed_size 16
		.amdhsa_private_segment_fixed_size 0
		.amdhsa_kernarg_size 48
		.amdhsa_user_sgpr_count 2
		.amdhsa_user_sgpr_dispatch_ptr 0
		.amdhsa_user_sgpr_queue_ptr 0
		.amdhsa_user_sgpr_kernarg_segment_ptr 1
		.amdhsa_user_sgpr_dispatch_id 0
		.amdhsa_user_sgpr_kernarg_preload_length 0
		.amdhsa_user_sgpr_kernarg_preload_offset 0
		.amdhsa_user_sgpr_private_segment_size 0
		.amdhsa_wavefront_size32 1
		.amdhsa_uses_dynamic_stack 0
		.amdhsa_enable_private_segment 0
		.amdhsa_system_sgpr_workgroup_id_x 1
		.amdhsa_system_sgpr_workgroup_id_y 0
		.amdhsa_system_sgpr_workgroup_id_z 0
		.amdhsa_system_sgpr_workgroup_info 0
		.amdhsa_system_vgpr_workitem_id 0
		.amdhsa_next_free_vgpr 24
		.amdhsa_next_free_sgpr 30
		.amdhsa_named_barrier_count 0
		.amdhsa_reserve_vcc 1
		.amdhsa_float_round_mode_32 0
		.amdhsa_float_round_mode_16_64 0
		.amdhsa_float_denorm_mode_32 3
		.amdhsa_float_denorm_mode_16_64 3
		.amdhsa_fp16_overflow 0
		.amdhsa_memory_ordered 1
		.amdhsa_forward_progress 1
		.amdhsa_inst_pref_size 60
		.amdhsa_round_robin_scheduling 0
		.amdhsa_exception_fp_ieee_invalid_op 0
		.amdhsa_exception_fp_denorm_src 0
		.amdhsa_exception_fp_ieee_div_zero 0
		.amdhsa_exception_fp_ieee_overflow 0
		.amdhsa_exception_fp_ieee_underflow 0
		.amdhsa_exception_fp_ieee_inexact 0
		.amdhsa_exception_int_div_zero 0
	.end_amdhsa_kernel
	.section	.text._ZN7rocprim17ROCPRIM_400000_NS6detail17trampoline_kernelINS0_14default_configENS1_32segmented_reduce_config_selectorIN3c104HalfEEEZNS1_21segmented_reduce_implIS3_PKS6_PS6_PKiS6_N6hipcub16HIPCUB_304000_NS6detail27convert_result_type_wrapperISA_SB_N2at6native12_GLOBAL__N_19CustomMaxEEEEE10hipError_tPvRmT0_T1_jT2_SS_T4_T3_P12ihipStream_tbEUlT_E_NS1_11comp_targetILNS1_3genE0ELNS1_11target_archE4294967295ELNS1_3gpuE0ELNS1_3repE0EEENS1_30default_config_static_selectorELNS0_4arch9wavefront6targetE0EEEvSR_,"axG",@progbits,_ZN7rocprim17ROCPRIM_400000_NS6detail17trampoline_kernelINS0_14default_configENS1_32segmented_reduce_config_selectorIN3c104HalfEEEZNS1_21segmented_reduce_implIS3_PKS6_PS6_PKiS6_N6hipcub16HIPCUB_304000_NS6detail27convert_result_type_wrapperISA_SB_N2at6native12_GLOBAL__N_19CustomMaxEEEEE10hipError_tPvRmT0_T1_jT2_SS_T4_T3_P12ihipStream_tbEUlT_E_NS1_11comp_targetILNS1_3genE0ELNS1_11target_archE4294967295ELNS1_3gpuE0ELNS1_3repE0EEENS1_30default_config_static_selectorELNS0_4arch9wavefront6targetE0EEEvSR_,comdat
.Lfunc_end77:
	.size	_ZN7rocprim17ROCPRIM_400000_NS6detail17trampoline_kernelINS0_14default_configENS1_32segmented_reduce_config_selectorIN3c104HalfEEEZNS1_21segmented_reduce_implIS3_PKS6_PS6_PKiS6_N6hipcub16HIPCUB_304000_NS6detail27convert_result_type_wrapperISA_SB_N2at6native12_GLOBAL__N_19CustomMaxEEEEE10hipError_tPvRmT0_T1_jT2_SS_T4_T3_P12ihipStream_tbEUlT_E_NS1_11comp_targetILNS1_3genE0ELNS1_11target_archE4294967295ELNS1_3gpuE0ELNS1_3repE0EEENS1_30default_config_static_selectorELNS0_4arch9wavefront6targetE0EEEvSR_, .Lfunc_end77-_ZN7rocprim17ROCPRIM_400000_NS6detail17trampoline_kernelINS0_14default_configENS1_32segmented_reduce_config_selectorIN3c104HalfEEEZNS1_21segmented_reduce_implIS3_PKS6_PS6_PKiS6_N6hipcub16HIPCUB_304000_NS6detail27convert_result_type_wrapperISA_SB_N2at6native12_GLOBAL__N_19CustomMaxEEEEE10hipError_tPvRmT0_T1_jT2_SS_T4_T3_P12ihipStream_tbEUlT_E_NS1_11comp_targetILNS1_3genE0ELNS1_11target_archE4294967295ELNS1_3gpuE0ELNS1_3repE0EEENS1_30default_config_static_selectorELNS0_4arch9wavefront6targetE0EEEvSR_
                                        ; -- End function
	.set _ZN7rocprim17ROCPRIM_400000_NS6detail17trampoline_kernelINS0_14default_configENS1_32segmented_reduce_config_selectorIN3c104HalfEEEZNS1_21segmented_reduce_implIS3_PKS6_PS6_PKiS6_N6hipcub16HIPCUB_304000_NS6detail27convert_result_type_wrapperISA_SB_N2at6native12_GLOBAL__N_19CustomMaxEEEEE10hipError_tPvRmT0_T1_jT2_SS_T4_T3_P12ihipStream_tbEUlT_E_NS1_11comp_targetILNS1_3genE0ELNS1_11target_archE4294967295ELNS1_3gpuE0ELNS1_3repE0EEENS1_30default_config_static_selectorELNS0_4arch9wavefront6targetE0EEEvSR_.num_vgpr, 24
	.set _ZN7rocprim17ROCPRIM_400000_NS6detail17trampoline_kernelINS0_14default_configENS1_32segmented_reduce_config_selectorIN3c104HalfEEEZNS1_21segmented_reduce_implIS3_PKS6_PS6_PKiS6_N6hipcub16HIPCUB_304000_NS6detail27convert_result_type_wrapperISA_SB_N2at6native12_GLOBAL__N_19CustomMaxEEEEE10hipError_tPvRmT0_T1_jT2_SS_T4_T3_P12ihipStream_tbEUlT_E_NS1_11comp_targetILNS1_3genE0ELNS1_11target_archE4294967295ELNS1_3gpuE0ELNS1_3repE0EEENS1_30default_config_static_selectorELNS0_4arch9wavefront6targetE0EEEvSR_.num_agpr, 0
	.set _ZN7rocprim17ROCPRIM_400000_NS6detail17trampoline_kernelINS0_14default_configENS1_32segmented_reduce_config_selectorIN3c104HalfEEEZNS1_21segmented_reduce_implIS3_PKS6_PS6_PKiS6_N6hipcub16HIPCUB_304000_NS6detail27convert_result_type_wrapperISA_SB_N2at6native12_GLOBAL__N_19CustomMaxEEEEE10hipError_tPvRmT0_T1_jT2_SS_T4_T3_P12ihipStream_tbEUlT_E_NS1_11comp_targetILNS1_3genE0ELNS1_11target_archE4294967295ELNS1_3gpuE0ELNS1_3repE0EEENS1_30default_config_static_selectorELNS0_4arch9wavefront6targetE0EEEvSR_.numbered_sgpr, 30
	.set _ZN7rocprim17ROCPRIM_400000_NS6detail17trampoline_kernelINS0_14default_configENS1_32segmented_reduce_config_selectorIN3c104HalfEEEZNS1_21segmented_reduce_implIS3_PKS6_PS6_PKiS6_N6hipcub16HIPCUB_304000_NS6detail27convert_result_type_wrapperISA_SB_N2at6native12_GLOBAL__N_19CustomMaxEEEEE10hipError_tPvRmT0_T1_jT2_SS_T4_T3_P12ihipStream_tbEUlT_E_NS1_11comp_targetILNS1_3genE0ELNS1_11target_archE4294967295ELNS1_3gpuE0ELNS1_3repE0EEENS1_30default_config_static_selectorELNS0_4arch9wavefront6targetE0EEEvSR_.num_named_barrier, 0
	.set _ZN7rocprim17ROCPRIM_400000_NS6detail17trampoline_kernelINS0_14default_configENS1_32segmented_reduce_config_selectorIN3c104HalfEEEZNS1_21segmented_reduce_implIS3_PKS6_PS6_PKiS6_N6hipcub16HIPCUB_304000_NS6detail27convert_result_type_wrapperISA_SB_N2at6native12_GLOBAL__N_19CustomMaxEEEEE10hipError_tPvRmT0_T1_jT2_SS_T4_T3_P12ihipStream_tbEUlT_E_NS1_11comp_targetILNS1_3genE0ELNS1_11target_archE4294967295ELNS1_3gpuE0ELNS1_3repE0EEENS1_30default_config_static_selectorELNS0_4arch9wavefront6targetE0EEEvSR_.private_seg_size, 0
	.set _ZN7rocprim17ROCPRIM_400000_NS6detail17trampoline_kernelINS0_14default_configENS1_32segmented_reduce_config_selectorIN3c104HalfEEEZNS1_21segmented_reduce_implIS3_PKS6_PS6_PKiS6_N6hipcub16HIPCUB_304000_NS6detail27convert_result_type_wrapperISA_SB_N2at6native12_GLOBAL__N_19CustomMaxEEEEE10hipError_tPvRmT0_T1_jT2_SS_T4_T3_P12ihipStream_tbEUlT_E_NS1_11comp_targetILNS1_3genE0ELNS1_11target_archE4294967295ELNS1_3gpuE0ELNS1_3repE0EEENS1_30default_config_static_selectorELNS0_4arch9wavefront6targetE0EEEvSR_.uses_vcc, 1
	.set _ZN7rocprim17ROCPRIM_400000_NS6detail17trampoline_kernelINS0_14default_configENS1_32segmented_reduce_config_selectorIN3c104HalfEEEZNS1_21segmented_reduce_implIS3_PKS6_PS6_PKiS6_N6hipcub16HIPCUB_304000_NS6detail27convert_result_type_wrapperISA_SB_N2at6native12_GLOBAL__N_19CustomMaxEEEEE10hipError_tPvRmT0_T1_jT2_SS_T4_T3_P12ihipStream_tbEUlT_E_NS1_11comp_targetILNS1_3genE0ELNS1_11target_archE4294967295ELNS1_3gpuE0ELNS1_3repE0EEENS1_30default_config_static_selectorELNS0_4arch9wavefront6targetE0EEEvSR_.uses_flat_scratch, 0
	.set _ZN7rocprim17ROCPRIM_400000_NS6detail17trampoline_kernelINS0_14default_configENS1_32segmented_reduce_config_selectorIN3c104HalfEEEZNS1_21segmented_reduce_implIS3_PKS6_PS6_PKiS6_N6hipcub16HIPCUB_304000_NS6detail27convert_result_type_wrapperISA_SB_N2at6native12_GLOBAL__N_19CustomMaxEEEEE10hipError_tPvRmT0_T1_jT2_SS_T4_T3_P12ihipStream_tbEUlT_E_NS1_11comp_targetILNS1_3genE0ELNS1_11target_archE4294967295ELNS1_3gpuE0ELNS1_3repE0EEENS1_30default_config_static_selectorELNS0_4arch9wavefront6targetE0EEEvSR_.has_dyn_sized_stack, 0
	.set _ZN7rocprim17ROCPRIM_400000_NS6detail17trampoline_kernelINS0_14default_configENS1_32segmented_reduce_config_selectorIN3c104HalfEEEZNS1_21segmented_reduce_implIS3_PKS6_PS6_PKiS6_N6hipcub16HIPCUB_304000_NS6detail27convert_result_type_wrapperISA_SB_N2at6native12_GLOBAL__N_19CustomMaxEEEEE10hipError_tPvRmT0_T1_jT2_SS_T4_T3_P12ihipStream_tbEUlT_E_NS1_11comp_targetILNS1_3genE0ELNS1_11target_archE4294967295ELNS1_3gpuE0ELNS1_3repE0EEENS1_30default_config_static_selectorELNS0_4arch9wavefront6targetE0EEEvSR_.has_recursion, 0
	.set _ZN7rocprim17ROCPRIM_400000_NS6detail17trampoline_kernelINS0_14default_configENS1_32segmented_reduce_config_selectorIN3c104HalfEEEZNS1_21segmented_reduce_implIS3_PKS6_PS6_PKiS6_N6hipcub16HIPCUB_304000_NS6detail27convert_result_type_wrapperISA_SB_N2at6native12_GLOBAL__N_19CustomMaxEEEEE10hipError_tPvRmT0_T1_jT2_SS_T4_T3_P12ihipStream_tbEUlT_E_NS1_11comp_targetILNS1_3genE0ELNS1_11target_archE4294967295ELNS1_3gpuE0ELNS1_3repE0EEENS1_30default_config_static_selectorELNS0_4arch9wavefront6targetE0EEEvSR_.has_indirect_call, 0
	.section	.AMDGPU.csdata,"",@progbits
; Kernel info:
; codeLenInByte = 7612
; TotalNumSgprs: 32
; NumVgprs: 24
; ScratchSize: 0
; MemoryBound: 0
; FloatMode: 240
; IeeeMode: 1
; LDSByteSize: 16 bytes/workgroup (compile time only)
; SGPRBlocks: 0
; VGPRBlocks: 1
; NumSGPRsForWavesPerEU: 32
; NumVGPRsForWavesPerEU: 24
; NamedBarCnt: 0
; Occupancy: 16
; WaveLimiterHint : 1
; COMPUTE_PGM_RSRC2:SCRATCH_EN: 0
; COMPUTE_PGM_RSRC2:USER_SGPR: 2
; COMPUTE_PGM_RSRC2:TRAP_HANDLER: 0
; COMPUTE_PGM_RSRC2:TGID_X_EN: 1
; COMPUTE_PGM_RSRC2:TGID_Y_EN: 0
; COMPUTE_PGM_RSRC2:TGID_Z_EN: 0
; COMPUTE_PGM_RSRC2:TIDIG_COMP_CNT: 0
	.section	.text._ZN7rocprim17ROCPRIM_400000_NS6detail17trampoline_kernelINS0_14default_configENS1_32segmented_reduce_config_selectorIN3c104HalfEEEZNS1_21segmented_reduce_implIS3_PKS6_PS6_PKiS6_N6hipcub16HIPCUB_304000_NS6detail27convert_result_type_wrapperISA_SB_N2at6native12_GLOBAL__N_19CustomMaxEEEEE10hipError_tPvRmT0_T1_jT2_SS_T4_T3_P12ihipStream_tbEUlT_E_NS1_11comp_targetILNS1_3genE5ELNS1_11target_archE942ELNS1_3gpuE9ELNS1_3repE0EEENS1_30default_config_static_selectorELNS0_4arch9wavefront6targetE0EEEvSR_,"axG",@progbits,_ZN7rocprim17ROCPRIM_400000_NS6detail17trampoline_kernelINS0_14default_configENS1_32segmented_reduce_config_selectorIN3c104HalfEEEZNS1_21segmented_reduce_implIS3_PKS6_PS6_PKiS6_N6hipcub16HIPCUB_304000_NS6detail27convert_result_type_wrapperISA_SB_N2at6native12_GLOBAL__N_19CustomMaxEEEEE10hipError_tPvRmT0_T1_jT2_SS_T4_T3_P12ihipStream_tbEUlT_E_NS1_11comp_targetILNS1_3genE5ELNS1_11target_archE942ELNS1_3gpuE9ELNS1_3repE0EEENS1_30default_config_static_selectorELNS0_4arch9wavefront6targetE0EEEvSR_,comdat
	.globl	_ZN7rocprim17ROCPRIM_400000_NS6detail17trampoline_kernelINS0_14default_configENS1_32segmented_reduce_config_selectorIN3c104HalfEEEZNS1_21segmented_reduce_implIS3_PKS6_PS6_PKiS6_N6hipcub16HIPCUB_304000_NS6detail27convert_result_type_wrapperISA_SB_N2at6native12_GLOBAL__N_19CustomMaxEEEEE10hipError_tPvRmT0_T1_jT2_SS_T4_T3_P12ihipStream_tbEUlT_E_NS1_11comp_targetILNS1_3genE5ELNS1_11target_archE942ELNS1_3gpuE9ELNS1_3repE0EEENS1_30default_config_static_selectorELNS0_4arch9wavefront6targetE0EEEvSR_ ; -- Begin function _ZN7rocprim17ROCPRIM_400000_NS6detail17trampoline_kernelINS0_14default_configENS1_32segmented_reduce_config_selectorIN3c104HalfEEEZNS1_21segmented_reduce_implIS3_PKS6_PS6_PKiS6_N6hipcub16HIPCUB_304000_NS6detail27convert_result_type_wrapperISA_SB_N2at6native12_GLOBAL__N_19CustomMaxEEEEE10hipError_tPvRmT0_T1_jT2_SS_T4_T3_P12ihipStream_tbEUlT_E_NS1_11comp_targetILNS1_3genE5ELNS1_11target_archE942ELNS1_3gpuE9ELNS1_3repE0EEENS1_30default_config_static_selectorELNS0_4arch9wavefront6targetE0EEEvSR_
	.p2align	8
	.type	_ZN7rocprim17ROCPRIM_400000_NS6detail17trampoline_kernelINS0_14default_configENS1_32segmented_reduce_config_selectorIN3c104HalfEEEZNS1_21segmented_reduce_implIS3_PKS6_PS6_PKiS6_N6hipcub16HIPCUB_304000_NS6detail27convert_result_type_wrapperISA_SB_N2at6native12_GLOBAL__N_19CustomMaxEEEEE10hipError_tPvRmT0_T1_jT2_SS_T4_T3_P12ihipStream_tbEUlT_E_NS1_11comp_targetILNS1_3genE5ELNS1_11target_archE942ELNS1_3gpuE9ELNS1_3repE0EEENS1_30default_config_static_selectorELNS0_4arch9wavefront6targetE0EEEvSR_,@function
_ZN7rocprim17ROCPRIM_400000_NS6detail17trampoline_kernelINS0_14default_configENS1_32segmented_reduce_config_selectorIN3c104HalfEEEZNS1_21segmented_reduce_implIS3_PKS6_PS6_PKiS6_N6hipcub16HIPCUB_304000_NS6detail27convert_result_type_wrapperISA_SB_N2at6native12_GLOBAL__N_19CustomMaxEEEEE10hipError_tPvRmT0_T1_jT2_SS_T4_T3_P12ihipStream_tbEUlT_E_NS1_11comp_targetILNS1_3genE5ELNS1_11target_archE942ELNS1_3gpuE9ELNS1_3repE0EEENS1_30default_config_static_selectorELNS0_4arch9wavefront6targetE0EEEvSR_: ; @_ZN7rocprim17ROCPRIM_400000_NS6detail17trampoline_kernelINS0_14default_configENS1_32segmented_reduce_config_selectorIN3c104HalfEEEZNS1_21segmented_reduce_implIS3_PKS6_PS6_PKiS6_N6hipcub16HIPCUB_304000_NS6detail27convert_result_type_wrapperISA_SB_N2at6native12_GLOBAL__N_19CustomMaxEEEEE10hipError_tPvRmT0_T1_jT2_SS_T4_T3_P12ihipStream_tbEUlT_E_NS1_11comp_targetILNS1_3genE5ELNS1_11target_archE942ELNS1_3gpuE9ELNS1_3repE0EEENS1_30default_config_static_selectorELNS0_4arch9wavefront6targetE0EEEvSR_
; %bb.0:
	.section	.rodata,"a",@progbits
	.p2align	6, 0x0
	.amdhsa_kernel _ZN7rocprim17ROCPRIM_400000_NS6detail17trampoline_kernelINS0_14default_configENS1_32segmented_reduce_config_selectorIN3c104HalfEEEZNS1_21segmented_reduce_implIS3_PKS6_PS6_PKiS6_N6hipcub16HIPCUB_304000_NS6detail27convert_result_type_wrapperISA_SB_N2at6native12_GLOBAL__N_19CustomMaxEEEEE10hipError_tPvRmT0_T1_jT2_SS_T4_T3_P12ihipStream_tbEUlT_E_NS1_11comp_targetILNS1_3genE5ELNS1_11target_archE942ELNS1_3gpuE9ELNS1_3repE0EEENS1_30default_config_static_selectorELNS0_4arch9wavefront6targetE0EEEvSR_
		.amdhsa_group_segment_fixed_size 0
		.amdhsa_private_segment_fixed_size 0
		.amdhsa_kernarg_size 48
		.amdhsa_user_sgpr_count 2
		.amdhsa_user_sgpr_dispatch_ptr 0
		.amdhsa_user_sgpr_queue_ptr 0
		.amdhsa_user_sgpr_kernarg_segment_ptr 1
		.amdhsa_user_sgpr_dispatch_id 0
		.amdhsa_user_sgpr_kernarg_preload_length 0
		.amdhsa_user_sgpr_kernarg_preload_offset 0
		.amdhsa_user_sgpr_private_segment_size 0
		.amdhsa_wavefront_size32 1
		.amdhsa_uses_dynamic_stack 0
		.amdhsa_enable_private_segment 0
		.amdhsa_system_sgpr_workgroup_id_x 1
		.amdhsa_system_sgpr_workgroup_id_y 0
		.amdhsa_system_sgpr_workgroup_id_z 0
		.amdhsa_system_sgpr_workgroup_info 0
		.amdhsa_system_vgpr_workitem_id 0
		.amdhsa_next_free_vgpr 1
		.amdhsa_next_free_sgpr 1
		.amdhsa_named_barrier_count 0
		.amdhsa_reserve_vcc 0
		.amdhsa_float_round_mode_32 0
		.amdhsa_float_round_mode_16_64 0
		.amdhsa_float_denorm_mode_32 3
		.amdhsa_float_denorm_mode_16_64 3
		.amdhsa_fp16_overflow 0
		.amdhsa_memory_ordered 1
		.amdhsa_forward_progress 1
		.amdhsa_inst_pref_size 0
		.amdhsa_round_robin_scheduling 0
		.amdhsa_exception_fp_ieee_invalid_op 0
		.amdhsa_exception_fp_denorm_src 0
		.amdhsa_exception_fp_ieee_div_zero 0
		.amdhsa_exception_fp_ieee_overflow 0
		.amdhsa_exception_fp_ieee_underflow 0
		.amdhsa_exception_fp_ieee_inexact 0
		.amdhsa_exception_int_div_zero 0
	.end_amdhsa_kernel
	.section	.text._ZN7rocprim17ROCPRIM_400000_NS6detail17trampoline_kernelINS0_14default_configENS1_32segmented_reduce_config_selectorIN3c104HalfEEEZNS1_21segmented_reduce_implIS3_PKS6_PS6_PKiS6_N6hipcub16HIPCUB_304000_NS6detail27convert_result_type_wrapperISA_SB_N2at6native12_GLOBAL__N_19CustomMaxEEEEE10hipError_tPvRmT0_T1_jT2_SS_T4_T3_P12ihipStream_tbEUlT_E_NS1_11comp_targetILNS1_3genE5ELNS1_11target_archE942ELNS1_3gpuE9ELNS1_3repE0EEENS1_30default_config_static_selectorELNS0_4arch9wavefront6targetE0EEEvSR_,"axG",@progbits,_ZN7rocprim17ROCPRIM_400000_NS6detail17trampoline_kernelINS0_14default_configENS1_32segmented_reduce_config_selectorIN3c104HalfEEEZNS1_21segmented_reduce_implIS3_PKS6_PS6_PKiS6_N6hipcub16HIPCUB_304000_NS6detail27convert_result_type_wrapperISA_SB_N2at6native12_GLOBAL__N_19CustomMaxEEEEE10hipError_tPvRmT0_T1_jT2_SS_T4_T3_P12ihipStream_tbEUlT_E_NS1_11comp_targetILNS1_3genE5ELNS1_11target_archE942ELNS1_3gpuE9ELNS1_3repE0EEENS1_30default_config_static_selectorELNS0_4arch9wavefront6targetE0EEEvSR_,comdat
.Lfunc_end78:
	.size	_ZN7rocprim17ROCPRIM_400000_NS6detail17trampoline_kernelINS0_14default_configENS1_32segmented_reduce_config_selectorIN3c104HalfEEEZNS1_21segmented_reduce_implIS3_PKS6_PS6_PKiS6_N6hipcub16HIPCUB_304000_NS6detail27convert_result_type_wrapperISA_SB_N2at6native12_GLOBAL__N_19CustomMaxEEEEE10hipError_tPvRmT0_T1_jT2_SS_T4_T3_P12ihipStream_tbEUlT_E_NS1_11comp_targetILNS1_3genE5ELNS1_11target_archE942ELNS1_3gpuE9ELNS1_3repE0EEENS1_30default_config_static_selectorELNS0_4arch9wavefront6targetE0EEEvSR_, .Lfunc_end78-_ZN7rocprim17ROCPRIM_400000_NS6detail17trampoline_kernelINS0_14default_configENS1_32segmented_reduce_config_selectorIN3c104HalfEEEZNS1_21segmented_reduce_implIS3_PKS6_PS6_PKiS6_N6hipcub16HIPCUB_304000_NS6detail27convert_result_type_wrapperISA_SB_N2at6native12_GLOBAL__N_19CustomMaxEEEEE10hipError_tPvRmT0_T1_jT2_SS_T4_T3_P12ihipStream_tbEUlT_E_NS1_11comp_targetILNS1_3genE5ELNS1_11target_archE942ELNS1_3gpuE9ELNS1_3repE0EEENS1_30default_config_static_selectorELNS0_4arch9wavefront6targetE0EEEvSR_
                                        ; -- End function
	.set _ZN7rocprim17ROCPRIM_400000_NS6detail17trampoline_kernelINS0_14default_configENS1_32segmented_reduce_config_selectorIN3c104HalfEEEZNS1_21segmented_reduce_implIS3_PKS6_PS6_PKiS6_N6hipcub16HIPCUB_304000_NS6detail27convert_result_type_wrapperISA_SB_N2at6native12_GLOBAL__N_19CustomMaxEEEEE10hipError_tPvRmT0_T1_jT2_SS_T4_T3_P12ihipStream_tbEUlT_E_NS1_11comp_targetILNS1_3genE5ELNS1_11target_archE942ELNS1_3gpuE9ELNS1_3repE0EEENS1_30default_config_static_selectorELNS0_4arch9wavefront6targetE0EEEvSR_.num_vgpr, 0
	.set _ZN7rocprim17ROCPRIM_400000_NS6detail17trampoline_kernelINS0_14default_configENS1_32segmented_reduce_config_selectorIN3c104HalfEEEZNS1_21segmented_reduce_implIS3_PKS6_PS6_PKiS6_N6hipcub16HIPCUB_304000_NS6detail27convert_result_type_wrapperISA_SB_N2at6native12_GLOBAL__N_19CustomMaxEEEEE10hipError_tPvRmT0_T1_jT2_SS_T4_T3_P12ihipStream_tbEUlT_E_NS1_11comp_targetILNS1_3genE5ELNS1_11target_archE942ELNS1_3gpuE9ELNS1_3repE0EEENS1_30default_config_static_selectorELNS0_4arch9wavefront6targetE0EEEvSR_.num_agpr, 0
	.set _ZN7rocprim17ROCPRIM_400000_NS6detail17trampoline_kernelINS0_14default_configENS1_32segmented_reduce_config_selectorIN3c104HalfEEEZNS1_21segmented_reduce_implIS3_PKS6_PS6_PKiS6_N6hipcub16HIPCUB_304000_NS6detail27convert_result_type_wrapperISA_SB_N2at6native12_GLOBAL__N_19CustomMaxEEEEE10hipError_tPvRmT0_T1_jT2_SS_T4_T3_P12ihipStream_tbEUlT_E_NS1_11comp_targetILNS1_3genE5ELNS1_11target_archE942ELNS1_3gpuE9ELNS1_3repE0EEENS1_30default_config_static_selectorELNS0_4arch9wavefront6targetE0EEEvSR_.numbered_sgpr, 0
	.set _ZN7rocprim17ROCPRIM_400000_NS6detail17trampoline_kernelINS0_14default_configENS1_32segmented_reduce_config_selectorIN3c104HalfEEEZNS1_21segmented_reduce_implIS3_PKS6_PS6_PKiS6_N6hipcub16HIPCUB_304000_NS6detail27convert_result_type_wrapperISA_SB_N2at6native12_GLOBAL__N_19CustomMaxEEEEE10hipError_tPvRmT0_T1_jT2_SS_T4_T3_P12ihipStream_tbEUlT_E_NS1_11comp_targetILNS1_3genE5ELNS1_11target_archE942ELNS1_3gpuE9ELNS1_3repE0EEENS1_30default_config_static_selectorELNS0_4arch9wavefront6targetE0EEEvSR_.num_named_barrier, 0
	.set _ZN7rocprim17ROCPRIM_400000_NS6detail17trampoline_kernelINS0_14default_configENS1_32segmented_reduce_config_selectorIN3c104HalfEEEZNS1_21segmented_reduce_implIS3_PKS6_PS6_PKiS6_N6hipcub16HIPCUB_304000_NS6detail27convert_result_type_wrapperISA_SB_N2at6native12_GLOBAL__N_19CustomMaxEEEEE10hipError_tPvRmT0_T1_jT2_SS_T4_T3_P12ihipStream_tbEUlT_E_NS1_11comp_targetILNS1_3genE5ELNS1_11target_archE942ELNS1_3gpuE9ELNS1_3repE0EEENS1_30default_config_static_selectorELNS0_4arch9wavefront6targetE0EEEvSR_.private_seg_size, 0
	.set _ZN7rocprim17ROCPRIM_400000_NS6detail17trampoline_kernelINS0_14default_configENS1_32segmented_reduce_config_selectorIN3c104HalfEEEZNS1_21segmented_reduce_implIS3_PKS6_PS6_PKiS6_N6hipcub16HIPCUB_304000_NS6detail27convert_result_type_wrapperISA_SB_N2at6native12_GLOBAL__N_19CustomMaxEEEEE10hipError_tPvRmT0_T1_jT2_SS_T4_T3_P12ihipStream_tbEUlT_E_NS1_11comp_targetILNS1_3genE5ELNS1_11target_archE942ELNS1_3gpuE9ELNS1_3repE0EEENS1_30default_config_static_selectorELNS0_4arch9wavefront6targetE0EEEvSR_.uses_vcc, 0
	.set _ZN7rocprim17ROCPRIM_400000_NS6detail17trampoline_kernelINS0_14default_configENS1_32segmented_reduce_config_selectorIN3c104HalfEEEZNS1_21segmented_reduce_implIS3_PKS6_PS6_PKiS6_N6hipcub16HIPCUB_304000_NS6detail27convert_result_type_wrapperISA_SB_N2at6native12_GLOBAL__N_19CustomMaxEEEEE10hipError_tPvRmT0_T1_jT2_SS_T4_T3_P12ihipStream_tbEUlT_E_NS1_11comp_targetILNS1_3genE5ELNS1_11target_archE942ELNS1_3gpuE9ELNS1_3repE0EEENS1_30default_config_static_selectorELNS0_4arch9wavefront6targetE0EEEvSR_.uses_flat_scratch, 0
	.set _ZN7rocprim17ROCPRIM_400000_NS6detail17trampoline_kernelINS0_14default_configENS1_32segmented_reduce_config_selectorIN3c104HalfEEEZNS1_21segmented_reduce_implIS3_PKS6_PS6_PKiS6_N6hipcub16HIPCUB_304000_NS6detail27convert_result_type_wrapperISA_SB_N2at6native12_GLOBAL__N_19CustomMaxEEEEE10hipError_tPvRmT0_T1_jT2_SS_T4_T3_P12ihipStream_tbEUlT_E_NS1_11comp_targetILNS1_3genE5ELNS1_11target_archE942ELNS1_3gpuE9ELNS1_3repE0EEENS1_30default_config_static_selectorELNS0_4arch9wavefront6targetE0EEEvSR_.has_dyn_sized_stack, 0
	.set _ZN7rocprim17ROCPRIM_400000_NS6detail17trampoline_kernelINS0_14default_configENS1_32segmented_reduce_config_selectorIN3c104HalfEEEZNS1_21segmented_reduce_implIS3_PKS6_PS6_PKiS6_N6hipcub16HIPCUB_304000_NS6detail27convert_result_type_wrapperISA_SB_N2at6native12_GLOBAL__N_19CustomMaxEEEEE10hipError_tPvRmT0_T1_jT2_SS_T4_T3_P12ihipStream_tbEUlT_E_NS1_11comp_targetILNS1_3genE5ELNS1_11target_archE942ELNS1_3gpuE9ELNS1_3repE0EEENS1_30default_config_static_selectorELNS0_4arch9wavefront6targetE0EEEvSR_.has_recursion, 0
	.set _ZN7rocprim17ROCPRIM_400000_NS6detail17trampoline_kernelINS0_14default_configENS1_32segmented_reduce_config_selectorIN3c104HalfEEEZNS1_21segmented_reduce_implIS3_PKS6_PS6_PKiS6_N6hipcub16HIPCUB_304000_NS6detail27convert_result_type_wrapperISA_SB_N2at6native12_GLOBAL__N_19CustomMaxEEEEE10hipError_tPvRmT0_T1_jT2_SS_T4_T3_P12ihipStream_tbEUlT_E_NS1_11comp_targetILNS1_3genE5ELNS1_11target_archE942ELNS1_3gpuE9ELNS1_3repE0EEENS1_30default_config_static_selectorELNS0_4arch9wavefront6targetE0EEEvSR_.has_indirect_call, 0
	.section	.AMDGPU.csdata,"",@progbits
; Kernel info:
; codeLenInByte = 0
; TotalNumSgprs: 0
; NumVgprs: 0
; ScratchSize: 0
; MemoryBound: 0
; FloatMode: 240
; IeeeMode: 1
; LDSByteSize: 0 bytes/workgroup (compile time only)
; SGPRBlocks: 0
; VGPRBlocks: 0
; NumSGPRsForWavesPerEU: 1
; NumVGPRsForWavesPerEU: 1
; NamedBarCnt: 0
; Occupancy: 16
; WaveLimiterHint : 0
; COMPUTE_PGM_RSRC2:SCRATCH_EN: 0
; COMPUTE_PGM_RSRC2:USER_SGPR: 2
; COMPUTE_PGM_RSRC2:TRAP_HANDLER: 0
; COMPUTE_PGM_RSRC2:TGID_X_EN: 1
; COMPUTE_PGM_RSRC2:TGID_Y_EN: 0
; COMPUTE_PGM_RSRC2:TGID_Z_EN: 0
; COMPUTE_PGM_RSRC2:TIDIG_COMP_CNT: 0
	.section	.text._ZN7rocprim17ROCPRIM_400000_NS6detail17trampoline_kernelINS0_14default_configENS1_32segmented_reduce_config_selectorIN3c104HalfEEEZNS1_21segmented_reduce_implIS3_PKS6_PS6_PKiS6_N6hipcub16HIPCUB_304000_NS6detail27convert_result_type_wrapperISA_SB_N2at6native12_GLOBAL__N_19CustomMaxEEEEE10hipError_tPvRmT0_T1_jT2_SS_T4_T3_P12ihipStream_tbEUlT_E_NS1_11comp_targetILNS1_3genE10ELNS1_11target_archE1201ELNS1_3gpuE5ELNS1_3repE0EEENS1_30default_config_static_selectorELNS0_4arch9wavefront6targetE0EEEvSR_,"axG",@progbits,_ZN7rocprim17ROCPRIM_400000_NS6detail17trampoline_kernelINS0_14default_configENS1_32segmented_reduce_config_selectorIN3c104HalfEEEZNS1_21segmented_reduce_implIS3_PKS6_PS6_PKiS6_N6hipcub16HIPCUB_304000_NS6detail27convert_result_type_wrapperISA_SB_N2at6native12_GLOBAL__N_19CustomMaxEEEEE10hipError_tPvRmT0_T1_jT2_SS_T4_T3_P12ihipStream_tbEUlT_E_NS1_11comp_targetILNS1_3genE10ELNS1_11target_archE1201ELNS1_3gpuE5ELNS1_3repE0EEENS1_30default_config_static_selectorELNS0_4arch9wavefront6targetE0EEEvSR_,comdat
	.globl	_ZN7rocprim17ROCPRIM_400000_NS6detail17trampoline_kernelINS0_14default_configENS1_32segmented_reduce_config_selectorIN3c104HalfEEEZNS1_21segmented_reduce_implIS3_PKS6_PS6_PKiS6_N6hipcub16HIPCUB_304000_NS6detail27convert_result_type_wrapperISA_SB_N2at6native12_GLOBAL__N_19CustomMaxEEEEE10hipError_tPvRmT0_T1_jT2_SS_T4_T3_P12ihipStream_tbEUlT_E_NS1_11comp_targetILNS1_3genE10ELNS1_11target_archE1201ELNS1_3gpuE5ELNS1_3repE0EEENS1_30default_config_static_selectorELNS0_4arch9wavefront6targetE0EEEvSR_ ; -- Begin function _ZN7rocprim17ROCPRIM_400000_NS6detail17trampoline_kernelINS0_14default_configENS1_32segmented_reduce_config_selectorIN3c104HalfEEEZNS1_21segmented_reduce_implIS3_PKS6_PS6_PKiS6_N6hipcub16HIPCUB_304000_NS6detail27convert_result_type_wrapperISA_SB_N2at6native12_GLOBAL__N_19CustomMaxEEEEE10hipError_tPvRmT0_T1_jT2_SS_T4_T3_P12ihipStream_tbEUlT_E_NS1_11comp_targetILNS1_3genE10ELNS1_11target_archE1201ELNS1_3gpuE5ELNS1_3repE0EEENS1_30default_config_static_selectorELNS0_4arch9wavefront6targetE0EEEvSR_
	.p2align	8
	.type	_ZN7rocprim17ROCPRIM_400000_NS6detail17trampoline_kernelINS0_14default_configENS1_32segmented_reduce_config_selectorIN3c104HalfEEEZNS1_21segmented_reduce_implIS3_PKS6_PS6_PKiS6_N6hipcub16HIPCUB_304000_NS6detail27convert_result_type_wrapperISA_SB_N2at6native12_GLOBAL__N_19CustomMaxEEEEE10hipError_tPvRmT0_T1_jT2_SS_T4_T3_P12ihipStream_tbEUlT_E_NS1_11comp_targetILNS1_3genE10ELNS1_11target_archE1201ELNS1_3gpuE5ELNS1_3repE0EEENS1_30default_config_static_selectorELNS0_4arch9wavefront6targetE0EEEvSR_,@function
_ZN7rocprim17ROCPRIM_400000_NS6detail17trampoline_kernelINS0_14default_configENS1_32segmented_reduce_config_selectorIN3c104HalfEEEZNS1_21segmented_reduce_implIS3_PKS6_PS6_PKiS6_N6hipcub16HIPCUB_304000_NS6detail27convert_result_type_wrapperISA_SB_N2at6native12_GLOBAL__N_19CustomMaxEEEEE10hipError_tPvRmT0_T1_jT2_SS_T4_T3_P12ihipStream_tbEUlT_E_NS1_11comp_targetILNS1_3genE10ELNS1_11target_archE1201ELNS1_3gpuE5ELNS1_3repE0EEENS1_30default_config_static_selectorELNS0_4arch9wavefront6targetE0EEEvSR_: ; @_ZN7rocprim17ROCPRIM_400000_NS6detail17trampoline_kernelINS0_14default_configENS1_32segmented_reduce_config_selectorIN3c104HalfEEEZNS1_21segmented_reduce_implIS3_PKS6_PS6_PKiS6_N6hipcub16HIPCUB_304000_NS6detail27convert_result_type_wrapperISA_SB_N2at6native12_GLOBAL__N_19CustomMaxEEEEE10hipError_tPvRmT0_T1_jT2_SS_T4_T3_P12ihipStream_tbEUlT_E_NS1_11comp_targetILNS1_3genE10ELNS1_11target_archE1201ELNS1_3gpuE5ELNS1_3repE0EEENS1_30default_config_static_selectorELNS0_4arch9wavefront6targetE0EEEvSR_
; %bb.0:
	.section	.rodata,"a",@progbits
	.p2align	6, 0x0
	.amdhsa_kernel _ZN7rocprim17ROCPRIM_400000_NS6detail17trampoline_kernelINS0_14default_configENS1_32segmented_reduce_config_selectorIN3c104HalfEEEZNS1_21segmented_reduce_implIS3_PKS6_PS6_PKiS6_N6hipcub16HIPCUB_304000_NS6detail27convert_result_type_wrapperISA_SB_N2at6native12_GLOBAL__N_19CustomMaxEEEEE10hipError_tPvRmT0_T1_jT2_SS_T4_T3_P12ihipStream_tbEUlT_E_NS1_11comp_targetILNS1_3genE10ELNS1_11target_archE1201ELNS1_3gpuE5ELNS1_3repE0EEENS1_30default_config_static_selectorELNS0_4arch9wavefront6targetE0EEEvSR_
		.amdhsa_group_segment_fixed_size 0
		.amdhsa_private_segment_fixed_size 0
		.amdhsa_kernarg_size 48
		.amdhsa_user_sgpr_count 2
		.amdhsa_user_sgpr_dispatch_ptr 0
		.amdhsa_user_sgpr_queue_ptr 0
		.amdhsa_user_sgpr_kernarg_segment_ptr 1
		.amdhsa_user_sgpr_dispatch_id 0
		.amdhsa_user_sgpr_kernarg_preload_length 0
		.amdhsa_user_sgpr_kernarg_preload_offset 0
		.amdhsa_user_sgpr_private_segment_size 0
		.amdhsa_wavefront_size32 1
		.amdhsa_uses_dynamic_stack 0
		.amdhsa_enable_private_segment 0
		.amdhsa_system_sgpr_workgroup_id_x 1
		.amdhsa_system_sgpr_workgroup_id_y 0
		.amdhsa_system_sgpr_workgroup_id_z 0
		.amdhsa_system_sgpr_workgroup_info 0
		.amdhsa_system_vgpr_workitem_id 0
		.amdhsa_next_free_vgpr 1
		.amdhsa_next_free_sgpr 1
		.amdhsa_named_barrier_count 0
		.amdhsa_reserve_vcc 0
		.amdhsa_float_round_mode_32 0
		.amdhsa_float_round_mode_16_64 0
		.amdhsa_float_denorm_mode_32 3
		.amdhsa_float_denorm_mode_16_64 3
		.amdhsa_fp16_overflow 0
		.amdhsa_memory_ordered 1
		.amdhsa_forward_progress 1
		.amdhsa_inst_pref_size 0
		.amdhsa_round_robin_scheduling 0
		.amdhsa_exception_fp_ieee_invalid_op 0
		.amdhsa_exception_fp_denorm_src 0
		.amdhsa_exception_fp_ieee_div_zero 0
		.amdhsa_exception_fp_ieee_overflow 0
		.amdhsa_exception_fp_ieee_underflow 0
		.amdhsa_exception_fp_ieee_inexact 0
		.amdhsa_exception_int_div_zero 0
	.end_amdhsa_kernel
	.section	.text._ZN7rocprim17ROCPRIM_400000_NS6detail17trampoline_kernelINS0_14default_configENS1_32segmented_reduce_config_selectorIN3c104HalfEEEZNS1_21segmented_reduce_implIS3_PKS6_PS6_PKiS6_N6hipcub16HIPCUB_304000_NS6detail27convert_result_type_wrapperISA_SB_N2at6native12_GLOBAL__N_19CustomMaxEEEEE10hipError_tPvRmT0_T1_jT2_SS_T4_T3_P12ihipStream_tbEUlT_E_NS1_11comp_targetILNS1_3genE10ELNS1_11target_archE1201ELNS1_3gpuE5ELNS1_3repE0EEENS1_30default_config_static_selectorELNS0_4arch9wavefront6targetE0EEEvSR_,"axG",@progbits,_ZN7rocprim17ROCPRIM_400000_NS6detail17trampoline_kernelINS0_14default_configENS1_32segmented_reduce_config_selectorIN3c104HalfEEEZNS1_21segmented_reduce_implIS3_PKS6_PS6_PKiS6_N6hipcub16HIPCUB_304000_NS6detail27convert_result_type_wrapperISA_SB_N2at6native12_GLOBAL__N_19CustomMaxEEEEE10hipError_tPvRmT0_T1_jT2_SS_T4_T3_P12ihipStream_tbEUlT_E_NS1_11comp_targetILNS1_3genE10ELNS1_11target_archE1201ELNS1_3gpuE5ELNS1_3repE0EEENS1_30default_config_static_selectorELNS0_4arch9wavefront6targetE0EEEvSR_,comdat
.Lfunc_end79:
	.size	_ZN7rocprim17ROCPRIM_400000_NS6detail17trampoline_kernelINS0_14default_configENS1_32segmented_reduce_config_selectorIN3c104HalfEEEZNS1_21segmented_reduce_implIS3_PKS6_PS6_PKiS6_N6hipcub16HIPCUB_304000_NS6detail27convert_result_type_wrapperISA_SB_N2at6native12_GLOBAL__N_19CustomMaxEEEEE10hipError_tPvRmT0_T1_jT2_SS_T4_T3_P12ihipStream_tbEUlT_E_NS1_11comp_targetILNS1_3genE10ELNS1_11target_archE1201ELNS1_3gpuE5ELNS1_3repE0EEENS1_30default_config_static_selectorELNS0_4arch9wavefront6targetE0EEEvSR_, .Lfunc_end79-_ZN7rocprim17ROCPRIM_400000_NS6detail17trampoline_kernelINS0_14default_configENS1_32segmented_reduce_config_selectorIN3c104HalfEEEZNS1_21segmented_reduce_implIS3_PKS6_PS6_PKiS6_N6hipcub16HIPCUB_304000_NS6detail27convert_result_type_wrapperISA_SB_N2at6native12_GLOBAL__N_19CustomMaxEEEEE10hipError_tPvRmT0_T1_jT2_SS_T4_T3_P12ihipStream_tbEUlT_E_NS1_11comp_targetILNS1_3genE10ELNS1_11target_archE1201ELNS1_3gpuE5ELNS1_3repE0EEENS1_30default_config_static_selectorELNS0_4arch9wavefront6targetE0EEEvSR_
                                        ; -- End function
	.set _ZN7rocprim17ROCPRIM_400000_NS6detail17trampoline_kernelINS0_14default_configENS1_32segmented_reduce_config_selectorIN3c104HalfEEEZNS1_21segmented_reduce_implIS3_PKS6_PS6_PKiS6_N6hipcub16HIPCUB_304000_NS6detail27convert_result_type_wrapperISA_SB_N2at6native12_GLOBAL__N_19CustomMaxEEEEE10hipError_tPvRmT0_T1_jT2_SS_T4_T3_P12ihipStream_tbEUlT_E_NS1_11comp_targetILNS1_3genE10ELNS1_11target_archE1201ELNS1_3gpuE5ELNS1_3repE0EEENS1_30default_config_static_selectorELNS0_4arch9wavefront6targetE0EEEvSR_.num_vgpr, 0
	.set _ZN7rocprim17ROCPRIM_400000_NS6detail17trampoline_kernelINS0_14default_configENS1_32segmented_reduce_config_selectorIN3c104HalfEEEZNS1_21segmented_reduce_implIS3_PKS6_PS6_PKiS6_N6hipcub16HIPCUB_304000_NS6detail27convert_result_type_wrapperISA_SB_N2at6native12_GLOBAL__N_19CustomMaxEEEEE10hipError_tPvRmT0_T1_jT2_SS_T4_T3_P12ihipStream_tbEUlT_E_NS1_11comp_targetILNS1_3genE10ELNS1_11target_archE1201ELNS1_3gpuE5ELNS1_3repE0EEENS1_30default_config_static_selectorELNS0_4arch9wavefront6targetE0EEEvSR_.num_agpr, 0
	.set _ZN7rocprim17ROCPRIM_400000_NS6detail17trampoline_kernelINS0_14default_configENS1_32segmented_reduce_config_selectorIN3c104HalfEEEZNS1_21segmented_reduce_implIS3_PKS6_PS6_PKiS6_N6hipcub16HIPCUB_304000_NS6detail27convert_result_type_wrapperISA_SB_N2at6native12_GLOBAL__N_19CustomMaxEEEEE10hipError_tPvRmT0_T1_jT2_SS_T4_T3_P12ihipStream_tbEUlT_E_NS1_11comp_targetILNS1_3genE10ELNS1_11target_archE1201ELNS1_3gpuE5ELNS1_3repE0EEENS1_30default_config_static_selectorELNS0_4arch9wavefront6targetE0EEEvSR_.numbered_sgpr, 0
	.set _ZN7rocprim17ROCPRIM_400000_NS6detail17trampoline_kernelINS0_14default_configENS1_32segmented_reduce_config_selectorIN3c104HalfEEEZNS1_21segmented_reduce_implIS3_PKS6_PS6_PKiS6_N6hipcub16HIPCUB_304000_NS6detail27convert_result_type_wrapperISA_SB_N2at6native12_GLOBAL__N_19CustomMaxEEEEE10hipError_tPvRmT0_T1_jT2_SS_T4_T3_P12ihipStream_tbEUlT_E_NS1_11comp_targetILNS1_3genE10ELNS1_11target_archE1201ELNS1_3gpuE5ELNS1_3repE0EEENS1_30default_config_static_selectorELNS0_4arch9wavefront6targetE0EEEvSR_.num_named_barrier, 0
	.set _ZN7rocprim17ROCPRIM_400000_NS6detail17trampoline_kernelINS0_14default_configENS1_32segmented_reduce_config_selectorIN3c104HalfEEEZNS1_21segmented_reduce_implIS3_PKS6_PS6_PKiS6_N6hipcub16HIPCUB_304000_NS6detail27convert_result_type_wrapperISA_SB_N2at6native12_GLOBAL__N_19CustomMaxEEEEE10hipError_tPvRmT0_T1_jT2_SS_T4_T3_P12ihipStream_tbEUlT_E_NS1_11comp_targetILNS1_3genE10ELNS1_11target_archE1201ELNS1_3gpuE5ELNS1_3repE0EEENS1_30default_config_static_selectorELNS0_4arch9wavefront6targetE0EEEvSR_.private_seg_size, 0
	.set _ZN7rocprim17ROCPRIM_400000_NS6detail17trampoline_kernelINS0_14default_configENS1_32segmented_reduce_config_selectorIN3c104HalfEEEZNS1_21segmented_reduce_implIS3_PKS6_PS6_PKiS6_N6hipcub16HIPCUB_304000_NS6detail27convert_result_type_wrapperISA_SB_N2at6native12_GLOBAL__N_19CustomMaxEEEEE10hipError_tPvRmT0_T1_jT2_SS_T4_T3_P12ihipStream_tbEUlT_E_NS1_11comp_targetILNS1_3genE10ELNS1_11target_archE1201ELNS1_3gpuE5ELNS1_3repE0EEENS1_30default_config_static_selectorELNS0_4arch9wavefront6targetE0EEEvSR_.uses_vcc, 0
	.set _ZN7rocprim17ROCPRIM_400000_NS6detail17trampoline_kernelINS0_14default_configENS1_32segmented_reduce_config_selectorIN3c104HalfEEEZNS1_21segmented_reduce_implIS3_PKS6_PS6_PKiS6_N6hipcub16HIPCUB_304000_NS6detail27convert_result_type_wrapperISA_SB_N2at6native12_GLOBAL__N_19CustomMaxEEEEE10hipError_tPvRmT0_T1_jT2_SS_T4_T3_P12ihipStream_tbEUlT_E_NS1_11comp_targetILNS1_3genE10ELNS1_11target_archE1201ELNS1_3gpuE5ELNS1_3repE0EEENS1_30default_config_static_selectorELNS0_4arch9wavefront6targetE0EEEvSR_.uses_flat_scratch, 0
	.set _ZN7rocprim17ROCPRIM_400000_NS6detail17trampoline_kernelINS0_14default_configENS1_32segmented_reduce_config_selectorIN3c104HalfEEEZNS1_21segmented_reduce_implIS3_PKS6_PS6_PKiS6_N6hipcub16HIPCUB_304000_NS6detail27convert_result_type_wrapperISA_SB_N2at6native12_GLOBAL__N_19CustomMaxEEEEE10hipError_tPvRmT0_T1_jT2_SS_T4_T3_P12ihipStream_tbEUlT_E_NS1_11comp_targetILNS1_3genE10ELNS1_11target_archE1201ELNS1_3gpuE5ELNS1_3repE0EEENS1_30default_config_static_selectorELNS0_4arch9wavefront6targetE0EEEvSR_.has_dyn_sized_stack, 0
	.set _ZN7rocprim17ROCPRIM_400000_NS6detail17trampoline_kernelINS0_14default_configENS1_32segmented_reduce_config_selectorIN3c104HalfEEEZNS1_21segmented_reduce_implIS3_PKS6_PS6_PKiS6_N6hipcub16HIPCUB_304000_NS6detail27convert_result_type_wrapperISA_SB_N2at6native12_GLOBAL__N_19CustomMaxEEEEE10hipError_tPvRmT0_T1_jT2_SS_T4_T3_P12ihipStream_tbEUlT_E_NS1_11comp_targetILNS1_3genE10ELNS1_11target_archE1201ELNS1_3gpuE5ELNS1_3repE0EEENS1_30default_config_static_selectorELNS0_4arch9wavefront6targetE0EEEvSR_.has_recursion, 0
	.set _ZN7rocprim17ROCPRIM_400000_NS6detail17trampoline_kernelINS0_14default_configENS1_32segmented_reduce_config_selectorIN3c104HalfEEEZNS1_21segmented_reduce_implIS3_PKS6_PS6_PKiS6_N6hipcub16HIPCUB_304000_NS6detail27convert_result_type_wrapperISA_SB_N2at6native12_GLOBAL__N_19CustomMaxEEEEE10hipError_tPvRmT0_T1_jT2_SS_T4_T3_P12ihipStream_tbEUlT_E_NS1_11comp_targetILNS1_3genE10ELNS1_11target_archE1201ELNS1_3gpuE5ELNS1_3repE0EEENS1_30default_config_static_selectorELNS0_4arch9wavefront6targetE0EEEvSR_.has_indirect_call, 0
	.section	.AMDGPU.csdata,"",@progbits
; Kernel info:
; codeLenInByte = 0
; TotalNumSgprs: 0
; NumVgprs: 0
; ScratchSize: 0
; MemoryBound: 0
; FloatMode: 240
; IeeeMode: 1
; LDSByteSize: 0 bytes/workgroup (compile time only)
; SGPRBlocks: 0
; VGPRBlocks: 0
; NumSGPRsForWavesPerEU: 1
; NumVGPRsForWavesPerEU: 1
; NamedBarCnt: 0
; Occupancy: 16
; WaveLimiterHint : 0
; COMPUTE_PGM_RSRC2:SCRATCH_EN: 0
; COMPUTE_PGM_RSRC2:USER_SGPR: 2
; COMPUTE_PGM_RSRC2:TRAP_HANDLER: 0
; COMPUTE_PGM_RSRC2:TGID_X_EN: 1
; COMPUTE_PGM_RSRC2:TGID_Y_EN: 0
; COMPUTE_PGM_RSRC2:TGID_Z_EN: 0
; COMPUTE_PGM_RSRC2:TIDIG_COMP_CNT: 0
	.section	.text._ZN7rocprim17ROCPRIM_400000_NS6detail17trampoline_kernelINS0_14default_configENS1_32segmented_reduce_config_selectorIN3c104HalfEEEZNS1_21segmented_reduce_implIS3_PKS6_PS6_PKiS6_N6hipcub16HIPCUB_304000_NS6detail27convert_result_type_wrapperISA_SB_N2at6native12_GLOBAL__N_19CustomMaxEEEEE10hipError_tPvRmT0_T1_jT2_SS_T4_T3_P12ihipStream_tbEUlT_E_NS1_11comp_targetILNS1_3genE4ELNS1_11target_archE910ELNS1_3gpuE8ELNS1_3repE0EEENS1_30default_config_static_selectorELNS0_4arch9wavefront6targetE0EEEvSR_,"axG",@progbits,_ZN7rocprim17ROCPRIM_400000_NS6detail17trampoline_kernelINS0_14default_configENS1_32segmented_reduce_config_selectorIN3c104HalfEEEZNS1_21segmented_reduce_implIS3_PKS6_PS6_PKiS6_N6hipcub16HIPCUB_304000_NS6detail27convert_result_type_wrapperISA_SB_N2at6native12_GLOBAL__N_19CustomMaxEEEEE10hipError_tPvRmT0_T1_jT2_SS_T4_T3_P12ihipStream_tbEUlT_E_NS1_11comp_targetILNS1_3genE4ELNS1_11target_archE910ELNS1_3gpuE8ELNS1_3repE0EEENS1_30default_config_static_selectorELNS0_4arch9wavefront6targetE0EEEvSR_,comdat
	.globl	_ZN7rocprim17ROCPRIM_400000_NS6detail17trampoline_kernelINS0_14default_configENS1_32segmented_reduce_config_selectorIN3c104HalfEEEZNS1_21segmented_reduce_implIS3_PKS6_PS6_PKiS6_N6hipcub16HIPCUB_304000_NS6detail27convert_result_type_wrapperISA_SB_N2at6native12_GLOBAL__N_19CustomMaxEEEEE10hipError_tPvRmT0_T1_jT2_SS_T4_T3_P12ihipStream_tbEUlT_E_NS1_11comp_targetILNS1_3genE4ELNS1_11target_archE910ELNS1_3gpuE8ELNS1_3repE0EEENS1_30default_config_static_selectorELNS0_4arch9wavefront6targetE0EEEvSR_ ; -- Begin function _ZN7rocprim17ROCPRIM_400000_NS6detail17trampoline_kernelINS0_14default_configENS1_32segmented_reduce_config_selectorIN3c104HalfEEEZNS1_21segmented_reduce_implIS3_PKS6_PS6_PKiS6_N6hipcub16HIPCUB_304000_NS6detail27convert_result_type_wrapperISA_SB_N2at6native12_GLOBAL__N_19CustomMaxEEEEE10hipError_tPvRmT0_T1_jT2_SS_T4_T3_P12ihipStream_tbEUlT_E_NS1_11comp_targetILNS1_3genE4ELNS1_11target_archE910ELNS1_3gpuE8ELNS1_3repE0EEENS1_30default_config_static_selectorELNS0_4arch9wavefront6targetE0EEEvSR_
	.p2align	8
	.type	_ZN7rocprim17ROCPRIM_400000_NS6detail17trampoline_kernelINS0_14default_configENS1_32segmented_reduce_config_selectorIN3c104HalfEEEZNS1_21segmented_reduce_implIS3_PKS6_PS6_PKiS6_N6hipcub16HIPCUB_304000_NS6detail27convert_result_type_wrapperISA_SB_N2at6native12_GLOBAL__N_19CustomMaxEEEEE10hipError_tPvRmT0_T1_jT2_SS_T4_T3_P12ihipStream_tbEUlT_E_NS1_11comp_targetILNS1_3genE4ELNS1_11target_archE910ELNS1_3gpuE8ELNS1_3repE0EEENS1_30default_config_static_selectorELNS0_4arch9wavefront6targetE0EEEvSR_,@function
_ZN7rocprim17ROCPRIM_400000_NS6detail17trampoline_kernelINS0_14default_configENS1_32segmented_reduce_config_selectorIN3c104HalfEEEZNS1_21segmented_reduce_implIS3_PKS6_PS6_PKiS6_N6hipcub16HIPCUB_304000_NS6detail27convert_result_type_wrapperISA_SB_N2at6native12_GLOBAL__N_19CustomMaxEEEEE10hipError_tPvRmT0_T1_jT2_SS_T4_T3_P12ihipStream_tbEUlT_E_NS1_11comp_targetILNS1_3genE4ELNS1_11target_archE910ELNS1_3gpuE8ELNS1_3repE0EEENS1_30default_config_static_selectorELNS0_4arch9wavefront6targetE0EEEvSR_: ; @_ZN7rocprim17ROCPRIM_400000_NS6detail17trampoline_kernelINS0_14default_configENS1_32segmented_reduce_config_selectorIN3c104HalfEEEZNS1_21segmented_reduce_implIS3_PKS6_PS6_PKiS6_N6hipcub16HIPCUB_304000_NS6detail27convert_result_type_wrapperISA_SB_N2at6native12_GLOBAL__N_19CustomMaxEEEEE10hipError_tPvRmT0_T1_jT2_SS_T4_T3_P12ihipStream_tbEUlT_E_NS1_11comp_targetILNS1_3genE4ELNS1_11target_archE910ELNS1_3gpuE8ELNS1_3repE0EEENS1_30default_config_static_selectorELNS0_4arch9wavefront6targetE0EEEvSR_
; %bb.0:
	.section	.rodata,"a",@progbits
	.p2align	6, 0x0
	.amdhsa_kernel _ZN7rocprim17ROCPRIM_400000_NS6detail17trampoline_kernelINS0_14default_configENS1_32segmented_reduce_config_selectorIN3c104HalfEEEZNS1_21segmented_reduce_implIS3_PKS6_PS6_PKiS6_N6hipcub16HIPCUB_304000_NS6detail27convert_result_type_wrapperISA_SB_N2at6native12_GLOBAL__N_19CustomMaxEEEEE10hipError_tPvRmT0_T1_jT2_SS_T4_T3_P12ihipStream_tbEUlT_E_NS1_11comp_targetILNS1_3genE4ELNS1_11target_archE910ELNS1_3gpuE8ELNS1_3repE0EEENS1_30default_config_static_selectorELNS0_4arch9wavefront6targetE0EEEvSR_
		.amdhsa_group_segment_fixed_size 0
		.amdhsa_private_segment_fixed_size 0
		.amdhsa_kernarg_size 48
		.amdhsa_user_sgpr_count 2
		.amdhsa_user_sgpr_dispatch_ptr 0
		.amdhsa_user_sgpr_queue_ptr 0
		.amdhsa_user_sgpr_kernarg_segment_ptr 1
		.amdhsa_user_sgpr_dispatch_id 0
		.amdhsa_user_sgpr_kernarg_preload_length 0
		.amdhsa_user_sgpr_kernarg_preload_offset 0
		.amdhsa_user_sgpr_private_segment_size 0
		.amdhsa_wavefront_size32 1
		.amdhsa_uses_dynamic_stack 0
		.amdhsa_enable_private_segment 0
		.amdhsa_system_sgpr_workgroup_id_x 1
		.amdhsa_system_sgpr_workgroup_id_y 0
		.amdhsa_system_sgpr_workgroup_id_z 0
		.amdhsa_system_sgpr_workgroup_info 0
		.amdhsa_system_vgpr_workitem_id 0
		.amdhsa_next_free_vgpr 1
		.amdhsa_next_free_sgpr 1
		.amdhsa_named_barrier_count 0
		.amdhsa_reserve_vcc 0
		.amdhsa_float_round_mode_32 0
		.amdhsa_float_round_mode_16_64 0
		.amdhsa_float_denorm_mode_32 3
		.amdhsa_float_denorm_mode_16_64 3
		.amdhsa_fp16_overflow 0
		.amdhsa_memory_ordered 1
		.amdhsa_forward_progress 1
		.amdhsa_inst_pref_size 0
		.amdhsa_round_robin_scheduling 0
		.amdhsa_exception_fp_ieee_invalid_op 0
		.amdhsa_exception_fp_denorm_src 0
		.amdhsa_exception_fp_ieee_div_zero 0
		.amdhsa_exception_fp_ieee_overflow 0
		.amdhsa_exception_fp_ieee_underflow 0
		.amdhsa_exception_fp_ieee_inexact 0
		.amdhsa_exception_int_div_zero 0
	.end_amdhsa_kernel
	.section	.text._ZN7rocprim17ROCPRIM_400000_NS6detail17trampoline_kernelINS0_14default_configENS1_32segmented_reduce_config_selectorIN3c104HalfEEEZNS1_21segmented_reduce_implIS3_PKS6_PS6_PKiS6_N6hipcub16HIPCUB_304000_NS6detail27convert_result_type_wrapperISA_SB_N2at6native12_GLOBAL__N_19CustomMaxEEEEE10hipError_tPvRmT0_T1_jT2_SS_T4_T3_P12ihipStream_tbEUlT_E_NS1_11comp_targetILNS1_3genE4ELNS1_11target_archE910ELNS1_3gpuE8ELNS1_3repE0EEENS1_30default_config_static_selectorELNS0_4arch9wavefront6targetE0EEEvSR_,"axG",@progbits,_ZN7rocprim17ROCPRIM_400000_NS6detail17trampoline_kernelINS0_14default_configENS1_32segmented_reduce_config_selectorIN3c104HalfEEEZNS1_21segmented_reduce_implIS3_PKS6_PS6_PKiS6_N6hipcub16HIPCUB_304000_NS6detail27convert_result_type_wrapperISA_SB_N2at6native12_GLOBAL__N_19CustomMaxEEEEE10hipError_tPvRmT0_T1_jT2_SS_T4_T3_P12ihipStream_tbEUlT_E_NS1_11comp_targetILNS1_3genE4ELNS1_11target_archE910ELNS1_3gpuE8ELNS1_3repE0EEENS1_30default_config_static_selectorELNS0_4arch9wavefront6targetE0EEEvSR_,comdat
.Lfunc_end80:
	.size	_ZN7rocprim17ROCPRIM_400000_NS6detail17trampoline_kernelINS0_14default_configENS1_32segmented_reduce_config_selectorIN3c104HalfEEEZNS1_21segmented_reduce_implIS3_PKS6_PS6_PKiS6_N6hipcub16HIPCUB_304000_NS6detail27convert_result_type_wrapperISA_SB_N2at6native12_GLOBAL__N_19CustomMaxEEEEE10hipError_tPvRmT0_T1_jT2_SS_T4_T3_P12ihipStream_tbEUlT_E_NS1_11comp_targetILNS1_3genE4ELNS1_11target_archE910ELNS1_3gpuE8ELNS1_3repE0EEENS1_30default_config_static_selectorELNS0_4arch9wavefront6targetE0EEEvSR_, .Lfunc_end80-_ZN7rocprim17ROCPRIM_400000_NS6detail17trampoline_kernelINS0_14default_configENS1_32segmented_reduce_config_selectorIN3c104HalfEEEZNS1_21segmented_reduce_implIS3_PKS6_PS6_PKiS6_N6hipcub16HIPCUB_304000_NS6detail27convert_result_type_wrapperISA_SB_N2at6native12_GLOBAL__N_19CustomMaxEEEEE10hipError_tPvRmT0_T1_jT2_SS_T4_T3_P12ihipStream_tbEUlT_E_NS1_11comp_targetILNS1_3genE4ELNS1_11target_archE910ELNS1_3gpuE8ELNS1_3repE0EEENS1_30default_config_static_selectorELNS0_4arch9wavefront6targetE0EEEvSR_
                                        ; -- End function
	.set _ZN7rocprim17ROCPRIM_400000_NS6detail17trampoline_kernelINS0_14default_configENS1_32segmented_reduce_config_selectorIN3c104HalfEEEZNS1_21segmented_reduce_implIS3_PKS6_PS6_PKiS6_N6hipcub16HIPCUB_304000_NS6detail27convert_result_type_wrapperISA_SB_N2at6native12_GLOBAL__N_19CustomMaxEEEEE10hipError_tPvRmT0_T1_jT2_SS_T4_T3_P12ihipStream_tbEUlT_E_NS1_11comp_targetILNS1_3genE4ELNS1_11target_archE910ELNS1_3gpuE8ELNS1_3repE0EEENS1_30default_config_static_selectorELNS0_4arch9wavefront6targetE0EEEvSR_.num_vgpr, 0
	.set _ZN7rocprim17ROCPRIM_400000_NS6detail17trampoline_kernelINS0_14default_configENS1_32segmented_reduce_config_selectorIN3c104HalfEEEZNS1_21segmented_reduce_implIS3_PKS6_PS6_PKiS6_N6hipcub16HIPCUB_304000_NS6detail27convert_result_type_wrapperISA_SB_N2at6native12_GLOBAL__N_19CustomMaxEEEEE10hipError_tPvRmT0_T1_jT2_SS_T4_T3_P12ihipStream_tbEUlT_E_NS1_11comp_targetILNS1_3genE4ELNS1_11target_archE910ELNS1_3gpuE8ELNS1_3repE0EEENS1_30default_config_static_selectorELNS0_4arch9wavefront6targetE0EEEvSR_.num_agpr, 0
	.set _ZN7rocprim17ROCPRIM_400000_NS6detail17trampoline_kernelINS0_14default_configENS1_32segmented_reduce_config_selectorIN3c104HalfEEEZNS1_21segmented_reduce_implIS3_PKS6_PS6_PKiS6_N6hipcub16HIPCUB_304000_NS6detail27convert_result_type_wrapperISA_SB_N2at6native12_GLOBAL__N_19CustomMaxEEEEE10hipError_tPvRmT0_T1_jT2_SS_T4_T3_P12ihipStream_tbEUlT_E_NS1_11comp_targetILNS1_3genE4ELNS1_11target_archE910ELNS1_3gpuE8ELNS1_3repE0EEENS1_30default_config_static_selectorELNS0_4arch9wavefront6targetE0EEEvSR_.numbered_sgpr, 0
	.set _ZN7rocprim17ROCPRIM_400000_NS6detail17trampoline_kernelINS0_14default_configENS1_32segmented_reduce_config_selectorIN3c104HalfEEEZNS1_21segmented_reduce_implIS3_PKS6_PS6_PKiS6_N6hipcub16HIPCUB_304000_NS6detail27convert_result_type_wrapperISA_SB_N2at6native12_GLOBAL__N_19CustomMaxEEEEE10hipError_tPvRmT0_T1_jT2_SS_T4_T3_P12ihipStream_tbEUlT_E_NS1_11comp_targetILNS1_3genE4ELNS1_11target_archE910ELNS1_3gpuE8ELNS1_3repE0EEENS1_30default_config_static_selectorELNS0_4arch9wavefront6targetE0EEEvSR_.num_named_barrier, 0
	.set _ZN7rocprim17ROCPRIM_400000_NS6detail17trampoline_kernelINS0_14default_configENS1_32segmented_reduce_config_selectorIN3c104HalfEEEZNS1_21segmented_reduce_implIS3_PKS6_PS6_PKiS6_N6hipcub16HIPCUB_304000_NS6detail27convert_result_type_wrapperISA_SB_N2at6native12_GLOBAL__N_19CustomMaxEEEEE10hipError_tPvRmT0_T1_jT2_SS_T4_T3_P12ihipStream_tbEUlT_E_NS1_11comp_targetILNS1_3genE4ELNS1_11target_archE910ELNS1_3gpuE8ELNS1_3repE0EEENS1_30default_config_static_selectorELNS0_4arch9wavefront6targetE0EEEvSR_.private_seg_size, 0
	.set _ZN7rocprim17ROCPRIM_400000_NS6detail17trampoline_kernelINS0_14default_configENS1_32segmented_reduce_config_selectorIN3c104HalfEEEZNS1_21segmented_reduce_implIS3_PKS6_PS6_PKiS6_N6hipcub16HIPCUB_304000_NS6detail27convert_result_type_wrapperISA_SB_N2at6native12_GLOBAL__N_19CustomMaxEEEEE10hipError_tPvRmT0_T1_jT2_SS_T4_T3_P12ihipStream_tbEUlT_E_NS1_11comp_targetILNS1_3genE4ELNS1_11target_archE910ELNS1_3gpuE8ELNS1_3repE0EEENS1_30default_config_static_selectorELNS0_4arch9wavefront6targetE0EEEvSR_.uses_vcc, 0
	.set _ZN7rocprim17ROCPRIM_400000_NS6detail17trampoline_kernelINS0_14default_configENS1_32segmented_reduce_config_selectorIN3c104HalfEEEZNS1_21segmented_reduce_implIS3_PKS6_PS6_PKiS6_N6hipcub16HIPCUB_304000_NS6detail27convert_result_type_wrapperISA_SB_N2at6native12_GLOBAL__N_19CustomMaxEEEEE10hipError_tPvRmT0_T1_jT2_SS_T4_T3_P12ihipStream_tbEUlT_E_NS1_11comp_targetILNS1_3genE4ELNS1_11target_archE910ELNS1_3gpuE8ELNS1_3repE0EEENS1_30default_config_static_selectorELNS0_4arch9wavefront6targetE0EEEvSR_.uses_flat_scratch, 0
	.set _ZN7rocprim17ROCPRIM_400000_NS6detail17trampoline_kernelINS0_14default_configENS1_32segmented_reduce_config_selectorIN3c104HalfEEEZNS1_21segmented_reduce_implIS3_PKS6_PS6_PKiS6_N6hipcub16HIPCUB_304000_NS6detail27convert_result_type_wrapperISA_SB_N2at6native12_GLOBAL__N_19CustomMaxEEEEE10hipError_tPvRmT0_T1_jT2_SS_T4_T3_P12ihipStream_tbEUlT_E_NS1_11comp_targetILNS1_3genE4ELNS1_11target_archE910ELNS1_3gpuE8ELNS1_3repE0EEENS1_30default_config_static_selectorELNS0_4arch9wavefront6targetE0EEEvSR_.has_dyn_sized_stack, 0
	.set _ZN7rocprim17ROCPRIM_400000_NS6detail17trampoline_kernelINS0_14default_configENS1_32segmented_reduce_config_selectorIN3c104HalfEEEZNS1_21segmented_reduce_implIS3_PKS6_PS6_PKiS6_N6hipcub16HIPCUB_304000_NS6detail27convert_result_type_wrapperISA_SB_N2at6native12_GLOBAL__N_19CustomMaxEEEEE10hipError_tPvRmT0_T1_jT2_SS_T4_T3_P12ihipStream_tbEUlT_E_NS1_11comp_targetILNS1_3genE4ELNS1_11target_archE910ELNS1_3gpuE8ELNS1_3repE0EEENS1_30default_config_static_selectorELNS0_4arch9wavefront6targetE0EEEvSR_.has_recursion, 0
	.set _ZN7rocprim17ROCPRIM_400000_NS6detail17trampoline_kernelINS0_14default_configENS1_32segmented_reduce_config_selectorIN3c104HalfEEEZNS1_21segmented_reduce_implIS3_PKS6_PS6_PKiS6_N6hipcub16HIPCUB_304000_NS6detail27convert_result_type_wrapperISA_SB_N2at6native12_GLOBAL__N_19CustomMaxEEEEE10hipError_tPvRmT0_T1_jT2_SS_T4_T3_P12ihipStream_tbEUlT_E_NS1_11comp_targetILNS1_3genE4ELNS1_11target_archE910ELNS1_3gpuE8ELNS1_3repE0EEENS1_30default_config_static_selectorELNS0_4arch9wavefront6targetE0EEEvSR_.has_indirect_call, 0
	.section	.AMDGPU.csdata,"",@progbits
; Kernel info:
; codeLenInByte = 0
; TotalNumSgprs: 0
; NumVgprs: 0
; ScratchSize: 0
; MemoryBound: 0
; FloatMode: 240
; IeeeMode: 1
; LDSByteSize: 0 bytes/workgroup (compile time only)
; SGPRBlocks: 0
; VGPRBlocks: 0
; NumSGPRsForWavesPerEU: 1
; NumVGPRsForWavesPerEU: 1
; NamedBarCnt: 0
; Occupancy: 16
; WaveLimiterHint : 0
; COMPUTE_PGM_RSRC2:SCRATCH_EN: 0
; COMPUTE_PGM_RSRC2:USER_SGPR: 2
; COMPUTE_PGM_RSRC2:TRAP_HANDLER: 0
; COMPUTE_PGM_RSRC2:TGID_X_EN: 1
; COMPUTE_PGM_RSRC2:TGID_Y_EN: 0
; COMPUTE_PGM_RSRC2:TGID_Z_EN: 0
; COMPUTE_PGM_RSRC2:TIDIG_COMP_CNT: 0
	.section	.text._ZN7rocprim17ROCPRIM_400000_NS6detail17trampoline_kernelINS0_14default_configENS1_32segmented_reduce_config_selectorIN3c104HalfEEEZNS1_21segmented_reduce_implIS3_PKS6_PS6_PKiS6_N6hipcub16HIPCUB_304000_NS6detail27convert_result_type_wrapperISA_SB_N2at6native12_GLOBAL__N_19CustomMaxEEEEE10hipError_tPvRmT0_T1_jT2_SS_T4_T3_P12ihipStream_tbEUlT_E_NS1_11comp_targetILNS1_3genE3ELNS1_11target_archE908ELNS1_3gpuE7ELNS1_3repE0EEENS1_30default_config_static_selectorELNS0_4arch9wavefront6targetE0EEEvSR_,"axG",@progbits,_ZN7rocprim17ROCPRIM_400000_NS6detail17trampoline_kernelINS0_14default_configENS1_32segmented_reduce_config_selectorIN3c104HalfEEEZNS1_21segmented_reduce_implIS3_PKS6_PS6_PKiS6_N6hipcub16HIPCUB_304000_NS6detail27convert_result_type_wrapperISA_SB_N2at6native12_GLOBAL__N_19CustomMaxEEEEE10hipError_tPvRmT0_T1_jT2_SS_T4_T3_P12ihipStream_tbEUlT_E_NS1_11comp_targetILNS1_3genE3ELNS1_11target_archE908ELNS1_3gpuE7ELNS1_3repE0EEENS1_30default_config_static_selectorELNS0_4arch9wavefront6targetE0EEEvSR_,comdat
	.globl	_ZN7rocprim17ROCPRIM_400000_NS6detail17trampoline_kernelINS0_14default_configENS1_32segmented_reduce_config_selectorIN3c104HalfEEEZNS1_21segmented_reduce_implIS3_PKS6_PS6_PKiS6_N6hipcub16HIPCUB_304000_NS6detail27convert_result_type_wrapperISA_SB_N2at6native12_GLOBAL__N_19CustomMaxEEEEE10hipError_tPvRmT0_T1_jT2_SS_T4_T3_P12ihipStream_tbEUlT_E_NS1_11comp_targetILNS1_3genE3ELNS1_11target_archE908ELNS1_3gpuE7ELNS1_3repE0EEENS1_30default_config_static_selectorELNS0_4arch9wavefront6targetE0EEEvSR_ ; -- Begin function _ZN7rocprim17ROCPRIM_400000_NS6detail17trampoline_kernelINS0_14default_configENS1_32segmented_reduce_config_selectorIN3c104HalfEEEZNS1_21segmented_reduce_implIS3_PKS6_PS6_PKiS6_N6hipcub16HIPCUB_304000_NS6detail27convert_result_type_wrapperISA_SB_N2at6native12_GLOBAL__N_19CustomMaxEEEEE10hipError_tPvRmT0_T1_jT2_SS_T4_T3_P12ihipStream_tbEUlT_E_NS1_11comp_targetILNS1_3genE3ELNS1_11target_archE908ELNS1_3gpuE7ELNS1_3repE0EEENS1_30default_config_static_selectorELNS0_4arch9wavefront6targetE0EEEvSR_
	.p2align	8
	.type	_ZN7rocprim17ROCPRIM_400000_NS6detail17trampoline_kernelINS0_14default_configENS1_32segmented_reduce_config_selectorIN3c104HalfEEEZNS1_21segmented_reduce_implIS3_PKS6_PS6_PKiS6_N6hipcub16HIPCUB_304000_NS6detail27convert_result_type_wrapperISA_SB_N2at6native12_GLOBAL__N_19CustomMaxEEEEE10hipError_tPvRmT0_T1_jT2_SS_T4_T3_P12ihipStream_tbEUlT_E_NS1_11comp_targetILNS1_3genE3ELNS1_11target_archE908ELNS1_3gpuE7ELNS1_3repE0EEENS1_30default_config_static_selectorELNS0_4arch9wavefront6targetE0EEEvSR_,@function
_ZN7rocprim17ROCPRIM_400000_NS6detail17trampoline_kernelINS0_14default_configENS1_32segmented_reduce_config_selectorIN3c104HalfEEEZNS1_21segmented_reduce_implIS3_PKS6_PS6_PKiS6_N6hipcub16HIPCUB_304000_NS6detail27convert_result_type_wrapperISA_SB_N2at6native12_GLOBAL__N_19CustomMaxEEEEE10hipError_tPvRmT0_T1_jT2_SS_T4_T3_P12ihipStream_tbEUlT_E_NS1_11comp_targetILNS1_3genE3ELNS1_11target_archE908ELNS1_3gpuE7ELNS1_3repE0EEENS1_30default_config_static_selectorELNS0_4arch9wavefront6targetE0EEEvSR_: ; @_ZN7rocprim17ROCPRIM_400000_NS6detail17trampoline_kernelINS0_14default_configENS1_32segmented_reduce_config_selectorIN3c104HalfEEEZNS1_21segmented_reduce_implIS3_PKS6_PS6_PKiS6_N6hipcub16HIPCUB_304000_NS6detail27convert_result_type_wrapperISA_SB_N2at6native12_GLOBAL__N_19CustomMaxEEEEE10hipError_tPvRmT0_T1_jT2_SS_T4_T3_P12ihipStream_tbEUlT_E_NS1_11comp_targetILNS1_3genE3ELNS1_11target_archE908ELNS1_3gpuE7ELNS1_3repE0EEENS1_30default_config_static_selectorELNS0_4arch9wavefront6targetE0EEEvSR_
; %bb.0:
	.section	.rodata,"a",@progbits
	.p2align	6, 0x0
	.amdhsa_kernel _ZN7rocprim17ROCPRIM_400000_NS6detail17trampoline_kernelINS0_14default_configENS1_32segmented_reduce_config_selectorIN3c104HalfEEEZNS1_21segmented_reduce_implIS3_PKS6_PS6_PKiS6_N6hipcub16HIPCUB_304000_NS6detail27convert_result_type_wrapperISA_SB_N2at6native12_GLOBAL__N_19CustomMaxEEEEE10hipError_tPvRmT0_T1_jT2_SS_T4_T3_P12ihipStream_tbEUlT_E_NS1_11comp_targetILNS1_3genE3ELNS1_11target_archE908ELNS1_3gpuE7ELNS1_3repE0EEENS1_30default_config_static_selectorELNS0_4arch9wavefront6targetE0EEEvSR_
		.amdhsa_group_segment_fixed_size 0
		.amdhsa_private_segment_fixed_size 0
		.amdhsa_kernarg_size 48
		.amdhsa_user_sgpr_count 2
		.amdhsa_user_sgpr_dispatch_ptr 0
		.amdhsa_user_sgpr_queue_ptr 0
		.amdhsa_user_sgpr_kernarg_segment_ptr 1
		.amdhsa_user_sgpr_dispatch_id 0
		.amdhsa_user_sgpr_kernarg_preload_length 0
		.amdhsa_user_sgpr_kernarg_preload_offset 0
		.amdhsa_user_sgpr_private_segment_size 0
		.amdhsa_wavefront_size32 1
		.amdhsa_uses_dynamic_stack 0
		.amdhsa_enable_private_segment 0
		.amdhsa_system_sgpr_workgroup_id_x 1
		.amdhsa_system_sgpr_workgroup_id_y 0
		.amdhsa_system_sgpr_workgroup_id_z 0
		.amdhsa_system_sgpr_workgroup_info 0
		.amdhsa_system_vgpr_workitem_id 0
		.amdhsa_next_free_vgpr 1
		.amdhsa_next_free_sgpr 1
		.amdhsa_named_barrier_count 0
		.amdhsa_reserve_vcc 0
		.amdhsa_float_round_mode_32 0
		.amdhsa_float_round_mode_16_64 0
		.amdhsa_float_denorm_mode_32 3
		.amdhsa_float_denorm_mode_16_64 3
		.amdhsa_fp16_overflow 0
		.amdhsa_memory_ordered 1
		.amdhsa_forward_progress 1
		.amdhsa_inst_pref_size 0
		.amdhsa_round_robin_scheduling 0
		.amdhsa_exception_fp_ieee_invalid_op 0
		.amdhsa_exception_fp_denorm_src 0
		.amdhsa_exception_fp_ieee_div_zero 0
		.amdhsa_exception_fp_ieee_overflow 0
		.amdhsa_exception_fp_ieee_underflow 0
		.amdhsa_exception_fp_ieee_inexact 0
		.amdhsa_exception_int_div_zero 0
	.end_amdhsa_kernel
	.section	.text._ZN7rocprim17ROCPRIM_400000_NS6detail17trampoline_kernelINS0_14default_configENS1_32segmented_reduce_config_selectorIN3c104HalfEEEZNS1_21segmented_reduce_implIS3_PKS6_PS6_PKiS6_N6hipcub16HIPCUB_304000_NS6detail27convert_result_type_wrapperISA_SB_N2at6native12_GLOBAL__N_19CustomMaxEEEEE10hipError_tPvRmT0_T1_jT2_SS_T4_T3_P12ihipStream_tbEUlT_E_NS1_11comp_targetILNS1_3genE3ELNS1_11target_archE908ELNS1_3gpuE7ELNS1_3repE0EEENS1_30default_config_static_selectorELNS0_4arch9wavefront6targetE0EEEvSR_,"axG",@progbits,_ZN7rocprim17ROCPRIM_400000_NS6detail17trampoline_kernelINS0_14default_configENS1_32segmented_reduce_config_selectorIN3c104HalfEEEZNS1_21segmented_reduce_implIS3_PKS6_PS6_PKiS6_N6hipcub16HIPCUB_304000_NS6detail27convert_result_type_wrapperISA_SB_N2at6native12_GLOBAL__N_19CustomMaxEEEEE10hipError_tPvRmT0_T1_jT2_SS_T4_T3_P12ihipStream_tbEUlT_E_NS1_11comp_targetILNS1_3genE3ELNS1_11target_archE908ELNS1_3gpuE7ELNS1_3repE0EEENS1_30default_config_static_selectorELNS0_4arch9wavefront6targetE0EEEvSR_,comdat
.Lfunc_end81:
	.size	_ZN7rocprim17ROCPRIM_400000_NS6detail17trampoline_kernelINS0_14default_configENS1_32segmented_reduce_config_selectorIN3c104HalfEEEZNS1_21segmented_reduce_implIS3_PKS6_PS6_PKiS6_N6hipcub16HIPCUB_304000_NS6detail27convert_result_type_wrapperISA_SB_N2at6native12_GLOBAL__N_19CustomMaxEEEEE10hipError_tPvRmT0_T1_jT2_SS_T4_T3_P12ihipStream_tbEUlT_E_NS1_11comp_targetILNS1_3genE3ELNS1_11target_archE908ELNS1_3gpuE7ELNS1_3repE0EEENS1_30default_config_static_selectorELNS0_4arch9wavefront6targetE0EEEvSR_, .Lfunc_end81-_ZN7rocprim17ROCPRIM_400000_NS6detail17trampoline_kernelINS0_14default_configENS1_32segmented_reduce_config_selectorIN3c104HalfEEEZNS1_21segmented_reduce_implIS3_PKS6_PS6_PKiS6_N6hipcub16HIPCUB_304000_NS6detail27convert_result_type_wrapperISA_SB_N2at6native12_GLOBAL__N_19CustomMaxEEEEE10hipError_tPvRmT0_T1_jT2_SS_T4_T3_P12ihipStream_tbEUlT_E_NS1_11comp_targetILNS1_3genE3ELNS1_11target_archE908ELNS1_3gpuE7ELNS1_3repE0EEENS1_30default_config_static_selectorELNS0_4arch9wavefront6targetE0EEEvSR_
                                        ; -- End function
	.set _ZN7rocprim17ROCPRIM_400000_NS6detail17trampoline_kernelINS0_14default_configENS1_32segmented_reduce_config_selectorIN3c104HalfEEEZNS1_21segmented_reduce_implIS3_PKS6_PS6_PKiS6_N6hipcub16HIPCUB_304000_NS6detail27convert_result_type_wrapperISA_SB_N2at6native12_GLOBAL__N_19CustomMaxEEEEE10hipError_tPvRmT0_T1_jT2_SS_T4_T3_P12ihipStream_tbEUlT_E_NS1_11comp_targetILNS1_3genE3ELNS1_11target_archE908ELNS1_3gpuE7ELNS1_3repE0EEENS1_30default_config_static_selectorELNS0_4arch9wavefront6targetE0EEEvSR_.num_vgpr, 0
	.set _ZN7rocprim17ROCPRIM_400000_NS6detail17trampoline_kernelINS0_14default_configENS1_32segmented_reduce_config_selectorIN3c104HalfEEEZNS1_21segmented_reduce_implIS3_PKS6_PS6_PKiS6_N6hipcub16HIPCUB_304000_NS6detail27convert_result_type_wrapperISA_SB_N2at6native12_GLOBAL__N_19CustomMaxEEEEE10hipError_tPvRmT0_T1_jT2_SS_T4_T3_P12ihipStream_tbEUlT_E_NS1_11comp_targetILNS1_3genE3ELNS1_11target_archE908ELNS1_3gpuE7ELNS1_3repE0EEENS1_30default_config_static_selectorELNS0_4arch9wavefront6targetE0EEEvSR_.num_agpr, 0
	.set _ZN7rocprim17ROCPRIM_400000_NS6detail17trampoline_kernelINS0_14default_configENS1_32segmented_reduce_config_selectorIN3c104HalfEEEZNS1_21segmented_reduce_implIS3_PKS6_PS6_PKiS6_N6hipcub16HIPCUB_304000_NS6detail27convert_result_type_wrapperISA_SB_N2at6native12_GLOBAL__N_19CustomMaxEEEEE10hipError_tPvRmT0_T1_jT2_SS_T4_T3_P12ihipStream_tbEUlT_E_NS1_11comp_targetILNS1_3genE3ELNS1_11target_archE908ELNS1_3gpuE7ELNS1_3repE0EEENS1_30default_config_static_selectorELNS0_4arch9wavefront6targetE0EEEvSR_.numbered_sgpr, 0
	.set _ZN7rocprim17ROCPRIM_400000_NS6detail17trampoline_kernelINS0_14default_configENS1_32segmented_reduce_config_selectorIN3c104HalfEEEZNS1_21segmented_reduce_implIS3_PKS6_PS6_PKiS6_N6hipcub16HIPCUB_304000_NS6detail27convert_result_type_wrapperISA_SB_N2at6native12_GLOBAL__N_19CustomMaxEEEEE10hipError_tPvRmT0_T1_jT2_SS_T4_T3_P12ihipStream_tbEUlT_E_NS1_11comp_targetILNS1_3genE3ELNS1_11target_archE908ELNS1_3gpuE7ELNS1_3repE0EEENS1_30default_config_static_selectorELNS0_4arch9wavefront6targetE0EEEvSR_.num_named_barrier, 0
	.set _ZN7rocprim17ROCPRIM_400000_NS6detail17trampoline_kernelINS0_14default_configENS1_32segmented_reduce_config_selectorIN3c104HalfEEEZNS1_21segmented_reduce_implIS3_PKS6_PS6_PKiS6_N6hipcub16HIPCUB_304000_NS6detail27convert_result_type_wrapperISA_SB_N2at6native12_GLOBAL__N_19CustomMaxEEEEE10hipError_tPvRmT0_T1_jT2_SS_T4_T3_P12ihipStream_tbEUlT_E_NS1_11comp_targetILNS1_3genE3ELNS1_11target_archE908ELNS1_3gpuE7ELNS1_3repE0EEENS1_30default_config_static_selectorELNS0_4arch9wavefront6targetE0EEEvSR_.private_seg_size, 0
	.set _ZN7rocprim17ROCPRIM_400000_NS6detail17trampoline_kernelINS0_14default_configENS1_32segmented_reduce_config_selectorIN3c104HalfEEEZNS1_21segmented_reduce_implIS3_PKS6_PS6_PKiS6_N6hipcub16HIPCUB_304000_NS6detail27convert_result_type_wrapperISA_SB_N2at6native12_GLOBAL__N_19CustomMaxEEEEE10hipError_tPvRmT0_T1_jT2_SS_T4_T3_P12ihipStream_tbEUlT_E_NS1_11comp_targetILNS1_3genE3ELNS1_11target_archE908ELNS1_3gpuE7ELNS1_3repE0EEENS1_30default_config_static_selectorELNS0_4arch9wavefront6targetE0EEEvSR_.uses_vcc, 0
	.set _ZN7rocprim17ROCPRIM_400000_NS6detail17trampoline_kernelINS0_14default_configENS1_32segmented_reduce_config_selectorIN3c104HalfEEEZNS1_21segmented_reduce_implIS3_PKS6_PS6_PKiS6_N6hipcub16HIPCUB_304000_NS6detail27convert_result_type_wrapperISA_SB_N2at6native12_GLOBAL__N_19CustomMaxEEEEE10hipError_tPvRmT0_T1_jT2_SS_T4_T3_P12ihipStream_tbEUlT_E_NS1_11comp_targetILNS1_3genE3ELNS1_11target_archE908ELNS1_3gpuE7ELNS1_3repE0EEENS1_30default_config_static_selectorELNS0_4arch9wavefront6targetE0EEEvSR_.uses_flat_scratch, 0
	.set _ZN7rocprim17ROCPRIM_400000_NS6detail17trampoline_kernelINS0_14default_configENS1_32segmented_reduce_config_selectorIN3c104HalfEEEZNS1_21segmented_reduce_implIS3_PKS6_PS6_PKiS6_N6hipcub16HIPCUB_304000_NS6detail27convert_result_type_wrapperISA_SB_N2at6native12_GLOBAL__N_19CustomMaxEEEEE10hipError_tPvRmT0_T1_jT2_SS_T4_T3_P12ihipStream_tbEUlT_E_NS1_11comp_targetILNS1_3genE3ELNS1_11target_archE908ELNS1_3gpuE7ELNS1_3repE0EEENS1_30default_config_static_selectorELNS0_4arch9wavefront6targetE0EEEvSR_.has_dyn_sized_stack, 0
	.set _ZN7rocprim17ROCPRIM_400000_NS6detail17trampoline_kernelINS0_14default_configENS1_32segmented_reduce_config_selectorIN3c104HalfEEEZNS1_21segmented_reduce_implIS3_PKS6_PS6_PKiS6_N6hipcub16HIPCUB_304000_NS6detail27convert_result_type_wrapperISA_SB_N2at6native12_GLOBAL__N_19CustomMaxEEEEE10hipError_tPvRmT0_T1_jT2_SS_T4_T3_P12ihipStream_tbEUlT_E_NS1_11comp_targetILNS1_3genE3ELNS1_11target_archE908ELNS1_3gpuE7ELNS1_3repE0EEENS1_30default_config_static_selectorELNS0_4arch9wavefront6targetE0EEEvSR_.has_recursion, 0
	.set _ZN7rocprim17ROCPRIM_400000_NS6detail17trampoline_kernelINS0_14default_configENS1_32segmented_reduce_config_selectorIN3c104HalfEEEZNS1_21segmented_reduce_implIS3_PKS6_PS6_PKiS6_N6hipcub16HIPCUB_304000_NS6detail27convert_result_type_wrapperISA_SB_N2at6native12_GLOBAL__N_19CustomMaxEEEEE10hipError_tPvRmT0_T1_jT2_SS_T4_T3_P12ihipStream_tbEUlT_E_NS1_11comp_targetILNS1_3genE3ELNS1_11target_archE908ELNS1_3gpuE7ELNS1_3repE0EEENS1_30default_config_static_selectorELNS0_4arch9wavefront6targetE0EEEvSR_.has_indirect_call, 0
	.section	.AMDGPU.csdata,"",@progbits
; Kernel info:
; codeLenInByte = 0
; TotalNumSgprs: 0
; NumVgprs: 0
; ScratchSize: 0
; MemoryBound: 0
; FloatMode: 240
; IeeeMode: 1
; LDSByteSize: 0 bytes/workgroup (compile time only)
; SGPRBlocks: 0
; VGPRBlocks: 0
; NumSGPRsForWavesPerEU: 1
; NumVGPRsForWavesPerEU: 1
; NamedBarCnt: 0
; Occupancy: 16
; WaveLimiterHint : 0
; COMPUTE_PGM_RSRC2:SCRATCH_EN: 0
; COMPUTE_PGM_RSRC2:USER_SGPR: 2
; COMPUTE_PGM_RSRC2:TRAP_HANDLER: 0
; COMPUTE_PGM_RSRC2:TGID_X_EN: 1
; COMPUTE_PGM_RSRC2:TGID_Y_EN: 0
; COMPUTE_PGM_RSRC2:TGID_Z_EN: 0
; COMPUTE_PGM_RSRC2:TIDIG_COMP_CNT: 0
	.section	.text._ZN7rocprim17ROCPRIM_400000_NS6detail17trampoline_kernelINS0_14default_configENS1_32segmented_reduce_config_selectorIN3c104HalfEEEZNS1_21segmented_reduce_implIS3_PKS6_PS6_PKiS6_N6hipcub16HIPCUB_304000_NS6detail27convert_result_type_wrapperISA_SB_N2at6native12_GLOBAL__N_19CustomMaxEEEEE10hipError_tPvRmT0_T1_jT2_SS_T4_T3_P12ihipStream_tbEUlT_E_NS1_11comp_targetILNS1_3genE2ELNS1_11target_archE906ELNS1_3gpuE6ELNS1_3repE0EEENS1_30default_config_static_selectorELNS0_4arch9wavefront6targetE0EEEvSR_,"axG",@progbits,_ZN7rocprim17ROCPRIM_400000_NS6detail17trampoline_kernelINS0_14default_configENS1_32segmented_reduce_config_selectorIN3c104HalfEEEZNS1_21segmented_reduce_implIS3_PKS6_PS6_PKiS6_N6hipcub16HIPCUB_304000_NS6detail27convert_result_type_wrapperISA_SB_N2at6native12_GLOBAL__N_19CustomMaxEEEEE10hipError_tPvRmT0_T1_jT2_SS_T4_T3_P12ihipStream_tbEUlT_E_NS1_11comp_targetILNS1_3genE2ELNS1_11target_archE906ELNS1_3gpuE6ELNS1_3repE0EEENS1_30default_config_static_selectorELNS0_4arch9wavefront6targetE0EEEvSR_,comdat
	.globl	_ZN7rocprim17ROCPRIM_400000_NS6detail17trampoline_kernelINS0_14default_configENS1_32segmented_reduce_config_selectorIN3c104HalfEEEZNS1_21segmented_reduce_implIS3_PKS6_PS6_PKiS6_N6hipcub16HIPCUB_304000_NS6detail27convert_result_type_wrapperISA_SB_N2at6native12_GLOBAL__N_19CustomMaxEEEEE10hipError_tPvRmT0_T1_jT2_SS_T4_T3_P12ihipStream_tbEUlT_E_NS1_11comp_targetILNS1_3genE2ELNS1_11target_archE906ELNS1_3gpuE6ELNS1_3repE0EEENS1_30default_config_static_selectorELNS0_4arch9wavefront6targetE0EEEvSR_ ; -- Begin function _ZN7rocprim17ROCPRIM_400000_NS6detail17trampoline_kernelINS0_14default_configENS1_32segmented_reduce_config_selectorIN3c104HalfEEEZNS1_21segmented_reduce_implIS3_PKS6_PS6_PKiS6_N6hipcub16HIPCUB_304000_NS6detail27convert_result_type_wrapperISA_SB_N2at6native12_GLOBAL__N_19CustomMaxEEEEE10hipError_tPvRmT0_T1_jT2_SS_T4_T3_P12ihipStream_tbEUlT_E_NS1_11comp_targetILNS1_3genE2ELNS1_11target_archE906ELNS1_3gpuE6ELNS1_3repE0EEENS1_30default_config_static_selectorELNS0_4arch9wavefront6targetE0EEEvSR_
	.p2align	8
	.type	_ZN7rocprim17ROCPRIM_400000_NS6detail17trampoline_kernelINS0_14default_configENS1_32segmented_reduce_config_selectorIN3c104HalfEEEZNS1_21segmented_reduce_implIS3_PKS6_PS6_PKiS6_N6hipcub16HIPCUB_304000_NS6detail27convert_result_type_wrapperISA_SB_N2at6native12_GLOBAL__N_19CustomMaxEEEEE10hipError_tPvRmT0_T1_jT2_SS_T4_T3_P12ihipStream_tbEUlT_E_NS1_11comp_targetILNS1_3genE2ELNS1_11target_archE906ELNS1_3gpuE6ELNS1_3repE0EEENS1_30default_config_static_selectorELNS0_4arch9wavefront6targetE0EEEvSR_,@function
_ZN7rocprim17ROCPRIM_400000_NS6detail17trampoline_kernelINS0_14default_configENS1_32segmented_reduce_config_selectorIN3c104HalfEEEZNS1_21segmented_reduce_implIS3_PKS6_PS6_PKiS6_N6hipcub16HIPCUB_304000_NS6detail27convert_result_type_wrapperISA_SB_N2at6native12_GLOBAL__N_19CustomMaxEEEEE10hipError_tPvRmT0_T1_jT2_SS_T4_T3_P12ihipStream_tbEUlT_E_NS1_11comp_targetILNS1_3genE2ELNS1_11target_archE906ELNS1_3gpuE6ELNS1_3repE0EEENS1_30default_config_static_selectorELNS0_4arch9wavefront6targetE0EEEvSR_: ; @_ZN7rocprim17ROCPRIM_400000_NS6detail17trampoline_kernelINS0_14default_configENS1_32segmented_reduce_config_selectorIN3c104HalfEEEZNS1_21segmented_reduce_implIS3_PKS6_PS6_PKiS6_N6hipcub16HIPCUB_304000_NS6detail27convert_result_type_wrapperISA_SB_N2at6native12_GLOBAL__N_19CustomMaxEEEEE10hipError_tPvRmT0_T1_jT2_SS_T4_T3_P12ihipStream_tbEUlT_E_NS1_11comp_targetILNS1_3genE2ELNS1_11target_archE906ELNS1_3gpuE6ELNS1_3repE0EEENS1_30default_config_static_selectorELNS0_4arch9wavefront6targetE0EEEvSR_
; %bb.0:
	.section	.rodata,"a",@progbits
	.p2align	6, 0x0
	.amdhsa_kernel _ZN7rocprim17ROCPRIM_400000_NS6detail17trampoline_kernelINS0_14default_configENS1_32segmented_reduce_config_selectorIN3c104HalfEEEZNS1_21segmented_reduce_implIS3_PKS6_PS6_PKiS6_N6hipcub16HIPCUB_304000_NS6detail27convert_result_type_wrapperISA_SB_N2at6native12_GLOBAL__N_19CustomMaxEEEEE10hipError_tPvRmT0_T1_jT2_SS_T4_T3_P12ihipStream_tbEUlT_E_NS1_11comp_targetILNS1_3genE2ELNS1_11target_archE906ELNS1_3gpuE6ELNS1_3repE0EEENS1_30default_config_static_selectorELNS0_4arch9wavefront6targetE0EEEvSR_
		.amdhsa_group_segment_fixed_size 0
		.amdhsa_private_segment_fixed_size 0
		.amdhsa_kernarg_size 48
		.amdhsa_user_sgpr_count 2
		.amdhsa_user_sgpr_dispatch_ptr 0
		.amdhsa_user_sgpr_queue_ptr 0
		.amdhsa_user_sgpr_kernarg_segment_ptr 1
		.amdhsa_user_sgpr_dispatch_id 0
		.amdhsa_user_sgpr_kernarg_preload_length 0
		.amdhsa_user_sgpr_kernarg_preload_offset 0
		.amdhsa_user_sgpr_private_segment_size 0
		.amdhsa_wavefront_size32 1
		.amdhsa_uses_dynamic_stack 0
		.amdhsa_enable_private_segment 0
		.amdhsa_system_sgpr_workgroup_id_x 1
		.amdhsa_system_sgpr_workgroup_id_y 0
		.amdhsa_system_sgpr_workgroup_id_z 0
		.amdhsa_system_sgpr_workgroup_info 0
		.amdhsa_system_vgpr_workitem_id 0
		.amdhsa_next_free_vgpr 1
		.amdhsa_next_free_sgpr 1
		.amdhsa_named_barrier_count 0
		.amdhsa_reserve_vcc 0
		.amdhsa_float_round_mode_32 0
		.amdhsa_float_round_mode_16_64 0
		.amdhsa_float_denorm_mode_32 3
		.amdhsa_float_denorm_mode_16_64 3
		.amdhsa_fp16_overflow 0
		.amdhsa_memory_ordered 1
		.amdhsa_forward_progress 1
		.amdhsa_inst_pref_size 0
		.amdhsa_round_robin_scheduling 0
		.amdhsa_exception_fp_ieee_invalid_op 0
		.amdhsa_exception_fp_denorm_src 0
		.amdhsa_exception_fp_ieee_div_zero 0
		.amdhsa_exception_fp_ieee_overflow 0
		.amdhsa_exception_fp_ieee_underflow 0
		.amdhsa_exception_fp_ieee_inexact 0
		.amdhsa_exception_int_div_zero 0
	.end_amdhsa_kernel
	.section	.text._ZN7rocprim17ROCPRIM_400000_NS6detail17trampoline_kernelINS0_14default_configENS1_32segmented_reduce_config_selectorIN3c104HalfEEEZNS1_21segmented_reduce_implIS3_PKS6_PS6_PKiS6_N6hipcub16HIPCUB_304000_NS6detail27convert_result_type_wrapperISA_SB_N2at6native12_GLOBAL__N_19CustomMaxEEEEE10hipError_tPvRmT0_T1_jT2_SS_T4_T3_P12ihipStream_tbEUlT_E_NS1_11comp_targetILNS1_3genE2ELNS1_11target_archE906ELNS1_3gpuE6ELNS1_3repE0EEENS1_30default_config_static_selectorELNS0_4arch9wavefront6targetE0EEEvSR_,"axG",@progbits,_ZN7rocprim17ROCPRIM_400000_NS6detail17trampoline_kernelINS0_14default_configENS1_32segmented_reduce_config_selectorIN3c104HalfEEEZNS1_21segmented_reduce_implIS3_PKS6_PS6_PKiS6_N6hipcub16HIPCUB_304000_NS6detail27convert_result_type_wrapperISA_SB_N2at6native12_GLOBAL__N_19CustomMaxEEEEE10hipError_tPvRmT0_T1_jT2_SS_T4_T3_P12ihipStream_tbEUlT_E_NS1_11comp_targetILNS1_3genE2ELNS1_11target_archE906ELNS1_3gpuE6ELNS1_3repE0EEENS1_30default_config_static_selectorELNS0_4arch9wavefront6targetE0EEEvSR_,comdat
.Lfunc_end82:
	.size	_ZN7rocprim17ROCPRIM_400000_NS6detail17trampoline_kernelINS0_14default_configENS1_32segmented_reduce_config_selectorIN3c104HalfEEEZNS1_21segmented_reduce_implIS3_PKS6_PS6_PKiS6_N6hipcub16HIPCUB_304000_NS6detail27convert_result_type_wrapperISA_SB_N2at6native12_GLOBAL__N_19CustomMaxEEEEE10hipError_tPvRmT0_T1_jT2_SS_T4_T3_P12ihipStream_tbEUlT_E_NS1_11comp_targetILNS1_3genE2ELNS1_11target_archE906ELNS1_3gpuE6ELNS1_3repE0EEENS1_30default_config_static_selectorELNS0_4arch9wavefront6targetE0EEEvSR_, .Lfunc_end82-_ZN7rocprim17ROCPRIM_400000_NS6detail17trampoline_kernelINS0_14default_configENS1_32segmented_reduce_config_selectorIN3c104HalfEEEZNS1_21segmented_reduce_implIS3_PKS6_PS6_PKiS6_N6hipcub16HIPCUB_304000_NS6detail27convert_result_type_wrapperISA_SB_N2at6native12_GLOBAL__N_19CustomMaxEEEEE10hipError_tPvRmT0_T1_jT2_SS_T4_T3_P12ihipStream_tbEUlT_E_NS1_11comp_targetILNS1_3genE2ELNS1_11target_archE906ELNS1_3gpuE6ELNS1_3repE0EEENS1_30default_config_static_selectorELNS0_4arch9wavefront6targetE0EEEvSR_
                                        ; -- End function
	.set _ZN7rocprim17ROCPRIM_400000_NS6detail17trampoline_kernelINS0_14default_configENS1_32segmented_reduce_config_selectorIN3c104HalfEEEZNS1_21segmented_reduce_implIS3_PKS6_PS6_PKiS6_N6hipcub16HIPCUB_304000_NS6detail27convert_result_type_wrapperISA_SB_N2at6native12_GLOBAL__N_19CustomMaxEEEEE10hipError_tPvRmT0_T1_jT2_SS_T4_T3_P12ihipStream_tbEUlT_E_NS1_11comp_targetILNS1_3genE2ELNS1_11target_archE906ELNS1_3gpuE6ELNS1_3repE0EEENS1_30default_config_static_selectorELNS0_4arch9wavefront6targetE0EEEvSR_.num_vgpr, 0
	.set _ZN7rocprim17ROCPRIM_400000_NS6detail17trampoline_kernelINS0_14default_configENS1_32segmented_reduce_config_selectorIN3c104HalfEEEZNS1_21segmented_reduce_implIS3_PKS6_PS6_PKiS6_N6hipcub16HIPCUB_304000_NS6detail27convert_result_type_wrapperISA_SB_N2at6native12_GLOBAL__N_19CustomMaxEEEEE10hipError_tPvRmT0_T1_jT2_SS_T4_T3_P12ihipStream_tbEUlT_E_NS1_11comp_targetILNS1_3genE2ELNS1_11target_archE906ELNS1_3gpuE6ELNS1_3repE0EEENS1_30default_config_static_selectorELNS0_4arch9wavefront6targetE0EEEvSR_.num_agpr, 0
	.set _ZN7rocprim17ROCPRIM_400000_NS6detail17trampoline_kernelINS0_14default_configENS1_32segmented_reduce_config_selectorIN3c104HalfEEEZNS1_21segmented_reduce_implIS3_PKS6_PS6_PKiS6_N6hipcub16HIPCUB_304000_NS6detail27convert_result_type_wrapperISA_SB_N2at6native12_GLOBAL__N_19CustomMaxEEEEE10hipError_tPvRmT0_T1_jT2_SS_T4_T3_P12ihipStream_tbEUlT_E_NS1_11comp_targetILNS1_3genE2ELNS1_11target_archE906ELNS1_3gpuE6ELNS1_3repE0EEENS1_30default_config_static_selectorELNS0_4arch9wavefront6targetE0EEEvSR_.numbered_sgpr, 0
	.set _ZN7rocprim17ROCPRIM_400000_NS6detail17trampoline_kernelINS0_14default_configENS1_32segmented_reduce_config_selectorIN3c104HalfEEEZNS1_21segmented_reduce_implIS3_PKS6_PS6_PKiS6_N6hipcub16HIPCUB_304000_NS6detail27convert_result_type_wrapperISA_SB_N2at6native12_GLOBAL__N_19CustomMaxEEEEE10hipError_tPvRmT0_T1_jT2_SS_T4_T3_P12ihipStream_tbEUlT_E_NS1_11comp_targetILNS1_3genE2ELNS1_11target_archE906ELNS1_3gpuE6ELNS1_3repE0EEENS1_30default_config_static_selectorELNS0_4arch9wavefront6targetE0EEEvSR_.num_named_barrier, 0
	.set _ZN7rocprim17ROCPRIM_400000_NS6detail17trampoline_kernelINS0_14default_configENS1_32segmented_reduce_config_selectorIN3c104HalfEEEZNS1_21segmented_reduce_implIS3_PKS6_PS6_PKiS6_N6hipcub16HIPCUB_304000_NS6detail27convert_result_type_wrapperISA_SB_N2at6native12_GLOBAL__N_19CustomMaxEEEEE10hipError_tPvRmT0_T1_jT2_SS_T4_T3_P12ihipStream_tbEUlT_E_NS1_11comp_targetILNS1_3genE2ELNS1_11target_archE906ELNS1_3gpuE6ELNS1_3repE0EEENS1_30default_config_static_selectorELNS0_4arch9wavefront6targetE0EEEvSR_.private_seg_size, 0
	.set _ZN7rocprim17ROCPRIM_400000_NS6detail17trampoline_kernelINS0_14default_configENS1_32segmented_reduce_config_selectorIN3c104HalfEEEZNS1_21segmented_reduce_implIS3_PKS6_PS6_PKiS6_N6hipcub16HIPCUB_304000_NS6detail27convert_result_type_wrapperISA_SB_N2at6native12_GLOBAL__N_19CustomMaxEEEEE10hipError_tPvRmT0_T1_jT2_SS_T4_T3_P12ihipStream_tbEUlT_E_NS1_11comp_targetILNS1_3genE2ELNS1_11target_archE906ELNS1_3gpuE6ELNS1_3repE0EEENS1_30default_config_static_selectorELNS0_4arch9wavefront6targetE0EEEvSR_.uses_vcc, 0
	.set _ZN7rocprim17ROCPRIM_400000_NS6detail17trampoline_kernelINS0_14default_configENS1_32segmented_reduce_config_selectorIN3c104HalfEEEZNS1_21segmented_reduce_implIS3_PKS6_PS6_PKiS6_N6hipcub16HIPCUB_304000_NS6detail27convert_result_type_wrapperISA_SB_N2at6native12_GLOBAL__N_19CustomMaxEEEEE10hipError_tPvRmT0_T1_jT2_SS_T4_T3_P12ihipStream_tbEUlT_E_NS1_11comp_targetILNS1_3genE2ELNS1_11target_archE906ELNS1_3gpuE6ELNS1_3repE0EEENS1_30default_config_static_selectorELNS0_4arch9wavefront6targetE0EEEvSR_.uses_flat_scratch, 0
	.set _ZN7rocprim17ROCPRIM_400000_NS6detail17trampoline_kernelINS0_14default_configENS1_32segmented_reduce_config_selectorIN3c104HalfEEEZNS1_21segmented_reduce_implIS3_PKS6_PS6_PKiS6_N6hipcub16HIPCUB_304000_NS6detail27convert_result_type_wrapperISA_SB_N2at6native12_GLOBAL__N_19CustomMaxEEEEE10hipError_tPvRmT0_T1_jT2_SS_T4_T3_P12ihipStream_tbEUlT_E_NS1_11comp_targetILNS1_3genE2ELNS1_11target_archE906ELNS1_3gpuE6ELNS1_3repE0EEENS1_30default_config_static_selectorELNS0_4arch9wavefront6targetE0EEEvSR_.has_dyn_sized_stack, 0
	.set _ZN7rocprim17ROCPRIM_400000_NS6detail17trampoline_kernelINS0_14default_configENS1_32segmented_reduce_config_selectorIN3c104HalfEEEZNS1_21segmented_reduce_implIS3_PKS6_PS6_PKiS6_N6hipcub16HIPCUB_304000_NS6detail27convert_result_type_wrapperISA_SB_N2at6native12_GLOBAL__N_19CustomMaxEEEEE10hipError_tPvRmT0_T1_jT2_SS_T4_T3_P12ihipStream_tbEUlT_E_NS1_11comp_targetILNS1_3genE2ELNS1_11target_archE906ELNS1_3gpuE6ELNS1_3repE0EEENS1_30default_config_static_selectorELNS0_4arch9wavefront6targetE0EEEvSR_.has_recursion, 0
	.set _ZN7rocprim17ROCPRIM_400000_NS6detail17trampoline_kernelINS0_14default_configENS1_32segmented_reduce_config_selectorIN3c104HalfEEEZNS1_21segmented_reduce_implIS3_PKS6_PS6_PKiS6_N6hipcub16HIPCUB_304000_NS6detail27convert_result_type_wrapperISA_SB_N2at6native12_GLOBAL__N_19CustomMaxEEEEE10hipError_tPvRmT0_T1_jT2_SS_T4_T3_P12ihipStream_tbEUlT_E_NS1_11comp_targetILNS1_3genE2ELNS1_11target_archE906ELNS1_3gpuE6ELNS1_3repE0EEENS1_30default_config_static_selectorELNS0_4arch9wavefront6targetE0EEEvSR_.has_indirect_call, 0
	.section	.AMDGPU.csdata,"",@progbits
; Kernel info:
; codeLenInByte = 0
; TotalNumSgprs: 0
; NumVgprs: 0
; ScratchSize: 0
; MemoryBound: 0
; FloatMode: 240
; IeeeMode: 1
; LDSByteSize: 0 bytes/workgroup (compile time only)
; SGPRBlocks: 0
; VGPRBlocks: 0
; NumSGPRsForWavesPerEU: 1
; NumVGPRsForWavesPerEU: 1
; NamedBarCnt: 0
; Occupancy: 16
; WaveLimiterHint : 0
; COMPUTE_PGM_RSRC2:SCRATCH_EN: 0
; COMPUTE_PGM_RSRC2:USER_SGPR: 2
; COMPUTE_PGM_RSRC2:TRAP_HANDLER: 0
; COMPUTE_PGM_RSRC2:TGID_X_EN: 1
; COMPUTE_PGM_RSRC2:TGID_Y_EN: 0
; COMPUTE_PGM_RSRC2:TGID_Z_EN: 0
; COMPUTE_PGM_RSRC2:TIDIG_COMP_CNT: 0
	.section	.text._ZN7rocprim17ROCPRIM_400000_NS6detail17trampoline_kernelINS0_14default_configENS1_32segmented_reduce_config_selectorIN3c104HalfEEEZNS1_21segmented_reduce_implIS3_PKS6_PS6_PKiS6_N6hipcub16HIPCUB_304000_NS6detail27convert_result_type_wrapperISA_SB_N2at6native12_GLOBAL__N_19CustomMaxEEEEE10hipError_tPvRmT0_T1_jT2_SS_T4_T3_P12ihipStream_tbEUlT_E_NS1_11comp_targetILNS1_3genE9ELNS1_11target_archE1100ELNS1_3gpuE3ELNS1_3repE0EEENS1_30default_config_static_selectorELNS0_4arch9wavefront6targetE0EEEvSR_,"axG",@progbits,_ZN7rocprim17ROCPRIM_400000_NS6detail17trampoline_kernelINS0_14default_configENS1_32segmented_reduce_config_selectorIN3c104HalfEEEZNS1_21segmented_reduce_implIS3_PKS6_PS6_PKiS6_N6hipcub16HIPCUB_304000_NS6detail27convert_result_type_wrapperISA_SB_N2at6native12_GLOBAL__N_19CustomMaxEEEEE10hipError_tPvRmT0_T1_jT2_SS_T4_T3_P12ihipStream_tbEUlT_E_NS1_11comp_targetILNS1_3genE9ELNS1_11target_archE1100ELNS1_3gpuE3ELNS1_3repE0EEENS1_30default_config_static_selectorELNS0_4arch9wavefront6targetE0EEEvSR_,comdat
	.globl	_ZN7rocprim17ROCPRIM_400000_NS6detail17trampoline_kernelINS0_14default_configENS1_32segmented_reduce_config_selectorIN3c104HalfEEEZNS1_21segmented_reduce_implIS3_PKS6_PS6_PKiS6_N6hipcub16HIPCUB_304000_NS6detail27convert_result_type_wrapperISA_SB_N2at6native12_GLOBAL__N_19CustomMaxEEEEE10hipError_tPvRmT0_T1_jT2_SS_T4_T3_P12ihipStream_tbEUlT_E_NS1_11comp_targetILNS1_3genE9ELNS1_11target_archE1100ELNS1_3gpuE3ELNS1_3repE0EEENS1_30default_config_static_selectorELNS0_4arch9wavefront6targetE0EEEvSR_ ; -- Begin function _ZN7rocprim17ROCPRIM_400000_NS6detail17trampoline_kernelINS0_14default_configENS1_32segmented_reduce_config_selectorIN3c104HalfEEEZNS1_21segmented_reduce_implIS3_PKS6_PS6_PKiS6_N6hipcub16HIPCUB_304000_NS6detail27convert_result_type_wrapperISA_SB_N2at6native12_GLOBAL__N_19CustomMaxEEEEE10hipError_tPvRmT0_T1_jT2_SS_T4_T3_P12ihipStream_tbEUlT_E_NS1_11comp_targetILNS1_3genE9ELNS1_11target_archE1100ELNS1_3gpuE3ELNS1_3repE0EEENS1_30default_config_static_selectorELNS0_4arch9wavefront6targetE0EEEvSR_
	.p2align	8
	.type	_ZN7rocprim17ROCPRIM_400000_NS6detail17trampoline_kernelINS0_14default_configENS1_32segmented_reduce_config_selectorIN3c104HalfEEEZNS1_21segmented_reduce_implIS3_PKS6_PS6_PKiS6_N6hipcub16HIPCUB_304000_NS6detail27convert_result_type_wrapperISA_SB_N2at6native12_GLOBAL__N_19CustomMaxEEEEE10hipError_tPvRmT0_T1_jT2_SS_T4_T3_P12ihipStream_tbEUlT_E_NS1_11comp_targetILNS1_3genE9ELNS1_11target_archE1100ELNS1_3gpuE3ELNS1_3repE0EEENS1_30default_config_static_selectorELNS0_4arch9wavefront6targetE0EEEvSR_,@function
_ZN7rocprim17ROCPRIM_400000_NS6detail17trampoline_kernelINS0_14default_configENS1_32segmented_reduce_config_selectorIN3c104HalfEEEZNS1_21segmented_reduce_implIS3_PKS6_PS6_PKiS6_N6hipcub16HIPCUB_304000_NS6detail27convert_result_type_wrapperISA_SB_N2at6native12_GLOBAL__N_19CustomMaxEEEEE10hipError_tPvRmT0_T1_jT2_SS_T4_T3_P12ihipStream_tbEUlT_E_NS1_11comp_targetILNS1_3genE9ELNS1_11target_archE1100ELNS1_3gpuE3ELNS1_3repE0EEENS1_30default_config_static_selectorELNS0_4arch9wavefront6targetE0EEEvSR_: ; @_ZN7rocprim17ROCPRIM_400000_NS6detail17trampoline_kernelINS0_14default_configENS1_32segmented_reduce_config_selectorIN3c104HalfEEEZNS1_21segmented_reduce_implIS3_PKS6_PS6_PKiS6_N6hipcub16HIPCUB_304000_NS6detail27convert_result_type_wrapperISA_SB_N2at6native12_GLOBAL__N_19CustomMaxEEEEE10hipError_tPvRmT0_T1_jT2_SS_T4_T3_P12ihipStream_tbEUlT_E_NS1_11comp_targetILNS1_3genE9ELNS1_11target_archE1100ELNS1_3gpuE3ELNS1_3repE0EEENS1_30default_config_static_selectorELNS0_4arch9wavefront6targetE0EEEvSR_
; %bb.0:
	.section	.rodata,"a",@progbits
	.p2align	6, 0x0
	.amdhsa_kernel _ZN7rocprim17ROCPRIM_400000_NS6detail17trampoline_kernelINS0_14default_configENS1_32segmented_reduce_config_selectorIN3c104HalfEEEZNS1_21segmented_reduce_implIS3_PKS6_PS6_PKiS6_N6hipcub16HIPCUB_304000_NS6detail27convert_result_type_wrapperISA_SB_N2at6native12_GLOBAL__N_19CustomMaxEEEEE10hipError_tPvRmT0_T1_jT2_SS_T4_T3_P12ihipStream_tbEUlT_E_NS1_11comp_targetILNS1_3genE9ELNS1_11target_archE1100ELNS1_3gpuE3ELNS1_3repE0EEENS1_30default_config_static_selectorELNS0_4arch9wavefront6targetE0EEEvSR_
		.amdhsa_group_segment_fixed_size 0
		.amdhsa_private_segment_fixed_size 0
		.amdhsa_kernarg_size 48
		.amdhsa_user_sgpr_count 2
		.amdhsa_user_sgpr_dispatch_ptr 0
		.amdhsa_user_sgpr_queue_ptr 0
		.amdhsa_user_sgpr_kernarg_segment_ptr 1
		.amdhsa_user_sgpr_dispatch_id 0
		.amdhsa_user_sgpr_kernarg_preload_length 0
		.amdhsa_user_sgpr_kernarg_preload_offset 0
		.amdhsa_user_sgpr_private_segment_size 0
		.amdhsa_wavefront_size32 1
		.amdhsa_uses_dynamic_stack 0
		.amdhsa_enable_private_segment 0
		.amdhsa_system_sgpr_workgroup_id_x 1
		.amdhsa_system_sgpr_workgroup_id_y 0
		.amdhsa_system_sgpr_workgroup_id_z 0
		.amdhsa_system_sgpr_workgroup_info 0
		.amdhsa_system_vgpr_workitem_id 0
		.amdhsa_next_free_vgpr 1
		.amdhsa_next_free_sgpr 1
		.amdhsa_named_barrier_count 0
		.amdhsa_reserve_vcc 0
		.amdhsa_float_round_mode_32 0
		.amdhsa_float_round_mode_16_64 0
		.amdhsa_float_denorm_mode_32 3
		.amdhsa_float_denorm_mode_16_64 3
		.amdhsa_fp16_overflow 0
		.amdhsa_memory_ordered 1
		.amdhsa_forward_progress 1
		.amdhsa_inst_pref_size 0
		.amdhsa_round_robin_scheduling 0
		.amdhsa_exception_fp_ieee_invalid_op 0
		.amdhsa_exception_fp_denorm_src 0
		.amdhsa_exception_fp_ieee_div_zero 0
		.amdhsa_exception_fp_ieee_overflow 0
		.amdhsa_exception_fp_ieee_underflow 0
		.amdhsa_exception_fp_ieee_inexact 0
		.amdhsa_exception_int_div_zero 0
	.end_amdhsa_kernel
	.section	.text._ZN7rocprim17ROCPRIM_400000_NS6detail17trampoline_kernelINS0_14default_configENS1_32segmented_reduce_config_selectorIN3c104HalfEEEZNS1_21segmented_reduce_implIS3_PKS6_PS6_PKiS6_N6hipcub16HIPCUB_304000_NS6detail27convert_result_type_wrapperISA_SB_N2at6native12_GLOBAL__N_19CustomMaxEEEEE10hipError_tPvRmT0_T1_jT2_SS_T4_T3_P12ihipStream_tbEUlT_E_NS1_11comp_targetILNS1_3genE9ELNS1_11target_archE1100ELNS1_3gpuE3ELNS1_3repE0EEENS1_30default_config_static_selectorELNS0_4arch9wavefront6targetE0EEEvSR_,"axG",@progbits,_ZN7rocprim17ROCPRIM_400000_NS6detail17trampoline_kernelINS0_14default_configENS1_32segmented_reduce_config_selectorIN3c104HalfEEEZNS1_21segmented_reduce_implIS3_PKS6_PS6_PKiS6_N6hipcub16HIPCUB_304000_NS6detail27convert_result_type_wrapperISA_SB_N2at6native12_GLOBAL__N_19CustomMaxEEEEE10hipError_tPvRmT0_T1_jT2_SS_T4_T3_P12ihipStream_tbEUlT_E_NS1_11comp_targetILNS1_3genE9ELNS1_11target_archE1100ELNS1_3gpuE3ELNS1_3repE0EEENS1_30default_config_static_selectorELNS0_4arch9wavefront6targetE0EEEvSR_,comdat
.Lfunc_end83:
	.size	_ZN7rocprim17ROCPRIM_400000_NS6detail17trampoline_kernelINS0_14default_configENS1_32segmented_reduce_config_selectorIN3c104HalfEEEZNS1_21segmented_reduce_implIS3_PKS6_PS6_PKiS6_N6hipcub16HIPCUB_304000_NS6detail27convert_result_type_wrapperISA_SB_N2at6native12_GLOBAL__N_19CustomMaxEEEEE10hipError_tPvRmT0_T1_jT2_SS_T4_T3_P12ihipStream_tbEUlT_E_NS1_11comp_targetILNS1_3genE9ELNS1_11target_archE1100ELNS1_3gpuE3ELNS1_3repE0EEENS1_30default_config_static_selectorELNS0_4arch9wavefront6targetE0EEEvSR_, .Lfunc_end83-_ZN7rocprim17ROCPRIM_400000_NS6detail17trampoline_kernelINS0_14default_configENS1_32segmented_reduce_config_selectorIN3c104HalfEEEZNS1_21segmented_reduce_implIS3_PKS6_PS6_PKiS6_N6hipcub16HIPCUB_304000_NS6detail27convert_result_type_wrapperISA_SB_N2at6native12_GLOBAL__N_19CustomMaxEEEEE10hipError_tPvRmT0_T1_jT2_SS_T4_T3_P12ihipStream_tbEUlT_E_NS1_11comp_targetILNS1_3genE9ELNS1_11target_archE1100ELNS1_3gpuE3ELNS1_3repE0EEENS1_30default_config_static_selectorELNS0_4arch9wavefront6targetE0EEEvSR_
                                        ; -- End function
	.set _ZN7rocprim17ROCPRIM_400000_NS6detail17trampoline_kernelINS0_14default_configENS1_32segmented_reduce_config_selectorIN3c104HalfEEEZNS1_21segmented_reduce_implIS3_PKS6_PS6_PKiS6_N6hipcub16HIPCUB_304000_NS6detail27convert_result_type_wrapperISA_SB_N2at6native12_GLOBAL__N_19CustomMaxEEEEE10hipError_tPvRmT0_T1_jT2_SS_T4_T3_P12ihipStream_tbEUlT_E_NS1_11comp_targetILNS1_3genE9ELNS1_11target_archE1100ELNS1_3gpuE3ELNS1_3repE0EEENS1_30default_config_static_selectorELNS0_4arch9wavefront6targetE0EEEvSR_.num_vgpr, 0
	.set _ZN7rocprim17ROCPRIM_400000_NS6detail17trampoline_kernelINS0_14default_configENS1_32segmented_reduce_config_selectorIN3c104HalfEEEZNS1_21segmented_reduce_implIS3_PKS6_PS6_PKiS6_N6hipcub16HIPCUB_304000_NS6detail27convert_result_type_wrapperISA_SB_N2at6native12_GLOBAL__N_19CustomMaxEEEEE10hipError_tPvRmT0_T1_jT2_SS_T4_T3_P12ihipStream_tbEUlT_E_NS1_11comp_targetILNS1_3genE9ELNS1_11target_archE1100ELNS1_3gpuE3ELNS1_3repE0EEENS1_30default_config_static_selectorELNS0_4arch9wavefront6targetE0EEEvSR_.num_agpr, 0
	.set _ZN7rocprim17ROCPRIM_400000_NS6detail17trampoline_kernelINS0_14default_configENS1_32segmented_reduce_config_selectorIN3c104HalfEEEZNS1_21segmented_reduce_implIS3_PKS6_PS6_PKiS6_N6hipcub16HIPCUB_304000_NS6detail27convert_result_type_wrapperISA_SB_N2at6native12_GLOBAL__N_19CustomMaxEEEEE10hipError_tPvRmT0_T1_jT2_SS_T4_T3_P12ihipStream_tbEUlT_E_NS1_11comp_targetILNS1_3genE9ELNS1_11target_archE1100ELNS1_3gpuE3ELNS1_3repE0EEENS1_30default_config_static_selectorELNS0_4arch9wavefront6targetE0EEEvSR_.numbered_sgpr, 0
	.set _ZN7rocprim17ROCPRIM_400000_NS6detail17trampoline_kernelINS0_14default_configENS1_32segmented_reduce_config_selectorIN3c104HalfEEEZNS1_21segmented_reduce_implIS3_PKS6_PS6_PKiS6_N6hipcub16HIPCUB_304000_NS6detail27convert_result_type_wrapperISA_SB_N2at6native12_GLOBAL__N_19CustomMaxEEEEE10hipError_tPvRmT0_T1_jT2_SS_T4_T3_P12ihipStream_tbEUlT_E_NS1_11comp_targetILNS1_3genE9ELNS1_11target_archE1100ELNS1_3gpuE3ELNS1_3repE0EEENS1_30default_config_static_selectorELNS0_4arch9wavefront6targetE0EEEvSR_.num_named_barrier, 0
	.set _ZN7rocprim17ROCPRIM_400000_NS6detail17trampoline_kernelINS0_14default_configENS1_32segmented_reduce_config_selectorIN3c104HalfEEEZNS1_21segmented_reduce_implIS3_PKS6_PS6_PKiS6_N6hipcub16HIPCUB_304000_NS6detail27convert_result_type_wrapperISA_SB_N2at6native12_GLOBAL__N_19CustomMaxEEEEE10hipError_tPvRmT0_T1_jT2_SS_T4_T3_P12ihipStream_tbEUlT_E_NS1_11comp_targetILNS1_3genE9ELNS1_11target_archE1100ELNS1_3gpuE3ELNS1_3repE0EEENS1_30default_config_static_selectorELNS0_4arch9wavefront6targetE0EEEvSR_.private_seg_size, 0
	.set _ZN7rocprim17ROCPRIM_400000_NS6detail17trampoline_kernelINS0_14default_configENS1_32segmented_reduce_config_selectorIN3c104HalfEEEZNS1_21segmented_reduce_implIS3_PKS6_PS6_PKiS6_N6hipcub16HIPCUB_304000_NS6detail27convert_result_type_wrapperISA_SB_N2at6native12_GLOBAL__N_19CustomMaxEEEEE10hipError_tPvRmT0_T1_jT2_SS_T4_T3_P12ihipStream_tbEUlT_E_NS1_11comp_targetILNS1_3genE9ELNS1_11target_archE1100ELNS1_3gpuE3ELNS1_3repE0EEENS1_30default_config_static_selectorELNS0_4arch9wavefront6targetE0EEEvSR_.uses_vcc, 0
	.set _ZN7rocprim17ROCPRIM_400000_NS6detail17trampoline_kernelINS0_14default_configENS1_32segmented_reduce_config_selectorIN3c104HalfEEEZNS1_21segmented_reduce_implIS3_PKS6_PS6_PKiS6_N6hipcub16HIPCUB_304000_NS6detail27convert_result_type_wrapperISA_SB_N2at6native12_GLOBAL__N_19CustomMaxEEEEE10hipError_tPvRmT0_T1_jT2_SS_T4_T3_P12ihipStream_tbEUlT_E_NS1_11comp_targetILNS1_3genE9ELNS1_11target_archE1100ELNS1_3gpuE3ELNS1_3repE0EEENS1_30default_config_static_selectorELNS0_4arch9wavefront6targetE0EEEvSR_.uses_flat_scratch, 0
	.set _ZN7rocprim17ROCPRIM_400000_NS6detail17trampoline_kernelINS0_14default_configENS1_32segmented_reduce_config_selectorIN3c104HalfEEEZNS1_21segmented_reduce_implIS3_PKS6_PS6_PKiS6_N6hipcub16HIPCUB_304000_NS6detail27convert_result_type_wrapperISA_SB_N2at6native12_GLOBAL__N_19CustomMaxEEEEE10hipError_tPvRmT0_T1_jT2_SS_T4_T3_P12ihipStream_tbEUlT_E_NS1_11comp_targetILNS1_3genE9ELNS1_11target_archE1100ELNS1_3gpuE3ELNS1_3repE0EEENS1_30default_config_static_selectorELNS0_4arch9wavefront6targetE0EEEvSR_.has_dyn_sized_stack, 0
	.set _ZN7rocprim17ROCPRIM_400000_NS6detail17trampoline_kernelINS0_14default_configENS1_32segmented_reduce_config_selectorIN3c104HalfEEEZNS1_21segmented_reduce_implIS3_PKS6_PS6_PKiS6_N6hipcub16HIPCUB_304000_NS6detail27convert_result_type_wrapperISA_SB_N2at6native12_GLOBAL__N_19CustomMaxEEEEE10hipError_tPvRmT0_T1_jT2_SS_T4_T3_P12ihipStream_tbEUlT_E_NS1_11comp_targetILNS1_3genE9ELNS1_11target_archE1100ELNS1_3gpuE3ELNS1_3repE0EEENS1_30default_config_static_selectorELNS0_4arch9wavefront6targetE0EEEvSR_.has_recursion, 0
	.set _ZN7rocprim17ROCPRIM_400000_NS6detail17trampoline_kernelINS0_14default_configENS1_32segmented_reduce_config_selectorIN3c104HalfEEEZNS1_21segmented_reduce_implIS3_PKS6_PS6_PKiS6_N6hipcub16HIPCUB_304000_NS6detail27convert_result_type_wrapperISA_SB_N2at6native12_GLOBAL__N_19CustomMaxEEEEE10hipError_tPvRmT0_T1_jT2_SS_T4_T3_P12ihipStream_tbEUlT_E_NS1_11comp_targetILNS1_3genE9ELNS1_11target_archE1100ELNS1_3gpuE3ELNS1_3repE0EEENS1_30default_config_static_selectorELNS0_4arch9wavefront6targetE0EEEvSR_.has_indirect_call, 0
	.section	.AMDGPU.csdata,"",@progbits
; Kernel info:
; codeLenInByte = 0
; TotalNumSgprs: 0
; NumVgprs: 0
; ScratchSize: 0
; MemoryBound: 0
; FloatMode: 240
; IeeeMode: 1
; LDSByteSize: 0 bytes/workgroup (compile time only)
; SGPRBlocks: 0
; VGPRBlocks: 0
; NumSGPRsForWavesPerEU: 1
; NumVGPRsForWavesPerEU: 1
; NamedBarCnt: 0
; Occupancy: 16
; WaveLimiterHint : 0
; COMPUTE_PGM_RSRC2:SCRATCH_EN: 0
; COMPUTE_PGM_RSRC2:USER_SGPR: 2
; COMPUTE_PGM_RSRC2:TRAP_HANDLER: 0
; COMPUTE_PGM_RSRC2:TGID_X_EN: 1
; COMPUTE_PGM_RSRC2:TGID_Y_EN: 0
; COMPUTE_PGM_RSRC2:TGID_Z_EN: 0
; COMPUTE_PGM_RSRC2:TIDIG_COMP_CNT: 0
	.section	.text._ZN7rocprim17ROCPRIM_400000_NS6detail17trampoline_kernelINS0_14default_configENS1_32segmented_reduce_config_selectorIN3c104HalfEEEZNS1_21segmented_reduce_implIS3_PKS6_PS6_PKiS6_N6hipcub16HIPCUB_304000_NS6detail27convert_result_type_wrapperISA_SB_N2at6native12_GLOBAL__N_19CustomMaxEEEEE10hipError_tPvRmT0_T1_jT2_SS_T4_T3_P12ihipStream_tbEUlT_E_NS1_11comp_targetILNS1_3genE8ELNS1_11target_archE1030ELNS1_3gpuE2ELNS1_3repE0EEENS1_30default_config_static_selectorELNS0_4arch9wavefront6targetE0EEEvSR_,"axG",@progbits,_ZN7rocprim17ROCPRIM_400000_NS6detail17trampoline_kernelINS0_14default_configENS1_32segmented_reduce_config_selectorIN3c104HalfEEEZNS1_21segmented_reduce_implIS3_PKS6_PS6_PKiS6_N6hipcub16HIPCUB_304000_NS6detail27convert_result_type_wrapperISA_SB_N2at6native12_GLOBAL__N_19CustomMaxEEEEE10hipError_tPvRmT0_T1_jT2_SS_T4_T3_P12ihipStream_tbEUlT_E_NS1_11comp_targetILNS1_3genE8ELNS1_11target_archE1030ELNS1_3gpuE2ELNS1_3repE0EEENS1_30default_config_static_selectorELNS0_4arch9wavefront6targetE0EEEvSR_,comdat
	.globl	_ZN7rocprim17ROCPRIM_400000_NS6detail17trampoline_kernelINS0_14default_configENS1_32segmented_reduce_config_selectorIN3c104HalfEEEZNS1_21segmented_reduce_implIS3_PKS6_PS6_PKiS6_N6hipcub16HIPCUB_304000_NS6detail27convert_result_type_wrapperISA_SB_N2at6native12_GLOBAL__N_19CustomMaxEEEEE10hipError_tPvRmT0_T1_jT2_SS_T4_T3_P12ihipStream_tbEUlT_E_NS1_11comp_targetILNS1_3genE8ELNS1_11target_archE1030ELNS1_3gpuE2ELNS1_3repE0EEENS1_30default_config_static_selectorELNS0_4arch9wavefront6targetE0EEEvSR_ ; -- Begin function _ZN7rocprim17ROCPRIM_400000_NS6detail17trampoline_kernelINS0_14default_configENS1_32segmented_reduce_config_selectorIN3c104HalfEEEZNS1_21segmented_reduce_implIS3_PKS6_PS6_PKiS6_N6hipcub16HIPCUB_304000_NS6detail27convert_result_type_wrapperISA_SB_N2at6native12_GLOBAL__N_19CustomMaxEEEEE10hipError_tPvRmT0_T1_jT2_SS_T4_T3_P12ihipStream_tbEUlT_E_NS1_11comp_targetILNS1_3genE8ELNS1_11target_archE1030ELNS1_3gpuE2ELNS1_3repE0EEENS1_30default_config_static_selectorELNS0_4arch9wavefront6targetE0EEEvSR_
	.p2align	8
	.type	_ZN7rocprim17ROCPRIM_400000_NS6detail17trampoline_kernelINS0_14default_configENS1_32segmented_reduce_config_selectorIN3c104HalfEEEZNS1_21segmented_reduce_implIS3_PKS6_PS6_PKiS6_N6hipcub16HIPCUB_304000_NS6detail27convert_result_type_wrapperISA_SB_N2at6native12_GLOBAL__N_19CustomMaxEEEEE10hipError_tPvRmT0_T1_jT2_SS_T4_T3_P12ihipStream_tbEUlT_E_NS1_11comp_targetILNS1_3genE8ELNS1_11target_archE1030ELNS1_3gpuE2ELNS1_3repE0EEENS1_30default_config_static_selectorELNS0_4arch9wavefront6targetE0EEEvSR_,@function
_ZN7rocprim17ROCPRIM_400000_NS6detail17trampoline_kernelINS0_14default_configENS1_32segmented_reduce_config_selectorIN3c104HalfEEEZNS1_21segmented_reduce_implIS3_PKS6_PS6_PKiS6_N6hipcub16HIPCUB_304000_NS6detail27convert_result_type_wrapperISA_SB_N2at6native12_GLOBAL__N_19CustomMaxEEEEE10hipError_tPvRmT0_T1_jT2_SS_T4_T3_P12ihipStream_tbEUlT_E_NS1_11comp_targetILNS1_3genE8ELNS1_11target_archE1030ELNS1_3gpuE2ELNS1_3repE0EEENS1_30default_config_static_selectorELNS0_4arch9wavefront6targetE0EEEvSR_: ; @_ZN7rocprim17ROCPRIM_400000_NS6detail17trampoline_kernelINS0_14default_configENS1_32segmented_reduce_config_selectorIN3c104HalfEEEZNS1_21segmented_reduce_implIS3_PKS6_PS6_PKiS6_N6hipcub16HIPCUB_304000_NS6detail27convert_result_type_wrapperISA_SB_N2at6native12_GLOBAL__N_19CustomMaxEEEEE10hipError_tPvRmT0_T1_jT2_SS_T4_T3_P12ihipStream_tbEUlT_E_NS1_11comp_targetILNS1_3genE8ELNS1_11target_archE1030ELNS1_3gpuE2ELNS1_3repE0EEENS1_30default_config_static_selectorELNS0_4arch9wavefront6targetE0EEEvSR_
; %bb.0:
	.section	.rodata,"a",@progbits
	.p2align	6, 0x0
	.amdhsa_kernel _ZN7rocprim17ROCPRIM_400000_NS6detail17trampoline_kernelINS0_14default_configENS1_32segmented_reduce_config_selectorIN3c104HalfEEEZNS1_21segmented_reduce_implIS3_PKS6_PS6_PKiS6_N6hipcub16HIPCUB_304000_NS6detail27convert_result_type_wrapperISA_SB_N2at6native12_GLOBAL__N_19CustomMaxEEEEE10hipError_tPvRmT0_T1_jT2_SS_T4_T3_P12ihipStream_tbEUlT_E_NS1_11comp_targetILNS1_3genE8ELNS1_11target_archE1030ELNS1_3gpuE2ELNS1_3repE0EEENS1_30default_config_static_selectorELNS0_4arch9wavefront6targetE0EEEvSR_
		.amdhsa_group_segment_fixed_size 0
		.amdhsa_private_segment_fixed_size 0
		.amdhsa_kernarg_size 48
		.amdhsa_user_sgpr_count 2
		.amdhsa_user_sgpr_dispatch_ptr 0
		.amdhsa_user_sgpr_queue_ptr 0
		.amdhsa_user_sgpr_kernarg_segment_ptr 1
		.amdhsa_user_sgpr_dispatch_id 0
		.amdhsa_user_sgpr_kernarg_preload_length 0
		.amdhsa_user_sgpr_kernarg_preload_offset 0
		.amdhsa_user_sgpr_private_segment_size 0
		.amdhsa_wavefront_size32 1
		.amdhsa_uses_dynamic_stack 0
		.amdhsa_enable_private_segment 0
		.amdhsa_system_sgpr_workgroup_id_x 1
		.amdhsa_system_sgpr_workgroup_id_y 0
		.amdhsa_system_sgpr_workgroup_id_z 0
		.amdhsa_system_sgpr_workgroup_info 0
		.amdhsa_system_vgpr_workitem_id 0
		.amdhsa_next_free_vgpr 1
		.amdhsa_next_free_sgpr 1
		.amdhsa_named_barrier_count 0
		.amdhsa_reserve_vcc 0
		.amdhsa_float_round_mode_32 0
		.amdhsa_float_round_mode_16_64 0
		.amdhsa_float_denorm_mode_32 3
		.amdhsa_float_denorm_mode_16_64 3
		.amdhsa_fp16_overflow 0
		.amdhsa_memory_ordered 1
		.amdhsa_forward_progress 1
		.amdhsa_inst_pref_size 0
		.amdhsa_round_robin_scheduling 0
		.amdhsa_exception_fp_ieee_invalid_op 0
		.amdhsa_exception_fp_denorm_src 0
		.amdhsa_exception_fp_ieee_div_zero 0
		.amdhsa_exception_fp_ieee_overflow 0
		.amdhsa_exception_fp_ieee_underflow 0
		.amdhsa_exception_fp_ieee_inexact 0
		.amdhsa_exception_int_div_zero 0
	.end_amdhsa_kernel
	.section	.text._ZN7rocprim17ROCPRIM_400000_NS6detail17trampoline_kernelINS0_14default_configENS1_32segmented_reduce_config_selectorIN3c104HalfEEEZNS1_21segmented_reduce_implIS3_PKS6_PS6_PKiS6_N6hipcub16HIPCUB_304000_NS6detail27convert_result_type_wrapperISA_SB_N2at6native12_GLOBAL__N_19CustomMaxEEEEE10hipError_tPvRmT0_T1_jT2_SS_T4_T3_P12ihipStream_tbEUlT_E_NS1_11comp_targetILNS1_3genE8ELNS1_11target_archE1030ELNS1_3gpuE2ELNS1_3repE0EEENS1_30default_config_static_selectorELNS0_4arch9wavefront6targetE0EEEvSR_,"axG",@progbits,_ZN7rocprim17ROCPRIM_400000_NS6detail17trampoline_kernelINS0_14default_configENS1_32segmented_reduce_config_selectorIN3c104HalfEEEZNS1_21segmented_reduce_implIS3_PKS6_PS6_PKiS6_N6hipcub16HIPCUB_304000_NS6detail27convert_result_type_wrapperISA_SB_N2at6native12_GLOBAL__N_19CustomMaxEEEEE10hipError_tPvRmT0_T1_jT2_SS_T4_T3_P12ihipStream_tbEUlT_E_NS1_11comp_targetILNS1_3genE8ELNS1_11target_archE1030ELNS1_3gpuE2ELNS1_3repE0EEENS1_30default_config_static_selectorELNS0_4arch9wavefront6targetE0EEEvSR_,comdat
.Lfunc_end84:
	.size	_ZN7rocprim17ROCPRIM_400000_NS6detail17trampoline_kernelINS0_14default_configENS1_32segmented_reduce_config_selectorIN3c104HalfEEEZNS1_21segmented_reduce_implIS3_PKS6_PS6_PKiS6_N6hipcub16HIPCUB_304000_NS6detail27convert_result_type_wrapperISA_SB_N2at6native12_GLOBAL__N_19CustomMaxEEEEE10hipError_tPvRmT0_T1_jT2_SS_T4_T3_P12ihipStream_tbEUlT_E_NS1_11comp_targetILNS1_3genE8ELNS1_11target_archE1030ELNS1_3gpuE2ELNS1_3repE0EEENS1_30default_config_static_selectorELNS0_4arch9wavefront6targetE0EEEvSR_, .Lfunc_end84-_ZN7rocprim17ROCPRIM_400000_NS6detail17trampoline_kernelINS0_14default_configENS1_32segmented_reduce_config_selectorIN3c104HalfEEEZNS1_21segmented_reduce_implIS3_PKS6_PS6_PKiS6_N6hipcub16HIPCUB_304000_NS6detail27convert_result_type_wrapperISA_SB_N2at6native12_GLOBAL__N_19CustomMaxEEEEE10hipError_tPvRmT0_T1_jT2_SS_T4_T3_P12ihipStream_tbEUlT_E_NS1_11comp_targetILNS1_3genE8ELNS1_11target_archE1030ELNS1_3gpuE2ELNS1_3repE0EEENS1_30default_config_static_selectorELNS0_4arch9wavefront6targetE0EEEvSR_
                                        ; -- End function
	.set _ZN7rocprim17ROCPRIM_400000_NS6detail17trampoline_kernelINS0_14default_configENS1_32segmented_reduce_config_selectorIN3c104HalfEEEZNS1_21segmented_reduce_implIS3_PKS6_PS6_PKiS6_N6hipcub16HIPCUB_304000_NS6detail27convert_result_type_wrapperISA_SB_N2at6native12_GLOBAL__N_19CustomMaxEEEEE10hipError_tPvRmT0_T1_jT2_SS_T4_T3_P12ihipStream_tbEUlT_E_NS1_11comp_targetILNS1_3genE8ELNS1_11target_archE1030ELNS1_3gpuE2ELNS1_3repE0EEENS1_30default_config_static_selectorELNS0_4arch9wavefront6targetE0EEEvSR_.num_vgpr, 0
	.set _ZN7rocprim17ROCPRIM_400000_NS6detail17trampoline_kernelINS0_14default_configENS1_32segmented_reduce_config_selectorIN3c104HalfEEEZNS1_21segmented_reduce_implIS3_PKS6_PS6_PKiS6_N6hipcub16HIPCUB_304000_NS6detail27convert_result_type_wrapperISA_SB_N2at6native12_GLOBAL__N_19CustomMaxEEEEE10hipError_tPvRmT0_T1_jT2_SS_T4_T3_P12ihipStream_tbEUlT_E_NS1_11comp_targetILNS1_3genE8ELNS1_11target_archE1030ELNS1_3gpuE2ELNS1_3repE0EEENS1_30default_config_static_selectorELNS0_4arch9wavefront6targetE0EEEvSR_.num_agpr, 0
	.set _ZN7rocprim17ROCPRIM_400000_NS6detail17trampoline_kernelINS0_14default_configENS1_32segmented_reduce_config_selectorIN3c104HalfEEEZNS1_21segmented_reduce_implIS3_PKS6_PS6_PKiS6_N6hipcub16HIPCUB_304000_NS6detail27convert_result_type_wrapperISA_SB_N2at6native12_GLOBAL__N_19CustomMaxEEEEE10hipError_tPvRmT0_T1_jT2_SS_T4_T3_P12ihipStream_tbEUlT_E_NS1_11comp_targetILNS1_3genE8ELNS1_11target_archE1030ELNS1_3gpuE2ELNS1_3repE0EEENS1_30default_config_static_selectorELNS0_4arch9wavefront6targetE0EEEvSR_.numbered_sgpr, 0
	.set _ZN7rocprim17ROCPRIM_400000_NS6detail17trampoline_kernelINS0_14default_configENS1_32segmented_reduce_config_selectorIN3c104HalfEEEZNS1_21segmented_reduce_implIS3_PKS6_PS6_PKiS6_N6hipcub16HIPCUB_304000_NS6detail27convert_result_type_wrapperISA_SB_N2at6native12_GLOBAL__N_19CustomMaxEEEEE10hipError_tPvRmT0_T1_jT2_SS_T4_T3_P12ihipStream_tbEUlT_E_NS1_11comp_targetILNS1_3genE8ELNS1_11target_archE1030ELNS1_3gpuE2ELNS1_3repE0EEENS1_30default_config_static_selectorELNS0_4arch9wavefront6targetE0EEEvSR_.num_named_barrier, 0
	.set _ZN7rocprim17ROCPRIM_400000_NS6detail17trampoline_kernelINS0_14default_configENS1_32segmented_reduce_config_selectorIN3c104HalfEEEZNS1_21segmented_reduce_implIS3_PKS6_PS6_PKiS6_N6hipcub16HIPCUB_304000_NS6detail27convert_result_type_wrapperISA_SB_N2at6native12_GLOBAL__N_19CustomMaxEEEEE10hipError_tPvRmT0_T1_jT2_SS_T4_T3_P12ihipStream_tbEUlT_E_NS1_11comp_targetILNS1_3genE8ELNS1_11target_archE1030ELNS1_3gpuE2ELNS1_3repE0EEENS1_30default_config_static_selectorELNS0_4arch9wavefront6targetE0EEEvSR_.private_seg_size, 0
	.set _ZN7rocprim17ROCPRIM_400000_NS6detail17trampoline_kernelINS0_14default_configENS1_32segmented_reduce_config_selectorIN3c104HalfEEEZNS1_21segmented_reduce_implIS3_PKS6_PS6_PKiS6_N6hipcub16HIPCUB_304000_NS6detail27convert_result_type_wrapperISA_SB_N2at6native12_GLOBAL__N_19CustomMaxEEEEE10hipError_tPvRmT0_T1_jT2_SS_T4_T3_P12ihipStream_tbEUlT_E_NS1_11comp_targetILNS1_3genE8ELNS1_11target_archE1030ELNS1_3gpuE2ELNS1_3repE0EEENS1_30default_config_static_selectorELNS0_4arch9wavefront6targetE0EEEvSR_.uses_vcc, 0
	.set _ZN7rocprim17ROCPRIM_400000_NS6detail17trampoline_kernelINS0_14default_configENS1_32segmented_reduce_config_selectorIN3c104HalfEEEZNS1_21segmented_reduce_implIS3_PKS6_PS6_PKiS6_N6hipcub16HIPCUB_304000_NS6detail27convert_result_type_wrapperISA_SB_N2at6native12_GLOBAL__N_19CustomMaxEEEEE10hipError_tPvRmT0_T1_jT2_SS_T4_T3_P12ihipStream_tbEUlT_E_NS1_11comp_targetILNS1_3genE8ELNS1_11target_archE1030ELNS1_3gpuE2ELNS1_3repE0EEENS1_30default_config_static_selectorELNS0_4arch9wavefront6targetE0EEEvSR_.uses_flat_scratch, 0
	.set _ZN7rocprim17ROCPRIM_400000_NS6detail17trampoline_kernelINS0_14default_configENS1_32segmented_reduce_config_selectorIN3c104HalfEEEZNS1_21segmented_reduce_implIS3_PKS6_PS6_PKiS6_N6hipcub16HIPCUB_304000_NS6detail27convert_result_type_wrapperISA_SB_N2at6native12_GLOBAL__N_19CustomMaxEEEEE10hipError_tPvRmT0_T1_jT2_SS_T4_T3_P12ihipStream_tbEUlT_E_NS1_11comp_targetILNS1_3genE8ELNS1_11target_archE1030ELNS1_3gpuE2ELNS1_3repE0EEENS1_30default_config_static_selectorELNS0_4arch9wavefront6targetE0EEEvSR_.has_dyn_sized_stack, 0
	.set _ZN7rocprim17ROCPRIM_400000_NS6detail17trampoline_kernelINS0_14default_configENS1_32segmented_reduce_config_selectorIN3c104HalfEEEZNS1_21segmented_reduce_implIS3_PKS6_PS6_PKiS6_N6hipcub16HIPCUB_304000_NS6detail27convert_result_type_wrapperISA_SB_N2at6native12_GLOBAL__N_19CustomMaxEEEEE10hipError_tPvRmT0_T1_jT2_SS_T4_T3_P12ihipStream_tbEUlT_E_NS1_11comp_targetILNS1_3genE8ELNS1_11target_archE1030ELNS1_3gpuE2ELNS1_3repE0EEENS1_30default_config_static_selectorELNS0_4arch9wavefront6targetE0EEEvSR_.has_recursion, 0
	.set _ZN7rocprim17ROCPRIM_400000_NS6detail17trampoline_kernelINS0_14default_configENS1_32segmented_reduce_config_selectorIN3c104HalfEEEZNS1_21segmented_reduce_implIS3_PKS6_PS6_PKiS6_N6hipcub16HIPCUB_304000_NS6detail27convert_result_type_wrapperISA_SB_N2at6native12_GLOBAL__N_19CustomMaxEEEEE10hipError_tPvRmT0_T1_jT2_SS_T4_T3_P12ihipStream_tbEUlT_E_NS1_11comp_targetILNS1_3genE8ELNS1_11target_archE1030ELNS1_3gpuE2ELNS1_3repE0EEENS1_30default_config_static_selectorELNS0_4arch9wavefront6targetE0EEEvSR_.has_indirect_call, 0
	.section	.AMDGPU.csdata,"",@progbits
; Kernel info:
; codeLenInByte = 0
; TotalNumSgprs: 0
; NumVgprs: 0
; ScratchSize: 0
; MemoryBound: 0
; FloatMode: 240
; IeeeMode: 1
; LDSByteSize: 0 bytes/workgroup (compile time only)
; SGPRBlocks: 0
; VGPRBlocks: 0
; NumSGPRsForWavesPerEU: 1
; NumVGPRsForWavesPerEU: 1
; NamedBarCnt: 0
; Occupancy: 16
; WaveLimiterHint : 0
; COMPUTE_PGM_RSRC2:SCRATCH_EN: 0
; COMPUTE_PGM_RSRC2:USER_SGPR: 2
; COMPUTE_PGM_RSRC2:TRAP_HANDLER: 0
; COMPUTE_PGM_RSRC2:TGID_X_EN: 1
; COMPUTE_PGM_RSRC2:TGID_Y_EN: 0
; COMPUTE_PGM_RSRC2:TGID_Z_EN: 0
; COMPUTE_PGM_RSRC2:TIDIG_COMP_CNT: 0
	.section	.text._ZN7rocprim17ROCPRIM_400000_NS6detail17trampoline_kernelINS0_14default_configENS1_32segmented_reduce_config_selectorIN3c104HalfEEEZNS1_21segmented_reduce_implIS3_PKS6_PS6_PKiS6_N6hipcub16HIPCUB_304000_NS6detail27convert_result_type_wrapperISA_SB_N2at6native12_GLOBAL__N_19CustomSumEEEEE10hipError_tPvRmT0_T1_jT2_SS_T4_T3_P12ihipStream_tbEUlT_E_NS1_11comp_targetILNS1_3genE0ELNS1_11target_archE4294967295ELNS1_3gpuE0ELNS1_3repE0EEENS1_30default_config_static_selectorELNS0_4arch9wavefront6targetE0EEEvSR_,"axG",@progbits,_ZN7rocprim17ROCPRIM_400000_NS6detail17trampoline_kernelINS0_14default_configENS1_32segmented_reduce_config_selectorIN3c104HalfEEEZNS1_21segmented_reduce_implIS3_PKS6_PS6_PKiS6_N6hipcub16HIPCUB_304000_NS6detail27convert_result_type_wrapperISA_SB_N2at6native12_GLOBAL__N_19CustomSumEEEEE10hipError_tPvRmT0_T1_jT2_SS_T4_T3_P12ihipStream_tbEUlT_E_NS1_11comp_targetILNS1_3genE0ELNS1_11target_archE4294967295ELNS1_3gpuE0ELNS1_3repE0EEENS1_30default_config_static_selectorELNS0_4arch9wavefront6targetE0EEEvSR_,comdat
	.globl	_ZN7rocprim17ROCPRIM_400000_NS6detail17trampoline_kernelINS0_14default_configENS1_32segmented_reduce_config_selectorIN3c104HalfEEEZNS1_21segmented_reduce_implIS3_PKS6_PS6_PKiS6_N6hipcub16HIPCUB_304000_NS6detail27convert_result_type_wrapperISA_SB_N2at6native12_GLOBAL__N_19CustomSumEEEEE10hipError_tPvRmT0_T1_jT2_SS_T4_T3_P12ihipStream_tbEUlT_E_NS1_11comp_targetILNS1_3genE0ELNS1_11target_archE4294967295ELNS1_3gpuE0ELNS1_3repE0EEENS1_30default_config_static_selectorELNS0_4arch9wavefront6targetE0EEEvSR_ ; -- Begin function _ZN7rocprim17ROCPRIM_400000_NS6detail17trampoline_kernelINS0_14default_configENS1_32segmented_reduce_config_selectorIN3c104HalfEEEZNS1_21segmented_reduce_implIS3_PKS6_PS6_PKiS6_N6hipcub16HIPCUB_304000_NS6detail27convert_result_type_wrapperISA_SB_N2at6native12_GLOBAL__N_19CustomSumEEEEE10hipError_tPvRmT0_T1_jT2_SS_T4_T3_P12ihipStream_tbEUlT_E_NS1_11comp_targetILNS1_3genE0ELNS1_11target_archE4294967295ELNS1_3gpuE0ELNS1_3repE0EEENS1_30default_config_static_selectorELNS0_4arch9wavefront6targetE0EEEvSR_
	.p2align	8
	.type	_ZN7rocprim17ROCPRIM_400000_NS6detail17trampoline_kernelINS0_14default_configENS1_32segmented_reduce_config_selectorIN3c104HalfEEEZNS1_21segmented_reduce_implIS3_PKS6_PS6_PKiS6_N6hipcub16HIPCUB_304000_NS6detail27convert_result_type_wrapperISA_SB_N2at6native12_GLOBAL__N_19CustomSumEEEEE10hipError_tPvRmT0_T1_jT2_SS_T4_T3_P12ihipStream_tbEUlT_E_NS1_11comp_targetILNS1_3genE0ELNS1_11target_archE4294967295ELNS1_3gpuE0ELNS1_3repE0EEENS1_30default_config_static_selectorELNS0_4arch9wavefront6targetE0EEEvSR_,@function
_ZN7rocprim17ROCPRIM_400000_NS6detail17trampoline_kernelINS0_14default_configENS1_32segmented_reduce_config_selectorIN3c104HalfEEEZNS1_21segmented_reduce_implIS3_PKS6_PS6_PKiS6_N6hipcub16HIPCUB_304000_NS6detail27convert_result_type_wrapperISA_SB_N2at6native12_GLOBAL__N_19CustomSumEEEEE10hipError_tPvRmT0_T1_jT2_SS_T4_T3_P12ihipStream_tbEUlT_E_NS1_11comp_targetILNS1_3genE0ELNS1_11target_archE4294967295ELNS1_3gpuE0ELNS1_3repE0EEENS1_30default_config_static_selectorELNS0_4arch9wavefront6targetE0EEEvSR_: ; @_ZN7rocprim17ROCPRIM_400000_NS6detail17trampoline_kernelINS0_14default_configENS1_32segmented_reduce_config_selectorIN3c104HalfEEEZNS1_21segmented_reduce_implIS3_PKS6_PS6_PKiS6_N6hipcub16HIPCUB_304000_NS6detail27convert_result_type_wrapperISA_SB_N2at6native12_GLOBAL__N_19CustomSumEEEEE10hipError_tPvRmT0_T1_jT2_SS_T4_T3_P12ihipStream_tbEUlT_E_NS1_11comp_targetILNS1_3genE0ELNS1_11target_archE4294967295ELNS1_3gpuE0ELNS1_3repE0EEENS1_30default_config_static_selectorELNS0_4arch9wavefront6targetE0EEEvSR_
; %bb.0:
	v_mov_b32_e32 v1, 0
	s_clause 0x1
	s_load_b256 s[16:23], s[0:1], 0x0
	s_load_b64 s[2:3], s[0:1], 0x20
	s_bfe_u32 s6, ttmp6, 0x4000c
	s_and_b32 s7, ttmp6, 15
	s_add_co_i32 s6, s6, 1
	global_load_u16 v1, v1, s[0:1] offset:42
	s_mul_i32 s6, ttmp9, s6
	s_getreg_b32 s8, hwreg(HW_REG_IB_STS2, 6, 4)
	s_add_co_i32 s9, s7, s6
	v_cmp_eq_u32_e32 vcc_lo, 0, v0
	s_wait_kmcnt 0x0
	s_lshl_b64 s[0:1], s[20:21], 1
	s_lshl_b64 s[4:5], s[20:21], 2
	s_cmp_eq_u32 s8, 0
	s_add_nc_u64 s[6:7], s[22:23], s[4:5]
	s_cselect_b32 s20, ttmp9, s9
	s_add_nc_u64 s[2:3], s[2:3], s[4:5]
	s_load_b32 s22, s[6:7], s20 offset:0x0 scale_offset
	s_load_b32 s15, s[2:3], s20 offset:0x0 scale_offset
	s_add_nc_u64 s[18:19], s[18:19], s[0:1]
	s_mov_b32 s21, 0
	s_mov_b32 s0, -1
	s_wait_kmcnt 0x0
	s_cmp_gt_i32 s15, s22
	s_cbranch_scc1 .LBB85_4
; %bb.1:
	s_and_saveexec_b32 s0, vcc_lo
	s_cbranch_execz .LBB85_3
; %bb.2:
	v_mov_b32_e32 v2, 0
	s_lshl_b64 s[2:3], s[20:21], 1
	s_delay_alu instid0(SALU_CYCLE_1)
	s_add_nc_u64 s[2:3], s[18:19], s[2:3]
	s_wait_loadcnt 0x0
	global_store_b16 v2, v1, s[2:3]
.LBB85_3:
	s_wait_xcnt 0x0
	s_or_b32 exec_lo, exec_lo, s0
	s_mov_b32 s0, 0
.LBB85_4:
	s_delay_alu instid0(SALU_CYCLE_1)
	s_and_not1_b32 vcc_lo, exec_lo, s0
	s_cbranch_vccnz .LBB85_69
; %bb.5:
	s_add_co_i32 s0, s22, 0x1000
	s_delay_alu instid0(SALU_CYCLE_1)
	s_cmp_le_i32 s0, s15
	s_cbranch_scc0 .LBB85_46
; %bb.6:
	s_ashr_i32 s23, s22, 31
	v_mov_b32_e32 v3, 0
	s_lshl_b64 s[2:3], s[22:23], 1
	s_add_co_i32 s1, s22, 0x2000
	s_add_nc_u64 s[2:3], s[16:17], s[2:3]
	s_cmp_ge_i32 s1, s15
	s_clause 0xf
	global_load_u16 v4, v0, s[2:3] scale_offset
	global_load_u16 v5, v0, s[2:3] offset:512 scale_offset
	global_load_u16 v6, v0, s[2:3] offset:1024 scale_offset
	global_load_u16 v7, v0, s[2:3] offset:1536 scale_offset
	global_load_u16 v8, v0, s[2:3] offset:2048 scale_offset
	global_load_u16 v9, v0, s[2:3] offset:2560 scale_offset
	global_load_u16 v10, v0, s[2:3] offset:3072 scale_offset
	global_load_u16 v11, v0, s[2:3] offset:3584 scale_offset
	global_load_u16 v12, v0, s[2:3] offset:4096 scale_offset
	global_load_u16 v13, v0, s[2:3] offset:4608 scale_offset
	global_load_u16 v14, v0, s[2:3] offset:5120 scale_offset
	global_load_u16 v15, v0, s[2:3] offset:5632 scale_offset
	global_load_u16 v16, v0, s[2:3] offset:6144 scale_offset
	global_load_u16 v17, v0, s[2:3] offset:6656 scale_offset
	global_load_u16 v18, v0, s[2:3] offset:7168 scale_offset
	global_load_u16 v19, v0, s[2:3] offset:7680 scale_offset
	s_wait_loadcnt 0xe
	v_add_f16_e32 v2, v4, v5
	s_wait_loadcnt 0xd
	s_delay_alu instid0(VALU_DEP_1) | instskip(SKIP_1) | instid1(VALU_DEP_1)
	v_add_f16_e32 v2, v2, v6
	s_wait_loadcnt 0xc
	v_add_f16_e32 v2, v2, v7
	s_wait_loadcnt 0xb
	s_delay_alu instid0(VALU_DEP_1) | instskip(SKIP_1) | instid1(VALU_DEP_1)
	v_add_f16_e32 v2, v2, v8
	;; [unrolled: 5-line block ×7, first 2 shown]
	s_wait_loadcnt 0x0
	v_add_f16_e32 v20, v2, v19
	s_cbranch_scc1 .LBB85_9
; %bb.7:
	v_lshlrev_b32_e32 v2, 1, v0
	s_delay_alu instid0(VALU_DEP_1)
	v_add_nc_u64_e32 v[2:3], s[16:17], v[2:3]
.LBB85_8:                               ; =>This Inner Loop Header: Depth=1
	s_ashr_i32 s1, s0, 31
	s_wait_xcnt 0x0
	s_delay_alu instid0(VALU_DEP_1)
	v_lshl_add_u64 v[22:23], s[0:1], 1, v[2:3]
	s_add_co_i32 s1, s0, 0x2000
	s_addk_co_i32 s0, 0x1000
	s_cmp_lt_i32 s1, s15
	s_clause 0xf
	global_load_u16 v4, v[22:23], off
	global_load_u16 v5, v[22:23], off offset:512
	global_load_u16 v6, v[22:23], off offset:1024
	;; [unrolled: 1-line block ×15, first 2 shown]
	s_wait_loadcnt 0xf
	v_add_f16_e32 v20, v20, v4
	s_wait_loadcnt 0xe
	s_delay_alu instid0(VALU_DEP_1) | instskip(SKIP_1) | instid1(VALU_DEP_1)
	v_add_f16_e32 v20, v20, v5
	s_wait_loadcnt 0xd
	v_add_f16_e32 v20, v20, v6
	s_wait_loadcnt 0xc
	s_delay_alu instid0(VALU_DEP_1) | instskip(SKIP_1) | instid1(VALU_DEP_1)
	v_add_f16_e32 v20, v20, v7
	;; [unrolled: 5-line block ×7, first 2 shown]
	s_wait_loadcnt 0x1
	v_add_f16_e32 v20, v20, v18
	s_wait_loadcnt 0x0
	s_delay_alu instid0(VALU_DEP_1)
	v_add_f16_e32 v20, v20, v19
	s_cbranch_scc1 .LBB85_8
.LBB85_9:
	s_sub_co_i32 s14, s15, s0
	s_ashr_i32 s1, s0, 31
	v_cmp_gt_u32_e32 vcc_lo, s14, v0
	s_lshl_b64 s[0:1], s[0:1], 1
	s_delay_alu instid0(SALU_CYCLE_1)
	s_add_nc_u64 s[24:25], s[16:17], s[0:1]
	s_wait_xcnt 0x0
	s_and_saveexec_b32 s0, vcc_lo
	s_cbranch_execz .LBB85_11
; %bb.10:
	global_load_u16 v4, v0, s[24:25] scale_offset
.LBB85_11:
	s_wait_xcnt 0x0
	s_or_b32 exec_lo, exec_lo, s0
	v_or_b32_e32 v2, 0x100, v0
	s_delay_alu instid0(VALU_DEP_1)
	v_cmp_gt_u32_e64 s0, s14, v2
	s_and_saveexec_b32 s1, s0
	s_cbranch_execz .LBB85_13
; %bb.12:
	global_load_u16 v5, v0, s[24:25] offset:512 scale_offset
.LBB85_13:
	s_wait_xcnt 0x0
	s_or_b32 exec_lo, exec_lo, s1
	v_or_b32_e32 v2, 0x200, v0
	s_delay_alu instid0(VALU_DEP_1)
	v_cmp_gt_u32_e64 s1, s14, v2
	s_and_saveexec_b32 s2, s1
	s_cbranch_execz .LBB85_15
; %bb.14:
	global_load_u16 v6, v0, s[24:25] offset:1024 scale_offset
.LBB85_15:
	;; [unrolled: 10-line block ×15, first 2 shown]
	s_wait_xcnt 0x0
	s_or_b32 exec_lo, exec_lo, s23
	s_wait_loadcnt 0x0
	v_add_f16_e32 v2, v20, v4
	s_delay_alu instid0(VALU_DEP_1) | instskip(NEXT) | instid1(VALU_DEP_1)
	v_cndmask_b32_e32 v2, v20, v2, vcc_lo
	v_add_f16_e32 v3, v2, v5
	s_delay_alu instid0(VALU_DEP_1) | instskip(SKIP_1) | instid1(VALU_DEP_1)
	v_cndmask_b32_e64 v2, v2, v3, s0
	s_mov_b32 s0, exec_lo
	v_add_f16_e32 v3, v2, v6
	s_delay_alu instid0(VALU_DEP_1) | instskip(NEXT) | instid1(VALU_DEP_1)
	v_cndmask_b32_e64 v2, v2, v3, s1
	v_add_f16_e32 v3, v2, v7
	s_delay_alu instid0(VALU_DEP_1) | instskip(NEXT) | instid1(VALU_DEP_1)
	v_cndmask_b32_e64 v2, v2, v3, s2
	;; [unrolled: 3-line block ×14, first 2 shown]
	v_and_b32_e32 v3, 0xffff, v2
	s_delay_alu instid0(VALU_DEP_1) | instskip(NEXT) | instid1(VALU_DEP_1)
	v_mov_b32_dpp v3, v3 quad_perm:[1,0,3,2] row_mask:0xf bank_mask:0xf
	v_add_f16_e32 v2, v2, v3
	s_delay_alu instid0(VALU_DEP_1) | instskip(NEXT) | instid1(VALU_DEP_1)
	v_and_b32_e32 v3, 0xffff, v2
	v_mov_b32_dpp v3, v3 quad_perm:[2,3,0,1] row_mask:0xf bank_mask:0xf
	s_delay_alu instid0(VALU_DEP_1) | instskip(NEXT) | instid1(VALU_DEP_1)
	v_add_f16_e32 v2, v2, v3
	v_and_b32_e32 v3, 0xffff, v2
	s_delay_alu instid0(VALU_DEP_1) | instskip(NEXT) | instid1(VALU_DEP_1)
	v_mov_b32_dpp v3, v3 row_ror:4 row_mask:0xf bank_mask:0xf
	v_add_f16_e32 v2, v2, v3
	s_delay_alu instid0(VALU_DEP_1) | instskip(NEXT) | instid1(VALU_DEP_1)
	v_and_b32_e32 v3, 0xffff, v2
	v_mov_b32_dpp v3, v3 row_ror:8 row_mask:0xf bank_mask:0xf
	s_delay_alu instid0(VALU_DEP_1) | instskip(NEXT) | instid1(VALU_DEP_1)
	v_add_f16_e32 v2, v2, v3
	v_and_b32_e32 v3, 0xffff, v2
	ds_swizzle_b32 v3, v3 offset:swizzle(BROADCAST,32,15)
	s_wait_dscnt 0x0
	v_add_f16_e32 v2, v2, v3
	v_mov_b32_e32 v3, 0
	s_delay_alu instid0(VALU_DEP_2) | instskip(SKIP_2) | instid1(VALU_DEP_1)
	v_and_b32_e32 v2, 0xffff, v2
	ds_bpermute_b32 v5, v3, v2 offset:124
	v_mbcnt_lo_u32_b32 v2, -1, 0
	v_cmpx_eq_u32_e32 0, v2
	s_cbranch_execz .LBB85_43
; %bb.42:
	v_lshrrev_b32_e32 v3, 4, v0
	s_delay_alu instid0(VALU_DEP_1)
	v_and_b32_e32 v3, 14, v3
	s_wait_dscnt 0x0
	ds_store_b16 v3, v5
.LBB85_43:
	s_or_b32 exec_lo, exec_lo, s0
	s_delay_alu instid0(SALU_CYCLE_1)
	s_mov_b32 s0, exec_lo
	s_wait_storecnt_dscnt 0x0
	s_barrier_signal -1
	s_barrier_wait -1
	v_cmpx_gt_u32_e32 32, v0
	s_cbranch_execz .LBB85_45
; %bb.44:
	v_and_b32_e32 v3, 7, v2
	s_delay_alu instid0(VALU_DEP_1) | instskip(SKIP_1) | instid1(VALU_DEP_1)
	v_cmp_ne_u32_e32 vcc_lo, 7, v3
	v_add_co_ci_u32_e64 v5, null, 0, v2, vcc_lo
	v_lshlrev_b32_e32 v5, 2, v5
	v_cmp_gt_u32_e32 vcc_lo, 6, v3
	v_lshlrev_b32_e32 v4, 1, v3
	v_cndmask_b32_e64 v3, 0, 2, vcc_lo
	s_delay_alu instid0(VALU_DEP_1)
	v_add_lshl_u32 v3, v3, v2, 2
	v_lshlrev_b32_e32 v2, 2, v2
	ds_load_u16 v4, v4
	v_or_b32_e32 v2, 16, v2
	s_wait_dscnt 0x0
	v_and_b32_e32 v6, 0xffff, v4
	ds_bpermute_b32 v5, v5, v6
	s_wait_dscnt 0x0
	v_add_f16_e32 v4, v4, v5
	s_delay_alu instid0(VALU_DEP_1) | instskip(SKIP_3) | instid1(VALU_DEP_1)
	v_and_b32_e32 v5, 0xffff, v4
	ds_bpermute_b32 v3, v3, v5
	s_wait_dscnt 0x0
	v_add_f16_e32 v3, v4, v3
	v_and_b32_e32 v4, 0xffff, v3
	ds_bpermute_b32 v2, v2, v4
	s_wait_dscnt 0x0
	v_add_f16_e32 v5, v3, v2
.LBB85_45:
	s_or_b32 exec_lo, exec_lo, s0
	s_branch .LBB85_67
.LBB85_46:
                                        ; implicit-def: $vgpr5
	s_cbranch_execz .LBB85_67
; %bb.47:
	s_sub_co_i32 s3, s15, s22
	s_mov_b32 s0, exec_lo
                                        ; implicit-def: $vgpr3
	v_cmpx_gt_u32_e64 s3, v0
	s_cbranch_execz .LBB85_53
; %bb.48:
	v_add_nc_u32_e32 v2, s22, v0
	s_mov_b32 s1, exec_lo
	global_load_u16 v3, v2, s[16:17] scale_offset
	s_wait_xcnt 0x0
	v_add_nc_u32_e32 v2, 0x100, v2
	s_delay_alu instid0(VALU_DEP_1)
	v_cmpx_gt_i32_e64 s15, v2
	s_cbranch_execz .LBB85_52
; %bb.49:
	s_mov_b32 s2, 0
.LBB85_50:                              ; =>This Inner Loop Header: Depth=1
	global_load_u16 v4, v2, s[16:17] scale_offset
	s_wait_xcnt 0x0
	v_add_nc_u32_e32 v2, 0x100, v2
	s_delay_alu instid0(VALU_DEP_1)
	v_cmp_le_i32_e32 vcc_lo, s15, v2
	s_or_b32 s2, vcc_lo, s2
	s_wait_loadcnt 0x0
	v_add_f16_e32 v3, v3, v4
	s_and_not1_b32 exec_lo, exec_lo, s2
	s_cbranch_execnz .LBB85_50
; %bb.51:
	s_or_b32 exec_lo, exec_lo, s2
.LBB85_52:
	s_delay_alu instid0(SALU_CYCLE_1)
	s_or_b32 exec_lo, exec_lo, s1
.LBB85_53:
	s_delay_alu instid0(SALU_CYCLE_1)
	s_or_b32 exec_lo, exec_lo, s0
	v_mbcnt_lo_u32_b32 v2, -1, 0
	s_wait_loadcnt 0x0
	v_and_b32_e32 v4, 0xffff, v3
	s_cmp_lt_u32 s3, 0x100
	s_cbranch_scc0 .LBB85_61
; %bb.54:
	v_cmp_ne_u32_e32 vcc_lo, 31, v2
	v_and_b32_e32 v6, 0xe0, v0
	v_cmp_gt_u32_e64 s0, 24, v2
	v_add_nc_u32_e32 v11, 2, v2
	v_add_co_ci_u32_e64 v5, null, 0, v2, vcc_lo
	v_cmp_gt_u32_e32 vcc_lo, 30, v2
	v_sub_nc_u32_e64 v8, s3, v6 clamp
	s_delay_alu instid0(VALU_DEP_3)
	v_lshlrev_b32_e32 v5, 2, v5
	v_cndmask_b32_e64 v9, 0, 2, vcc_lo
	v_cmp_gt_u32_e32 vcc_lo, 28, v2
	ds_bpermute_b32 v5, v5, v4
	v_add_lshl_u32 v9, v9, v2, 2
	s_wait_dscnt 0x0
	v_add_f16_e32 v7, v3, v5
	v_add_nc_u32_e32 v5, 1, v2
	s_delay_alu instid0(VALU_DEP_2) | instskip(NEXT) | instid1(VALU_DEP_2)
	v_and_b32_e32 v6, 0xffff, v7
	v_cmp_lt_u32_e64 s2, v5, v8
	s_delay_alu instid0(VALU_DEP_1)
	v_dual_cndmask_b32 v10, v3, v7, s2 :: v_dual_cndmask_b32 v5, v4, v6, s2
	ds_bpermute_b32 v6, v9, v5
	s_wait_dscnt 0x0
	v_add_f16_e32 v9, v10, v6
	v_cndmask_b32_e64 v6, 0, 4, vcc_lo
	v_cmp_lt_u32_e32 vcc_lo, v11, v8
	s_delay_alu instid0(VALU_DEP_3) | instskip(NEXT) | instid1(VALU_DEP_3)
	v_and_b32_e32 v12, 0xffff, v9
	v_add_lshl_u32 v6, v6, v2, 2
	s_delay_alu instid0(VALU_DEP_2)
	v_dual_cndmask_b32 v11, v10, v9, vcc_lo :: v_dual_cndmask_b32 v5, v5, v12, vcc_lo
	v_add_nc_u32_e32 v12, 4, v2
	ds_bpermute_b32 v6, v6, v5
	s_wait_dscnt 0x0
	v_add_f16_e32 v10, v11, v6
	v_cndmask_b32_e64 v6, 0, 8, s0
	v_cmp_lt_u32_e64 s0, v12, v8
	s_delay_alu instid0(VALU_DEP_3) | instskip(NEXT) | instid1(VALU_DEP_3)
	v_and_b32_e32 v13, 0xffff, v10
	v_add_lshl_u32 v6, v6, v2, 2
	s_delay_alu instid0(VALU_DEP_2)
	v_dual_cndmask_b32 v12, v11, v10, s0 :: v_dual_cndmask_b32 v5, v5, v13, s0
	v_add_nc_u32_e32 v13, 8, v2
	ds_bpermute_b32 v6, v6, v5
	s_wait_dscnt 0x0
	v_add_f16_e32 v11, v12, v6
	v_lshlrev_b32_e32 v6, 2, v2
	v_cmp_lt_u32_e64 s1, v13, v8
	s_delay_alu instid0(VALU_DEP_3) | instskip(NEXT) | instid1(VALU_DEP_3)
	v_and_b32_e32 v14, 0xffff, v11
	v_or_b32_e32 v13, 64, v6
	s_delay_alu instid0(VALU_DEP_2)
	v_cndmask_b32_e64 v5, v5, v14, s1
	ds_bpermute_b32 v13, v13, v5
	v_mov_b32_e32 v5, v3
	s_and_saveexec_b32 s4, s2
	s_cbranch_execz .LBB85_56
; %bb.55:
	v_dual_cndmask_b32 v5, v7, v9, vcc_lo :: v_dual_cndmask_b32 v7, v12, v11, s1
	s_delay_alu instid0(VALU_DEP_1) | instskip(SKIP_2) | instid1(VALU_DEP_3)
	v_cndmask_b32_e64 v5, v5, v10, s0
	v_add_nc_u32_e32 v9, 16, v2
	s_wait_dscnt 0x0
	v_add_f16_e32 v7, v7, v13
	s_delay_alu instid0(VALU_DEP_3) | instskip(NEXT) | instid1(VALU_DEP_3)
	v_cndmask_b32_e64 v5, v5, v11, s1
	v_cmp_lt_u32_e32 vcc_lo, v9, v8
	s_delay_alu instid0(VALU_DEP_2)
	v_cndmask_b32_e32 v5, v5, v7, vcc_lo
.LBB85_56:
	s_or_b32 exec_lo, exec_lo, s4
	s_delay_alu instid0(SALU_CYCLE_1)
	s_mov_b32 s0, exec_lo
	v_cmpx_eq_u32_e32 0, v2
; %bb.57:
	v_lshrrev_b32_e32 v7, 4, v0
	s_delay_alu instid0(VALU_DEP_1)
	v_and_b32_e32 v7, 14, v7
	ds_store_b16 v7, v5
; %bb.58:
	s_or_b32 exec_lo, exec_lo, s0
	s_delay_alu instid0(SALU_CYCLE_1)
	s_mov_b32 s1, exec_lo
	s_wait_storecnt_dscnt 0x0
	s_barrier_signal -1
	s_barrier_wait -1
	v_cmpx_gt_u32_e32 8, v0
	s_cbranch_execz .LBB85_60
; %bb.59:
	v_dual_lshlrev_b32 v5, 1, v2 :: v_dual_bitop2_b32 v7, 7, v2 bitop3:0x40
	s_add_co_i32 s3, s3, 31
	v_or_b32_e32 v6, 16, v6
	s_lshr_b32 s2, s3, 5
	ds_load_u16 v5, v5
	v_cmp_ne_u32_e32 vcc_lo, 7, v7
	v_add_nc_u32_e32 v11, 1, v7
	v_add_co_ci_u32_e64 v8, null, 0, v2, vcc_lo
	v_cmp_gt_u32_e32 vcc_lo, 6, v7
	s_delay_alu instid0(VALU_DEP_2) | instskip(SKIP_2) | instid1(VALU_DEP_2)
	v_lshlrev_b32_e32 v8, 2, v8
	v_cndmask_b32_e64 v10, 0, 2, vcc_lo
	v_cmp_gt_u32_e32 vcc_lo, s2, v11
	v_add_lshl_u32 v10, v10, v2, 2
	s_wait_dscnt 0x0
	v_and_b32_e32 v9, 0xffff, v5
	ds_bpermute_b32 v8, v8, v9
	s_wait_dscnt 0x0
	v_add_f16_e32 v8, v5, v8
	s_delay_alu instid0(VALU_DEP_1) | instskip(SKIP_1) | instid1(VALU_DEP_2)
	v_and_b32_e32 v12, 0xffff, v8
	v_cndmask_b32_e32 v11, v5, v8, vcc_lo
	v_cndmask_b32_e32 v9, v9, v12, vcc_lo
	ds_bpermute_b32 v10, v10, v9
	s_wait_dscnt 0x0
	v_add_f16_e32 v10, v11, v10
	v_add_nc_u32_e32 v11, 2, v7
	s_delay_alu instid0(VALU_DEP_2) | instskip(NEXT) | instid1(VALU_DEP_2)
	v_and_b32_e32 v12, 0xffff, v10
	v_cmp_gt_u32_e64 s0, s2, v11
	s_delay_alu instid0(VALU_DEP_1) | instskip(SKIP_4) | instid1(VALU_DEP_1)
	v_dual_cndmask_b32 v9, v9, v12, s0 :: v_dual_cndmask_b32 v8, v8, v10, s0
	ds_bpermute_b32 v6, v6, v9
	s_wait_dscnt 0x0
	v_add_f16_e32 v6, v8, v6
	v_add_nc_u32_e32 v7, 4, v7
	v_cmp_gt_u32_e64 s0, s2, v7
	s_delay_alu instid0(VALU_DEP_1) | instskip(NEXT) | instid1(VALU_DEP_1)
	v_cndmask_b32_e64 v6, v8, v6, s0
	v_cndmask_b32_e32 v5, v5, v6, vcc_lo
.LBB85_60:
	s_or_b32 exec_lo, exec_lo, s1
	s_branch .LBB85_67
.LBB85_61:
                                        ; implicit-def: $vgpr5
	s_cbranch_execz .LBB85_67
; %bb.62:
	s_delay_alu instid0(VALU_DEP_1) | instskip(SKIP_1) | instid1(VALU_DEP_1)
	v_mov_b32_dpp v4, v4 quad_perm:[1,0,3,2] row_mask:0xf bank_mask:0xf
	s_mov_b32 s0, exec_lo
	v_add_f16_e32 v3, v3, v4
	s_delay_alu instid0(VALU_DEP_1) | instskip(NEXT) | instid1(VALU_DEP_1)
	v_and_b32_e32 v4, 0xffff, v3
	v_mov_b32_dpp v4, v4 quad_perm:[2,3,0,1] row_mask:0xf bank_mask:0xf
	s_delay_alu instid0(VALU_DEP_1) | instskip(NEXT) | instid1(VALU_DEP_1)
	v_add_f16_e32 v3, v3, v4
	v_and_b32_e32 v4, 0xffff, v3
	s_delay_alu instid0(VALU_DEP_1) | instskip(NEXT) | instid1(VALU_DEP_1)
	v_mov_b32_dpp v4, v4 row_ror:4 row_mask:0xf bank_mask:0xf
	v_add_f16_e32 v3, v3, v4
	s_delay_alu instid0(VALU_DEP_1) | instskip(NEXT) | instid1(VALU_DEP_1)
	v_and_b32_e32 v4, 0xffff, v3
	v_mov_b32_dpp v4, v4 row_ror:8 row_mask:0xf bank_mask:0xf
	s_delay_alu instid0(VALU_DEP_1) | instskip(NEXT) | instid1(VALU_DEP_1)
	v_add_f16_e32 v3, v3, v4
	v_and_b32_e32 v4, 0xffff, v3
	ds_swizzle_b32 v4, v4 offset:swizzle(BROADCAST,32,15)
	s_wait_dscnt 0x0
	v_add_f16_e32 v3, v3, v4
	v_mov_b32_e32 v4, 0
	s_delay_alu instid0(VALU_DEP_2)
	v_and_b32_e32 v3, 0xffff, v3
	ds_bpermute_b32 v5, v4, v3 offset:124
	v_cmpx_eq_u32_e32 0, v2
	s_cbranch_execz .LBB85_64
; %bb.63:
	v_lshrrev_b32_e32 v3, 4, v0
	s_delay_alu instid0(VALU_DEP_1)
	v_and_b32_e32 v3, 14, v3
	s_wait_dscnt 0x0
	ds_store_b16 v3, v5
.LBB85_64:
	s_or_b32 exec_lo, exec_lo, s0
	s_delay_alu instid0(SALU_CYCLE_1)
	s_mov_b32 s0, exec_lo
	s_wait_storecnt_dscnt 0x0
	s_barrier_signal -1
	s_barrier_wait -1
	v_cmpx_gt_u32_e32 32, v0
	s_cbranch_execz .LBB85_66
; %bb.65:
	v_and_b32_e32 v3, 7, v2
	s_delay_alu instid0(VALU_DEP_1) | instskip(SKIP_1) | instid1(VALU_DEP_1)
	v_cmp_ne_u32_e32 vcc_lo, 7, v3
	v_add_co_ci_u32_e64 v5, null, 0, v2, vcc_lo
	v_lshlrev_b32_e32 v5, 2, v5
	v_cmp_gt_u32_e32 vcc_lo, 6, v3
	v_lshlrev_b32_e32 v4, 1, v3
	v_cndmask_b32_e64 v3, 0, 2, vcc_lo
	s_delay_alu instid0(VALU_DEP_1)
	v_add_lshl_u32 v3, v3, v2, 2
	v_lshlrev_b32_e32 v2, 2, v2
	ds_load_u16 v4, v4
	v_or_b32_e32 v2, 16, v2
	s_wait_dscnt 0x0
	v_and_b32_e32 v6, 0xffff, v4
	ds_bpermute_b32 v5, v5, v6
	s_wait_dscnt 0x0
	v_add_f16_e32 v4, v4, v5
	s_delay_alu instid0(VALU_DEP_1) | instskip(SKIP_3) | instid1(VALU_DEP_1)
	v_and_b32_e32 v5, 0xffff, v4
	ds_bpermute_b32 v3, v3, v5
	s_wait_dscnt 0x0
	v_add_f16_e32 v3, v4, v3
	v_and_b32_e32 v4, 0xffff, v3
	ds_bpermute_b32 v2, v2, v4
	s_wait_dscnt 0x0
	v_add_f16_e32 v5, v3, v2
.LBB85_66:
	s_or_b32 exec_lo, exec_lo, s0
.LBB85_67:
	s_delay_alu instid0(SALU_CYCLE_1)
	s_mov_b32 s0, exec_lo
	v_cmpx_eq_u32_e32 0, v0
	s_cbranch_execz .LBB85_69
; %bb.68:
	v_mov_b32_e32 v0, 0
	s_wait_loadcnt 0x0
	v_add_f16_e32 v1, v1, v5
	s_lshl_b64 s[0:1], s[20:21], 1
	s_delay_alu instid0(SALU_CYCLE_1)
	s_add_nc_u64 s[0:1], s[18:19], s[0:1]
	global_store_b16 v0, v1, s[0:1]
.LBB85_69:
	s_endpgm
	.section	.rodata,"a",@progbits
	.p2align	6, 0x0
	.amdhsa_kernel _ZN7rocprim17ROCPRIM_400000_NS6detail17trampoline_kernelINS0_14default_configENS1_32segmented_reduce_config_selectorIN3c104HalfEEEZNS1_21segmented_reduce_implIS3_PKS6_PS6_PKiS6_N6hipcub16HIPCUB_304000_NS6detail27convert_result_type_wrapperISA_SB_N2at6native12_GLOBAL__N_19CustomSumEEEEE10hipError_tPvRmT0_T1_jT2_SS_T4_T3_P12ihipStream_tbEUlT_E_NS1_11comp_targetILNS1_3genE0ELNS1_11target_archE4294967295ELNS1_3gpuE0ELNS1_3repE0EEENS1_30default_config_static_selectorELNS0_4arch9wavefront6targetE0EEEvSR_
		.amdhsa_group_segment_fixed_size 16
		.amdhsa_private_segment_fixed_size 0
		.amdhsa_kernarg_size 48
		.amdhsa_user_sgpr_count 2
		.amdhsa_user_sgpr_dispatch_ptr 0
		.amdhsa_user_sgpr_queue_ptr 0
		.amdhsa_user_sgpr_kernarg_segment_ptr 1
		.amdhsa_user_sgpr_dispatch_id 0
		.amdhsa_user_sgpr_kernarg_preload_length 0
		.amdhsa_user_sgpr_kernarg_preload_offset 0
		.amdhsa_user_sgpr_private_segment_size 0
		.amdhsa_wavefront_size32 1
		.amdhsa_uses_dynamic_stack 0
		.amdhsa_enable_private_segment 0
		.amdhsa_system_sgpr_workgroup_id_x 1
		.amdhsa_system_sgpr_workgroup_id_y 0
		.amdhsa_system_sgpr_workgroup_id_z 0
		.amdhsa_system_sgpr_workgroup_info 0
		.amdhsa_system_vgpr_workitem_id 0
		.amdhsa_next_free_vgpr 24
		.amdhsa_next_free_sgpr 26
		.amdhsa_named_barrier_count 0
		.amdhsa_reserve_vcc 1
		.amdhsa_float_round_mode_32 0
		.amdhsa_float_round_mode_16_64 0
		.amdhsa_float_denorm_mode_32 3
		.amdhsa_float_denorm_mode_16_64 3
		.amdhsa_fp16_overflow 0
		.amdhsa_memory_ordered 1
		.amdhsa_forward_progress 1
		.amdhsa_inst_pref_size 30
		.amdhsa_round_robin_scheduling 0
		.amdhsa_exception_fp_ieee_invalid_op 0
		.amdhsa_exception_fp_denorm_src 0
		.amdhsa_exception_fp_ieee_div_zero 0
		.amdhsa_exception_fp_ieee_overflow 0
		.amdhsa_exception_fp_ieee_underflow 0
		.amdhsa_exception_fp_ieee_inexact 0
		.amdhsa_exception_int_div_zero 0
	.end_amdhsa_kernel
	.section	.text._ZN7rocprim17ROCPRIM_400000_NS6detail17trampoline_kernelINS0_14default_configENS1_32segmented_reduce_config_selectorIN3c104HalfEEEZNS1_21segmented_reduce_implIS3_PKS6_PS6_PKiS6_N6hipcub16HIPCUB_304000_NS6detail27convert_result_type_wrapperISA_SB_N2at6native12_GLOBAL__N_19CustomSumEEEEE10hipError_tPvRmT0_T1_jT2_SS_T4_T3_P12ihipStream_tbEUlT_E_NS1_11comp_targetILNS1_3genE0ELNS1_11target_archE4294967295ELNS1_3gpuE0ELNS1_3repE0EEENS1_30default_config_static_selectorELNS0_4arch9wavefront6targetE0EEEvSR_,"axG",@progbits,_ZN7rocprim17ROCPRIM_400000_NS6detail17trampoline_kernelINS0_14default_configENS1_32segmented_reduce_config_selectorIN3c104HalfEEEZNS1_21segmented_reduce_implIS3_PKS6_PS6_PKiS6_N6hipcub16HIPCUB_304000_NS6detail27convert_result_type_wrapperISA_SB_N2at6native12_GLOBAL__N_19CustomSumEEEEE10hipError_tPvRmT0_T1_jT2_SS_T4_T3_P12ihipStream_tbEUlT_E_NS1_11comp_targetILNS1_3genE0ELNS1_11target_archE4294967295ELNS1_3gpuE0ELNS1_3repE0EEENS1_30default_config_static_selectorELNS0_4arch9wavefront6targetE0EEEvSR_,comdat
.Lfunc_end85:
	.size	_ZN7rocprim17ROCPRIM_400000_NS6detail17trampoline_kernelINS0_14default_configENS1_32segmented_reduce_config_selectorIN3c104HalfEEEZNS1_21segmented_reduce_implIS3_PKS6_PS6_PKiS6_N6hipcub16HIPCUB_304000_NS6detail27convert_result_type_wrapperISA_SB_N2at6native12_GLOBAL__N_19CustomSumEEEEE10hipError_tPvRmT0_T1_jT2_SS_T4_T3_P12ihipStream_tbEUlT_E_NS1_11comp_targetILNS1_3genE0ELNS1_11target_archE4294967295ELNS1_3gpuE0ELNS1_3repE0EEENS1_30default_config_static_selectorELNS0_4arch9wavefront6targetE0EEEvSR_, .Lfunc_end85-_ZN7rocprim17ROCPRIM_400000_NS6detail17trampoline_kernelINS0_14default_configENS1_32segmented_reduce_config_selectorIN3c104HalfEEEZNS1_21segmented_reduce_implIS3_PKS6_PS6_PKiS6_N6hipcub16HIPCUB_304000_NS6detail27convert_result_type_wrapperISA_SB_N2at6native12_GLOBAL__N_19CustomSumEEEEE10hipError_tPvRmT0_T1_jT2_SS_T4_T3_P12ihipStream_tbEUlT_E_NS1_11comp_targetILNS1_3genE0ELNS1_11target_archE4294967295ELNS1_3gpuE0ELNS1_3repE0EEENS1_30default_config_static_selectorELNS0_4arch9wavefront6targetE0EEEvSR_
                                        ; -- End function
	.set _ZN7rocprim17ROCPRIM_400000_NS6detail17trampoline_kernelINS0_14default_configENS1_32segmented_reduce_config_selectorIN3c104HalfEEEZNS1_21segmented_reduce_implIS3_PKS6_PS6_PKiS6_N6hipcub16HIPCUB_304000_NS6detail27convert_result_type_wrapperISA_SB_N2at6native12_GLOBAL__N_19CustomSumEEEEE10hipError_tPvRmT0_T1_jT2_SS_T4_T3_P12ihipStream_tbEUlT_E_NS1_11comp_targetILNS1_3genE0ELNS1_11target_archE4294967295ELNS1_3gpuE0ELNS1_3repE0EEENS1_30default_config_static_selectorELNS0_4arch9wavefront6targetE0EEEvSR_.num_vgpr, 24
	.set _ZN7rocprim17ROCPRIM_400000_NS6detail17trampoline_kernelINS0_14default_configENS1_32segmented_reduce_config_selectorIN3c104HalfEEEZNS1_21segmented_reduce_implIS3_PKS6_PS6_PKiS6_N6hipcub16HIPCUB_304000_NS6detail27convert_result_type_wrapperISA_SB_N2at6native12_GLOBAL__N_19CustomSumEEEEE10hipError_tPvRmT0_T1_jT2_SS_T4_T3_P12ihipStream_tbEUlT_E_NS1_11comp_targetILNS1_3genE0ELNS1_11target_archE4294967295ELNS1_3gpuE0ELNS1_3repE0EEENS1_30default_config_static_selectorELNS0_4arch9wavefront6targetE0EEEvSR_.num_agpr, 0
	.set _ZN7rocprim17ROCPRIM_400000_NS6detail17trampoline_kernelINS0_14default_configENS1_32segmented_reduce_config_selectorIN3c104HalfEEEZNS1_21segmented_reduce_implIS3_PKS6_PS6_PKiS6_N6hipcub16HIPCUB_304000_NS6detail27convert_result_type_wrapperISA_SB_N2at6native12_GLOBAL__N_19CustomSumEEEEE10hipError_tPvRmT0_T1_jT2_SS_T4_T3_P12ihipStream_tbEUlT_E_NS1_11comp_targetILNS1_3genE0ELNS1_11target_archE4294967295ELNS1_3gpuE0ELNS1_3repE0EEENS1_30default_config_static_selectorELNS0_4arch9wavefront6targetE0EEEvSR_.numbered_sgpr, 26
	.set _ZN7rocprim17ROCPRIM_400000_NS6detail17trampoline_kernelINS0_14default_configENS1_32segmented_reduce_config_selectorIN3c104HalfEEEZNS1_21segmented_reduce_implIS3_PKS6_PS6_PKiS6_N6hipcub16HIPCUB_304000_NS6detail27convert_result_type_wrapperISA_SB_N2at6native12_GLOBAL__N_19CustomSumEEEEE10hipError_tPvRmT0_T1_jT2_SS_T4_T3_P12ihipStream_tbEUlT_E_NS1_11comp_targetILNS1_3genE0ELNS1_11target_archE4294967295ELNS1_3gpuE0ELNS1_3repE0EEENS1_30default_config_static_selectorELNS0_4arch9wavefront6targetE0EEEvSR_.num_named_barrier, 0
	.set _ZN7rocprim17ROCPRIM_400000_NS6detail17trampoline_kernelINS0_14default_configENS1_32segmented_reduce_config_selectorIN3c104HalfEEEZNS1_21segmented_reduce_implIS3_PKS6_PS6_PKiS6_N6hipcub16HIPCUB_304000_NS6detail27convert_result_type_wrapperISA_SB_N2at6native12_GLOBAL__N_19CustomSumEEEEE10hipError_tPvRmT0_T1_jT2_SS_T4_T3_P12ihipStream_tbEUlT_E_NS1_11comp_targetILNS1_3genE0ELNS1_11target_archE4294967295ELNS1_3gpuE0ELNS1_3repE0EEENS1_30default_config_static_selectorELNS0_4arch9wavefront6targetE0EEEvSR_.private_seg_size, 0
	.set _ZN7rocprim17ROCPRIM_400000_NS6detail17trampoline_kernelINS0_14default_configENS1_32segmented_reduce_config_selectorIN3c104HalfEEEZNS1_21segmented_reduce_implIS3_PKS6_PS6_PKiS6_N6hipcub16HIPCUB_304000_NS6detail27convert_result_type_wrapperISA_SB_N2at6native12_GLOBAL__N_19CustomSumEEEEE10hipError_tPvRmT0_T1_jT2_SS_T4_T3_P12ihipStream_tbEUlT_E_NS1_11comp_targetILNS1_3genE0ELNS1_11target_archE4294967295ELNS1_3gpuE0ELNS1_3repE0EEENS1_30default_config_static_selectorELNS0_4arch9wavefront6targetE0EEEvSR_.uses_vcc, 1
	.set _ZN7rocprim17ROCPRIM_400000_NS6detail17trampoline_kernelINS0_14default_configENS1_32segmented_reduce_config_selectorIN3c104HalfEEEZNS1_21segmented_reduce_implIS3_PKS6_PS6_PKiS6_N6hipcub16HIPCUB_304000_NS6detail27convert_result_type_wrapperISA_SB_N2at6native12_GLOBAL__N_19CustomSumEEEEE10hipError_tPvRmT0_T1_jT2_SS_T4_T3_P12ihipStream_tbEUlT_E_NS1_11comp_targetILNS1_3genE0ELNS1_11target_archE4294967295ELNS1_3gpuE0ELNS1_3repE0EEENS1_30default_config_static_selectorELNS0_4arch9wavefront6targetE0EEEvSR_.uses_flat_scratch, 0
	.set _ZN7rocprim17ROCPRIM_400000_NS6detail17trampoline_kernelINS0_14default_configENS1_32segmented_reduce_config_selectorIN3c104HalfEEEZNS1_21segmented_reduce_implIS3_PKS6_PS6_PKiS6_N6hipcub16HIPCUB_304000_NS6detail27convert_result_type_wrapperISA_SB_N2at6native12_GLOBAL__N_19CustomSumEEEEE10hipError_tPvRmT0_T1_jT2_SS_T4_T3_P12ihipStream_tbEUlT_E_NS1_11comp_targetILNS1_3genE0ELNS1_11target_archE4294967295ELNS1_3gpuE0ELNS1_3repE0EEENS1_30default_config_static_selectorELNS0_4arch9wavefront6targetE0EEEvSR_.has_dyn_sized_stack, 0
	.set _ZN7rocprim17ROCPRIM_400000_NS6detail17trampoline_kernelINS0_14default_configENS1_32segmented_reduce_config_selectorIN3c104HalfEEEZNS1_21segmented_reduce_implIS3_PKS6_PS6_PKiS6_N6hipcub16HIPCUB_304000_NS6detail27convert_result_type_wrapperISA_SB_N2at6native12_GLOBAL__N_19CustomSumEEEEE10hipError_tPvRmT0_T1_jT2_SS_T4_T3_P12ihipStream_tbEUlT_E_NS1_11comp_targetILNS1_3genE0ELNS1_11target_archE4294967295ELNS1_3gpuE0ELNS1_3repE0EEENS1_30default_config_static_selectorELNS0_4arch9wavefront6targetE0EEEvSR_.has_recursion, 0
	.set _ZN7rocprim17ROCPRIM_400000_NS6detail17trampoline_kernelINS0_14default_configENS1_32segmented_reduce_config_selectorIN3c104HalfEEEZNS1_21segmented_reduce_implIS3_PKS6_PS6_PKiS6_N6hipcub16HIPCUB_304000_NS6detail27convert_result_type_wrapperISA_SB_N2at6native12_GLOBAL__N_19CustomSumEEEEE10hipError_tPvRmT0_T1_jT2_SS_T4_T3_P12ihipStream_tbEUlT_E_NS1_11comp_targetILNS1_3genE0ELNS1_11target_archE4294967295ELNS1_3gpuE0ELNS1_3repE0EEENS1_30default_config_static_selectorELNS0_4arch9wavefront6targetE0EEEvSR_.has_indirect_call, 0
	.section	.AMDGPU.csdata,"",@progbits
; Kernel info:
; codeLenInByte = 3732
; TotalNumSgprs: 28
; NumVgprs: 24
; ScratchSize: 0
; MemoryBound: 0
; FloatMode: 240
; IeeeMode: 1
; LDSByteSize: 16 bytes/workgroup (compile time only)
; SGPRBlocks: 0
; VGPRBlocks: 1
; NumSGPRsForWavesPerEU: 28
; NumVGPRsForWavesPerEU: 24
; NamedBarCnt: 0
; Occupancy: 16
; WaveLimiterHint : 1
; COMPUTE_PGM_RSRC2:SCRATCH_EN: 0
; COMPUTE_PGM_RSRC2:USER_SGPR: 2
; COMPUTE_PGM_RSRC2:TRAP_HANDLER: 0
; COMPUTE_PGM_RSRC2:TGID_X_EN: 1
; COMPUTE_PGM_RSRC2:TGID_Y_EN: 0
; COMPUTE_PGM_RSRC2:TGID_Z_EN: 0
; COMPUTE_PGM_RSRC2:TIDIG_COMP_CNT: 0
	.section	.text._ZN7rocprim17ROCPRIM_400000_NS6detail17trampoline_kernelINS0_14default_configENS1_32segmented_reduce_config_selectorIN3c104HalfEEEZNS1_21segmented_reduce_implIS3_PKS6_PS6_PKiS6_N6hipcub16HIPCUB_304000_NS6detail27convert_result_type_wrapperISA_SB_N2at6native12_GLOBAL__N_19CustomSumEEEEE10hipError_tPvRmT0_T1_jT2_SS_T4_T3_P12ihipStream_tbEUlT_E_NS1_11comp_targetILNS1_3genE5ELNS1_11target_archE942ELNS1_3gpuE9ELNS1_3repE0EEENS1_30default_config_static_selectorELNS0_4arch9wavefront6targetE0EEEvSR_,"axG",@progbits,_ZN7rocprim17ROCPRIM_400000_NS6detail17trampoline_kernelINS0_14default_configENS1_32segmented_reduce_config_selectorIN3c104HalfEEEZNS1_21segmented_reduce_implIS3_PKS6_PS6_PKiS6_N6hipcub16HIPCUB_304000_NS6detail27convert_result_type_wrapperISA_SB_N2at6native12_GLOBAL__N_19CustomSumEEEEE10hipError_tPvRmT0_T1_jT2_SS_T4_T3_P12ihipStream_tbEUlT_E_NS1_11comp_targetILNS1_3genE5ELNS1_11target_archE942ELNS1_3gpuE9ELNS1_3repE0EEENS1_30default_config_static_selectorELNS0_4arch9wavefront6targetE0EEEvSR_,comdat
	.globl	_ZN7rocprim17ROCPRIM_400000_NS6detail17trampoline_kernelINS0_14default_configENS1_32segmented_reduce_config_selectorIN3c104HalfEEEZNS1_21segmented_reduce_implIS3_PKS6_PS6_PKiS6_N6hipcub16HIPCUB_304000_NS6detail27convert_result_type_wrapperISA_SB_N2at6native12_GLOBAL__N_19CustomSumEEEEE10hipError_tPvRmT0_T1_jT2_SS_T4_T3_P12ihipStream_tbEUlT_E_NS1_11comp_targetILNS1_3genE5ELNS1_11target_archE942ELNS1_3gpuE9ELNS1_3repE0EEENS1_30default_config_static_selectorELNS0_4arch9wavefront6targetE0EEEvSR_ ; -- Begin function _ZN7rocprim17ROCPRIM_400000_NS6detail17trampoline_kernelINS0_14default_configENS1_32segmented_reduce_config_selectorIN3c104HalfEEEZNS1_21segmented_reduce_implIS3_PKS6_PS6_PKiS6_N6hipcub16HIPCUB_304000_NS6detail27convert_result_type_wrapperISA_SB_N2at6native12_GLOBAL__N_19CustomSumEEEEE10hipError_tPvRmT0_T1_jT2_SS_T4_T3_P12ihipStream_tbEUlT_E_NS1_11comp_targetILNS1_3genE5ELNS1_11target_archE942ELNS1_3gpuE9ELNS1_3repE0EEENS1_30default_config_static_selectorELNS0_4arch9wavefront6targetE0EEEvSR_
	.p2align	8
	.type	_ZN7rocprim17ROCPRIM_400000_NS6detail17trampoline_kernelINS0_14default_configENS1_32segmented_reduce_config_selectorIN3c104HalfEEEZNS1_21segmented_reduce_implIS3_PKS6_PS6_PKiS6_N6hipcub16HIPCUB_304000_NS6detail27convert_result_type_wrapperISA_SB_N2at6native12_GLOBAL__N_19CustomSumEEEEE10hipError_tPvRmT0_T1_jT2_SS_T4_T3_P12ihipStream_tbEUlT_E_NS1_11comp_targetILNS1_3genE5ELNS1_11target_archE942ELNS1_3gpuE9ELNS1_3repE0EEENS1_30default_config_static_selectorELNS0_4arch9wavefront6targetE0EEEvSR_,@function
_ZN7rocprim17ROCPRIM_400000_NS6detail17trampoline_kernelINS0_14default_configENS1_32segmented_reduce_config_selectorIN3c104HalfEEEZNS1_21segmented_reduce_implIS3_PKS6_PS6_PKiS6_N6hipcub16HIPCUB_304000_NS6detail27convert_result_type_wrapperISA_SB_N2at6native12_GLOBAL__N_19CustomSumEEEEE10hipError_tPvRmT0_T1_jT2_SS_T4_T3_P12ihipStream_tbEUlT_E_NS1_11comp_targetILNS1_3genE5ELNS1_11target_archE942ELNS1_3gpuE9ELNS1_3repE0EEENS1_30default_config_static_selectorELNS0_4arch9wavefront6targetE0EEEvSR_: ; @_ZN7rocprim17ROCPRIM_400000_NS6detail17trampoline_kernelINS0_14default_configENS1_32segmented_reduce_config_selectorIN3c104HalfEEEZNS1_21segmented_reduce_implIS3_PKS6_PS6_PKiS6_N6hipcub16HIPCUB_304000_NS6detail27convert_result_type_wrapperISA_SB_N2at6native12_GLOBAL__N_19CustomSumEEEEE10hipError_tPvRmT0_T1_jT2_SS_T4_T3_P12ihipStream_tbEUlT_E_NS1_11comp_targetILNS1_3genE5ELNS1_11target_archE942ELNS1_3gpuE9ELNS1_3repE0EEENS1_30default_config_static_selectorELNS0_4arch9wavefront6targetE0EEEvSR_
; %bb.0:
	.section	.rodata,"a",@progbits
	.p2align	6, 0x0
	.amdhsa_kernel _ZN7rocprim17ROCPRIM_400000_NS6detail17trampoline_kernelINS0_14default_configENS1_32segmented_reduce_config_selectorIN3c104HalfEEEZNS1_21segmented_reduce_implIS3_PKS6_PS6_PKiS6_N6hipcub16HIPCUB_304000_NS6detail27convert_result_type_wrapperISA_SB_N2at6native12_GLOBAL__N_19CustomSumEEEEE10hipError_tPvRmT0_T1_jT2_SS_T4_T3_P12ihipStream_tbEUlT_E_NS1_11comp_targetILNS1_3genE5ELNS1_11target_archE942ELNS1_3gpuE9ELNS1_3repE0EEENS1_30default_config_static_selectorELNS0_4arch9wavefront6targetE0EEEvSR_
		.amdhsa_group_segment_fixed_size 0
		.amdhsa_private_segment_fixed_size 0
		.amdhsa_kernarg_size 48
		.amdhsa_user_sgpr_count 2
		.amdhsa_user_sgpr_dispatch_ptr 0
		.amdhsa_user_sgpr_queue_ptr 0
		.amdhsa_user_sgpr_kernarg_segment_ptr 1
		.amdhsa_user_sgpr_dispatch_id 0
		.amdhsa_user_sgpr_kernarg_preload_length 0
		.amdhsa_user_sgpr_kernarg_preload_offset 0
		.amdhsa_user_sgpr_private_segment_size 0
		.amdhsa_wavefront_size32 1
		.amdhsa_uses_dynamic_stack 0
		.amdhsa_enable_private_segment 0
		.amdhsa_system_sgpr_workgroup_id_x 1
		.amdhsa_system_sgpr_workgroup_id_y 0
		.amdhsa_system_sgpr_workgroup_id_z 0
		.amdhsa_system_sgpr_workgroup_info 0
		.amdhsa_system_vgpr_workitem_id 0
		.amdhsa_next_free_vgpr 1
		.amdhsa_next_free_sgpr 1
		.amdhsa_named_barrier_count 0
		.amdhsa_reserve_vcc 0
		.amdhsa_float_round_mode_32 0
		.amdhsa_float_round_mode_16_64 0
		.amdhsa_float_denorm_mode_32 3
		.amdhsa_float_denorm_mode_16_64 3
		.amdhsa_fp16_overflow 0
		.amdhsa_memory_ordered 1
		.amdhsa_forward_progress 1
		.amdhsa_inst_pref_size 0
		.amdhsa_round_robin_scheduling 0
		.amdhsa_exception_fp_ieee_invalid_op 0
		.amdhsa_exception_fp_denorm_src 0
		.amdhsa_exception_fp_ieee_div_zero 0
		.amdhsa_exception_fp_ieee_overflow 0
		.amdhsa_exception_fp_ieee_underflow 0
		.amdhsa_exception_fp_ieee_inexact 0
		.amdhsa_exception_int_div_zero 0
	.end_amdhsa_kernel
	.section	.text._ZN7rocprim17ROCPRIM_400000_NS6detail17trampoline_kernelINS0_14default_configENS1_32segmented_reduce_config_selectorIN3c104HalfEEEZNS1_21segmented_reduce_implIS3_PKS6_PS6_PKiS6_N6hipcub16HIPCUB_304000_NS6detail27convert_result_type_wrapperISA_SB_N2at6native12_GLOBAL__N_19CustomSumEEEEE10hipError_tPvRmT0_T1_jT2_SS_T4_T3_P12ihipStream_tbEUlT_E_NS1_11comp_targetILNS1_3genE5ELNS1_11target_archE942ELNS1_3gpuE9ELNS1_3repE0EEENS1_30default_config_static_selectorELNS0_4arch9wavefront6targetE0EEEvSR_,"axG",@progbits,_ZN7rocprim17ROCPRIM_400000_NS6detail17trampoline_kernelINS0_14default_configENS1_32segmented_reduce_config_selectorIN3c104HalfEEEZNS1_21segmented_reduce_implIS3_PKS6_PS6_PKiS6_N6hipcub16HIPCUB_304000_NS6detail27convert_result_type_wrapperISA_SB_N2at6native12_GLOBAL__N_19CustomSumEEEEE10hipError_tPvRmT0_T1_jT2_SS_T4_T3_P12ihipStream_tbEUlT_E_NS1_11comp_targetILNS1_3genE5ELNS1_11target_archE942ELNS1_3gpuE9ELNS1_3repE0EEENS1_30default_config_static_selectorELNS0_4arch9wavefront6targetE0EEEvSR_,comdat
.Lfunc_end86:
	.size	_ZN7rocprim17ROCPRIM_400000_NS6detail17trampoline_kernelINS0_14default_configENS1_32segmented_reduce_config_selectorIN3c104HalfEEEZNS1_21segmented_reduce_implIS3_PKS6_PS6_PKiS6_N6hipcub16HIPCUB_304000_NS6detail27convert_result_type_wrapperISA_SB_N2at6native12_GLOBAL__N_19CustomSumEEEEE10hipError_tPvRmT0_T1_jT2_SS_T4_T3_P12ihipStream_tbEUlT_E_NS1_11comp_targetILNS1_3genE5ELNS1_11target_archE942ELNS1_3gpuE9ELNS1_3repE0EEENS1_30default_config_static_selectorELNS0_4arch9wavefront6targetE0EEEvSR_, .Lfunc_end86-_ZN7rocprim17ROCPRIM_400000_NS6detail17trampoline_kernelINS0_14default_configENS1_32segmented_reduce_config_selectorIN3c104HalfEEEZNS1_21segmented_reduce_implIS3_PKS6_PS6_PKiS6_N6hipcub16HIPCUB_304000_NS6detail27convert_result_type_wrapperISA_SB_N2at6native12_GLOBAL__N_19CustomSumEEEEE10hipError_tPvRmT0_T1_jT2_SS_T4_T3_P12ihipStream_tbEUlT_E_NS1_11comp_targetILNS1_3genE5ELNS1_11target_archE942ELNS1_3gpuE9ELNS1_3repE0EEENS1_30default_config_static_selectorELNS0_4arch9wavefront6targetE0EEEvSR_
                                        ; -- End function
	.set _ZN7rocprim17ROCPRIM_400000_NS6detail17trampoline_kernelINS0_14default_configENS1_32segmented_reduce_config_selectorIN3c104HalfEEEZNS1_21segmented_reduce_implIS3_PKS6_PS6_PKiS6_N6hipcub16HIPCUB_304000_NS6detail27convert_result_type_wrapperISA_SB_N2at6native12_GLOBAL__N_19CustomSumEEEEE10hipError_tPvRmT0_T1_jT2_SS_T4_T3_P12ihipStream_tbEUlT_E_NS1_11comp_targetILNS1_3genE5ELNS1_11target_archE942ELNS1_3gpuE9ELNS1_3repE0EEENS1_30default_config_static_selectorELNS0_4arch9wavefront6targetE0EEEvSR_.num_vgpr, 0
	.set _ZN7rocprim17ROCPRIM_400000_NS6detail17trampoline_kernelINS0_14default_configENS1_32segmented_reduce_config_selectorIN3c104HalfEEEZNS1_21segmented_reduce_implIS3_PKS6_PS6_PKiS6_N6hipcub16HIPCUB_304000_NS6detail27convert_result_type_wrapperISA_SB_N2at6native12_GLOBAL__N_19CustomSumEEEEE10hipError_tPvRmT0_T1_jT2_SS_T4_T3_P12ihipStream_tbEUlT_E_NS1_11comp_targetILNS1_3genE5ELNS1_11target_archE942ELNS1_3gpuE9ELNS1_3repE0EEENS1_30default_config_static_selectorELNS0_4arch9wavefront6targetE0EEEvSR_.num_agpr, 0
	.set _ZN7rocprim17ROCPRIM_400000_NS6detail17trampoline_kernelINS0_14default_configENS1_32segmented_reduce_config_selectorIN3c104HalfEEEZNS1_21segmented_reduce_implIS3_PKS6_PS6_PKiS6_N6hipcub16HIPCUB_304000_NS6detail27convert_result_type_wrapperISA_SB_N2at6native12_GLOBAL__N_19CustomSumEEEEE10hipError_tPvRmT0_T1_jT2_SS_T4_T3_P12ihipStream_tbEUlT_E_NS1_11comp_targetILNS1_3genE5ELNS1_11target_archE942ELNS1_3gpuE9ELNS1_3repE0EEENS1_30default_config_static_selectorELNS0_4arch9wavefront6targetE0EEEvSR_.numbered_sgpr, 0
	.set _ZN7rocprim17ROCPRIM_400000_NS6detail17trampoline_kernelINS0_14default_configENS1_32segmented_reduce_config_selectorIN3c104HalfEEEZNS1_21segmented_reduce_implIS3_PKS6_PS6_PKiS6_N6hipcub16HIPCUB_304000_NS6detail27convert_result_type_wrapperISA_SB_N2at6native12_GLOBAL__N_19CustomSumEEEEE10hipError_tPvRmT0_T1_jT2_SS_T4_T3_P12ihipStream_tbEUlT_E_NS1_11comp_targetILNS1_3genE5ELNS1_11target_archE942ELNS1_3gpuE9ELNS1_3repE0EEENS1_30default_config_static_selectorELNS0_4arch9wavefront6targetE0EEEvSR_.num_named_barrier, 0
	.set _ZN7rocprim17ROCPRIM_400000_NS6detail17trampoline_kernelINS0_14default_configENS1_32segmented_reduce_config_selectorIN3c104HalfEEEZNS1_21segmented_reduce_implIS3_PKS6_PS6_PKiS6_N6hipcub16HIPCUB_304000_NS6detail27convert_result_type_wrapperISA_SB_N2at6native12_GLOBAL__N_19CustomSumEEEEE10hipError_tPvRmT0_T1_jT2_SS_T4_T3_P12ihipStream_tbEUlT_E_NS1_11comp_targetILNS1_3genE5ELNS1_11target_archE942ELNS1_3gpuE9ELNS1_3repE0EEENS1_30default_config_static_selectorELNS0_4arch9wavefront6targetE0EEEvSR_.private_seg_size, 0
	.set _ZN7rocprim17ROCPRIM_400000_NS6detail17trampoline_kernelINS0_14default_configENS1_32segmented_reduce_config_selectorIN3c104HalfEEEZNS1_21segmented_reduce_implIS3_PKS6_PS6_PKiS6_N6hipcub16HIPCUB_304000_NS6detail27convert_result_type_wrapperISA_SB_N2at6native12_GLOBAL__N_19CustomSumEEEEE10hipError_tPvRmT0_T1_jT2_SS_T4_T3_P12ihipStream_tbEUlT_E_NS1_11comp_targetILNS1_3genE5ELNS1_11target_archE942ELNS1_3gpuE9ELNS1_3repE0EEENS1_30default_config_static_selectorELNS0_4arch9wavefront6targetE0EEEvSR_.uses_vcc, 0
	.set _ZN7rocprim17ROCPRIM_400000_NS6detail17trampoline_kernelINS0_14default_configENS1_32segmented_reduce_config_selectorIN3c104HalfEEEZNS1_21segmented_reduce_implIS3_PKS6_PS6_PKiS6_N6hipcub16HIPCUB_304000_NS6detail27convert_result_type_wrapperISA_SB_N2at6native12_GLOBAL__N_19CustomSumEEEEE10hipError_tPvRmT0_T1_jT2_SS_T4_T3_P12ihipStream_tbEUlT_E_NS1_11comp_targetILNS1_3genE5ELNS1_11target_archE942ELNS1_3gpuE9ELNS1_3repE0EEENS1_30default_config_static_selectorELNS0_4arch9wavefront6targetE0EEEvSR_.uses_flat_scratch, 0
	.set _ZN7rocprim17ROCPRIM_400000_NS6detail17trampoline_kernelINS0_14default_configENS1_32segmented_reduce_config_selectorIN3c104HalfEEEZNS1_21segmented_reduce_implIS3_PKS6_PS6_PKiS6_N6hipcub16HIPCUB_304000_NS6detail27convert_result_type_wrapperISA_SB_N2at6native12_GLOBAL__N_19CustomSumEEEEE10hipError_tPvRmT0_T1_jT2_SS_T4_T3_P12ihipStream_tbEUlT_E_NS1_11comp_targetILNS1_3genE5ELNS1_11target_archE942ELNS1_3gpuE9ELNS1_3repE0EEENS1_30default_config_static_selectorELNS0_4arch9wavefront6targetE0EEEvSR_.has_dyn_sized_stack, 0
	.set _ZN7rocprim17ROCPRIM_400000_NS6detail17trampoline_kernelINS0_14default_configENS1_32segmented_reduce_config_selectorIN3c104HalfEEEZNS1_21segmented_reduce_implIS3_PKS6_PS6_PKiS6_N6hipcub16HIPCUB_304000_NS6detail27convert_result_type_wrapperISA_SB_N2at6native12_GLOBAL__N_19CustomSumEEEEE10hipError_tPvRmT0_T1_jT2_SS_T4_T3_P12ihipStream_tbEUlT_E_NS1_11comp_targetILNS1_3genE5ELNS1_11target_archE942ELNS1_3gpuE9ELNS1_3repE0EEENS1_30default_config_static_selectorELNS0_4arch9wavefront6targetE0EEEvSR_.has_recursion, 0
	.set _ZN7rocprim17ROCPRIM_400000_NS6detail17trampoline_kernelINS0_14default_configENS1_32segmented_reduce_config_selectorIN3c104HalfEEEZNS1_21segmented_reduce_implIS3_PKS6_PS6_PKiS6_N6hipcub16HIPCUB_304000_NS6detail27convert_result_type_wrapperISA_SB_N2at6native12_GLOBAL__N_19CustomSumEEEEE10hipError_tPvRmT0_T1_jT2_SS_T4_T3_P12ihipStream_tbEUlT_E_NS1_11comp_targetILNS1_3genE5ELNS1_11target_archE942ELNS1_3gpuE9ELNS1_3repE0EEENS1_30default_config_static_selectorELNS0_4arch9wavefront6targetE0EEEvSR_.has_indirect_call, 0
	.section	.AMDGPU.csdata,"",@progbits
; Kernel info:
; codeLenInByte = 0
; TotalNumSgprs: 0
; NumVgprs: 0
; ScratchSize: 0
; MemoryBound: 0
; FloatMode: 240
; IeeeMode: 1
; LDSByteSize: 0 bytes/workgroup (compile time only)
; SGPRBlocks: 0
; VGPRBlocks: 0
; NumSGPRsForWavesPerEU: 1
; NumVGPRsForWavesPerEU: 1
; NamedBarCnt: 0
; Occupancy: 16
; WaveLimiterHint : 0
; COMPUTE_PGM_RSRC2:SCRATCH_EN: 0
; COMPUTE_PGM_RSRC2:USER_SGPR: 2
; COMPUTE_PGM_RSRC2:TRAP_HANDLER: 0
; COMPUTE_PGM_RSRC2:TGID_X_EN: 1
; COMPUTE_PGM_RSRC2:TGID_Y_EN: 0
; COMPUTE_PGM_RSRC2:TGID_Z_EN: 0
; COMPUTE_PGM_RSRC2:TIDIG_COMP_CNT: 0
	.section	.text._ZN7rocprim17ROCPRIM_400000_NS6detail17trampoline_kernelINS0_14default_configENS1_32segmented_reduce_config_selectorIN3c104HalfEEEZNS1_21segmented_reduce_implIS3_PKS6_PS6_PKiS6_N6hipcub16HIPCUB_304000_NS6detail27convert_result_type_wrapperISA_SB_N2at6native12_GLOBAL__N_19CustomSumEEEEE10hipError_tPvRmT0_T1_jT2_SS_T4_T3_P12ihipStream_tbEUlT_E_NS1_11comp_targetILNS1_3genE10ELNS1_11target_archE1201ELNS1_3gpuE5ELNS1_3repE0EEENS1_30default_config_static_selectorELNS0_4arch9wavefront6targetE0EEEvSR_,"axG",@progbits,_ZN7rocprim17ROCPRIM_400000_NS6detail17trampoline_kernelINS0_14default_configENS1_32segmented_reduce_config_selectorIN3c104HalfEEEZNS1_21segmented_reduce_implIS3_PKS6_PS6_PKiS6_N6hipcub16HIPCUB_304000_NS6detail27convert_result_type_wrapperISA_SB_N2at6native12_GLOBAL__N_19CustomSumEEEEE10hipError_tPvRmT0_T1_jT2_SS_T4_T3_P12ihipStream_tbEUlT_E_NS1_11comp_targetILNS1_3genE10ELNS1_11target_archE1201ELNS1_3gpuE5ELNS1_3repE0EEENS1_30default_config_static_selectorELNS0_4arch9wavefront6targetE0EEEvSR_,comdat
	.globl	_ZN7rocprim17ROCPRIM_400000_NS6detail17trampoline_kernelINS0_14default_configENS1_32segmented_reduce_config_selectorIN3c104HalfEEEZNS1_21segmented_reduce_implIS3_PKS6_PS6_PKiS6_N6hipcub16HIPCUB_304000_NS6detail27convert_result_type_wrapperISA_SB_N2at6native12_GLOBAL__N_19CustomSumEEEEE10hipError_tPvRmT0_T1_jT2_SS_T4_T3_P12ihipStream_tbEUlT_E_NS1_11comp_targetILNS1_3genE10ELNS1_11target_archE1201ELNS1_3gpuE5ELNS1_3repE0EEENS1_30default_config_static_selectorELNS0_4arch9wavefront6targetE0EEEvSR_ ; -- Begin function _ZN7rocprim17ROCPRIM_400000_NS6detail17trampoline_kernelINS0_14default_configENS1_32segmented_reduce_config_selectorIN3c104HalfEEEZNS1_21segmented_reduce_implIS3_PKS6_PS6_PKiS6_N6hipcub16HIPCUB_304000_NS6detail27convert_result_type_wrapperISA_SB_N2at6native12_GLOBAL__N_19CustomSumEEEEE10hipError_tPvRmT0_T1_jT2_SS_T4_T3_P12ihipStream_tbEUlT_E_NS1_11comp_targetILNS1_3genE10ELNS1_11target_archE1201ELNS1_3gpuE5ELNS1_3repE0EEENS1_30default_config_static_selectorELNS0_4arch9wavefront6targetE0EEEvSR_
	.p2align	8
	.type	_ZN7rocprim17ROCPRIM_400000_NS6detail17trampoline_kernelINS0_14default_configENS1_32segmented_reduce_config_selectorIN3c104HalfEEEZNS1_21segmented_reduce_implIS3_PKS6_PS6_PKiS6_N6hipcub16HIPCUB_304000_NS6detail27convert_result_type_wrapperISA_SB_N2at6native12_GLOBAL__N_19CustomSumEEEEE10hipError_tPvRmT0_T1_jT2_SS_T4_T3_P12ihipStream_tbEUlT_E_NS1_11comp_targetILNS1_3genE10ELNS1_11target_archE1201ELNS1_3gpuE5ELNS1_3repE0EEENS1_30default_config_static_selectorELNS0_4arch9wavefront6targetE0EEEvSR_,@function
_ZN7rocprim17ROCPRIM_400000_NS6detail17trampoline_kernelINS0_14default_configENS1_32segmented_reduce_config_selectorIN3c104HalfEEEZNS1_21segmented_reduce_implIS3_PKS6_PS6_PKiS6_N6hipcub16HIPCUB_304000_NS6detail27convert_result_type_wrapperISA_SB_N2at6native12_GLOBAL__N_19CustomSumEEEEE10hipError_tPvRmT0_T1_jT2_SS_T4_T3_P12ihipStream_tbEUlT_E_NS1_11comp_targetILNS1_3genE10ELNS1_11target_archE1201ELNS1_3gpuE5ELNS1_3repE0EEENS1_30default_config_static_selectorELNS0_4arch9wavefront6targetE0EEEvSR_: ; @_ZN7rocprim17ROCPRIM_400000_NS6detail17trampoline_kernelINS0_14default_configENS1_32segmented_reduce_config_selectorIN3c104HalfEEEZNS1_21segmented_reduce_implIS3_PKS6_PS6_PKiS6_N6hipcub16HIPCUB_304000_NS6detail27convert_result_type_wrapperISA_SB_N2at6native12_GLOBAL__N_19CustomSumEEEEE10hipError_tPvRmT0_T1_jT2_SS_T4_T3_P12ihipStream_tbEUlT_E_NS1_11comp_targetILNS1_3genE10ELNS1_11target_archE1201ELNS1_3gpuE5ELNS1_3repE0EEENS1_30default_config_static_selectorELNS0_4arch9wavefront6targetE0EEEvSR_
; %bb.0:
	.section	.rodata,"a",@progbits
	.p2align	6, 0x0
	.amdhsa_kernel _ZN7rocprim17ROCPRIM_400000_NS6detail17trampoline_kernelINS0_14default_configENS1_32segmented_reduce_config_selectorIN3c104HalfEEEZNS1_21segmented_reduce_implIS3_PKS6_PS6_PKiS6_N6hipcub16HIPCUB_304000_NS6detail27convert_result_type_wrapperISA_SB_N2at6native12_GLOBAL__N_19CustomSumEEEEE10hipError_tPvRmT0_T1_jT2_SS_T4_T3_P12ihipStream_tbEUlT_E_NS1_11comp_targetILNS1_3genE10ELNS1_11target_archE1201ELNS1_3gpuE5ELNS1_3repE0EEENS1_30default_config_static_selectorELNS0_4arch9wavefront6targetE0EEEvSR_
		.amdhsa_group_segment_fixed_size 0
		.amdhsa_private_segment_fixed_size 0
		.amdhsa_kernarg_size 48
		.amdhsa_user_sgpr_count 2
		.amdhsa_user_sgpr_dispatch_ptr 0
		.amdhsa_user_sgpr_queue_ptr 0
		.amdhsa_user_sgpr_kernarg_segment_ptr 1
		.amdhsa_user_sgpr_dispatch_id 0
		.amdhsa_user_sgpr_kernarg_preload_length 0
		.amdhsa_user_sgpr_kernarg_preload_offset 0
		.amdhsa_user_sgpr_private_segment_size 0
		.amdhsa_wavefront_size32 1
		.amdhsa_uses_dynamic_stack 0
		.amdhsa_enable_private_segment 0
		.amdhsa_system_sgpr_workgroup_id_x 1
		.amdhsa_system_sgpr_workgroup_id_y 0
		.amdhsa_system_sgpr_workgroup_id_z 0
		.amdhsa_system_sgpr_workgroup_info 0
		.amdhsa_system_vgpr_workitem_id 0
		.amdhsa_next_free_vgpr 1
		.amdhsa_next_free_sgpr 1
		.amdhsa_named_barrier_count 0
		.amdhsa_reserve_vcc 0
		.amdhsa_float_round_mode_32 0
		.amdhsa_float_round_mode_16_64 0
		.amdhsa_float_denorm_mode_32 3
		.amdhsa_float_denorm_mode_16_64 3
		.amdhsa_fp16_overflow 0
		.amdhsa_memory_ordered 1
		.amdhsa_forward_progress 1
		.amdhsa_inst_pref_size 0
		.amdhsa_round_robin_scheduling 0
		.amdhsa_exception_fp_ieee_invalid_op 0
		.amdhsa_exception_fp_denorm_src 0
		.amdhsa_exception_fp_ieee_div_zero 0
		.amdhsa_exception_fp_ieee_overflow 0
		.amdhsa_exception_fp_ieee_underflow 0
		.amdhsa_exception_fp_ieee_inexact 0
		.amdhsa_exception_int_div_zero 0
	.end_amdhsa_kernel
	.section	.text._ZN7rocprim17ROCPRIM_400000_NS6detail17trampoline_kernelINS0_14default_configENS1_32segmented_reduce_config_selectorIN3c104HalfEEEZNS1_21segmented_reduce_implIS3_PKS6_PS6_PKiS6_N6hipcub16HIPCUB_304000_NS6detail27convert_result_type_wrapperISA_SB_N2at6native12_GLOBAL__N_19CustomSumEEEEE10hipError_tPvRmT0_T1_jT2_SS_T4_T3_P12ihipStream_tbEUlT_E_NS1_11comp_targetILNS1_3genE10ELNS1_11target_archE1201ELNS1_3gpuE5ELNS1_3repE0EEENS1_30default_config_static_selectorELNS0_4arch9wavefront6targetE0EEEvSR_,"axG",@progbits,_ZN7rocprim17ROCPRIM_400000_NS6detail17trampoline_kernelINS0_14default_configENS1_32segmented_reduce_config_selectorIN3c104HalfEEEZNS1_21segmented_reduce_implIS3_PKS6_PS6_PKiS6_N6hipcub16HIPCUB_304000_NS6detail27convert_result_type_wrapperISA_SB_N2at6native12_GLOBAL__N_19CustomSumEEEEE10hipError_tPvRmT0_T1_jT2_SS_T4_T3_P12ihipStream_tbEUlT_E_NS1_11comp_targetILNS1_3genE10ELNS1_11target_archE1201ELNS1_3gpuE5ELNS1_3repE0EEENS1_30default_config_static_selectorELNS0_4arch9wavefront6targetE0EEEvSR_,comdat
.Lfunc_end87:
	.size	_ZN7rocprim17ROCPRIM_400000_NS6detail17trampoline_kernelINS0_14default_configENS1_32segmented_reduce_config_selectorIN3c104HalfEEEZNS1_21segmented_reduce_implIS3_PKS6_PS6_PKiS6_N6hipcub16HIPCUB_304000_NS6detail27convert_result_type_wrapperISA_SB_N2at6native12_GLOBAL__N_19CustomSumEEEEE10hipError_tPvRmT0_T1_jT2_SS_T4_T3_P12ihipStream_tbEUlT_E_NS1_11comp_targetILNS1_3genE10ELNS1_11target_archE1201ELNS1_3gpuE5ELNS1_3repE0EEENS1_30default_config_static_selectorELNS0_4arch9wavefront6targetE0EEEvSR_, .Lfunc_end87-_ZN7rocprim17ROCPRIM_400000_NS6detail17trampoline_kernelINS0_14default_configENS1_32segmented_reduce_config_selectorIN3c104HalfEEEZNS1_21segmented_reduce_implIS3_PKS6_PS6_PKiS6_N6hipcub16HIPCUB_304000_NS6detail27convert_result_type_wrapperISA_SB_N2at6native12_GLOBAL__N_19CustomSumEEEEE10hipError_tPvRmT0_T1_jT2_SS_T4_T3_P12ihipStream_tbEUlT_E_NS1_11comp_targetILNS1_3genE10ELNS1_11target_archE1201ELNS1_3gpuE5ELNS1_3repE0EEENS1_30default_config_static_selectorELNS0_4arch9wavefront6targetE0EEEvSR_
                                        ; -- End function
	.set _ZN7rocprim17ROCPRIM_400000_NS6detail17trampoline_kernelINS0_14default_configENS1_32segmented_reduce_config_selectorIN3c104HalfEEEZNS1_21segmented_reduce_implIS3_PKS6_PS6_PKiS6_N6hipcub16HIPCUB_304000_NS6detail27convert_result_type_wrapperISA_SB_N2at6native12_GLOBAL__N_19CustomSumEEEEE10hipError_tPvRmT0_T1_jT2_SS_T4_T3_P12ihipStream_tbEUlT_E_NS1_11comp_targetILNS1_3genE10ELNS1_11target_archE1201ELNS1_3gpuE5ELNS1_3repE0EEENS1_30default_config_static_selectorELNS0_4arch9wavefront6targetE0EEEvSR_.num_vgpr, 0
	.set _ZN7rocprim17ROCPRIM_400000_NS6detail17trampoline_kernelINS0_14default_configENS1_32segmented_reduce_config_selectorIN3c104HalfEEEZNS1_21segmented_reduce_implIS3_PKS6_PS6_PKiS6_N6hipcub16HIPCUB_304000_NS6detail27convert_result_type_wrapperISA_SB_N2at6native12_GLOBAL__N_19CustomSumEEEEE10hipError_tPvRmT0_T1_jT2_SS_T4_T3_P12ihipStream_tbEUlT_E_NS1_11comp_targetILNS1_3genE10ELNS1_11target_archE1201ELNS1_3gpuE5ELNS1_3repE0EEENS1_30default_config_static_selectorELNS0_4arch9wavefront6targetE0EEEvSR_.num_agpr, 0
	.set _ZN7rocprim17ROCPRIM_400000_NS6detail17trampoline_kernelINS0_14default_configENS1_32segmented_reduce_config_selectorIN3c104HalfEEEZNS1_21segmented_reduce_implIS3_PKS6_PS6_PKiS6_N6hipcub16HIPCUB_304000_NS6detail27convert_result_type_wrapperISA_SB_N2at6native12_GLOBAL__N_19CustomSumEEEEE10hipError_tPvRmT0_T1_jT2_SS_T4_T3_P12ihipStream_tbEUlT_E_NS1_11comp_targetILNS1_3genE10ELNS1_11target_archE1201ELNS1_3gpuE5ELNS1_3repE0EEENS1_30default_config_static_selectorELNS0_4arch9wavefront6targetE0EEEvSR_.numbered_sgpr, 0
	.set _ZN7rocprim17ROCPRIM_400000_NS6detail17trampoline_kernelINS0_14default_configENS1_32segmented_reduce_config_selectorIN3c104HalfEEEZNS1_21segmented_reduce_implIS3_PKS6_PS6_PKiS6_N6hipcub16HIPCUB_304000_NS6detail27convert_result_type_wrapperISA_SB_N2at6native12_GLOBAL__N_19CustomSumEEEEE10hipError_tPvRmT0_T1_jT2_SS_T4_T3_P12ihipStream_tbEUlT_E_NS1_11comp_targetILNS1_3genE10ELNS1_11target_archE1201ELNS1_3gpuE5ELNS1_3repE0EEENS1_30default_config_static_selectorELNS0_4arch9wavefront6targetE0EEEvSR_.num_named_barrier, 0
	.set _ZN7rocprim17ROCPRIM_400000_NS6detail17trampoline_kernelINS0_14default_configENS1_32segmented_reduce_config_selectorIN3c104HalfEEEZNS1_21segmented_reduce_implIS3_PKS6_PS6_PKiS6_N6hipcub16HIPCUB_304000_NS6detail27convert_result_type_wrapperISA_SB_N2at6native12_GLOBAL__N_19CustomSumEEEEE10hipError_tPvRmT0_T1_jT2_SS_T4_T3_P12ihipStream_tbEUlT_E_NS1_11comp_targetILNS1_3genE10ELNS1_11target_archE1201ELNS1_3gpuE5ELNS1_3repE0EEENS1_30default_config_static_selectorELNS0_4arch9wavefront6targetE0EEEvSR_.private_seg_size, 0
	.set _ZN7rocprim17ROCPRIM_400000_NS6detail17trampoline_kernelINS0_14default_configENS1_32segmented_reduce_config_selectorIN3c104HalfEEEZNS1_21segmented_reduce_implIS3_PKS6_PS6_PKiS6_N6hipcub16HIPCUB_304000_NS6detail27convert_result_type_wrapperISA_SB_N2at6native12_GLOBAL__N_19CustomSumEEEEE10hipError_tPvRmT0_T1_jT2_SS_T4_T3_P12ihipStream_tbEUlT_E_NS1_11comp_targetILNS1_3genE10ELNS1_11target_archE1201ELNS1_3gpuE5ELNS1_3repE0EEENS1_30default_config_static_selectorELNS0_4arch9wavefront6targetE0EEEvSR_.uses_vcc, 0
	.set _ZN7rocprim17ROCPRIM_400000_NS6detail17trampoline_kernelINS0_14default_configENS1_32segmented_reduce_config_selectorIN3c104HalfEEEZNS1_21segmented_reduce_implIS3_PKS6_PS6_PKiS6_N6hipcub16HIPCUB_304000_NS6detail27convert_result_type_wrapperISA_SB_N2at6native12_GLOBAL__N_19CustomSumEEEEE10hipError_tPvRmT0_T1_jT2_SS_T4_T3_P12ihipStream_tbEUlT_E_NS1_11comp_targetILNS1_3genE10ELNS1_11target_archE1201ELNS1_3gpuE5ELNS1_3repE0EEENS1_30default_config_static_selectorELNS0_4arch9wavefront6targetE0EEEvSR_.uses_flat_scratch, 0
	.set _ZN7rocprim17ROCPRIM_400000_NS6detail17trampoline_kernelINS0_14default_configENS1_32segmented_reduce_config_selectorIN3c104HalfEEEZNS1_21segmented_reduce_implIS3_PKS6_PS6_PKiS6_N6hipcub16HIPCUB_304000_NS6detail27convert_result_type_wrapperISA_SB_N2at6native12_GLOBAL__N_19CustomSumEEEEE10hipError_tPvRmT0_T1_jT2_SS_T4_T3_P12ihipStream_tbEUlT_E_NS1_11comp_targetILNS1_3genE10ELNS1_11target_archE1201ELNS1_3gpuE5ELNS1_3repE0EEENS1_30default_config_static_selectorELNS0_4arch9wavefront6targetE0EEEvSR_.has_dyn_sized_stack, 0
	.set _ZN7rocprim17ROCPRIM_400000_NS6detail17trampoline_kernelINS0_14default_configENS1_32segmented_reduce_config_selectorIN3c104HalfEEEZNS1_21segmented_reduce_implIS3_PKS6_PS6_PKiS6_N6hipcub16HIPCUB_304000_NS6detail27convert_result_type_wrapperISA_SB_N2at6native12_GLOBAL__N_19CustomSumEEEEE10hipError_tPvRmT0_T1_jT2_SS_T4_T3_P12ihipStream_tbEUlT_E_NS1_11comp_targetILNS1_3genE10ELNS1_11target_archE1201ELNS1_3gpuE5ELNS1_3repE0EEENS1_30default_config_static_selectorELNS0_4arch9wavefront6targetE0EEEvSR_.has_recursion, 0
	.set _ZN7rocprim17ROCPRIM_400000_NS6detail17trampoline_kernelINS0_14default_configENS1_32segmented_reduce_config_selectorIN3c104HalfEEEZNS1_21segmented_reduce_implIS3_PKS6_PS6_PKiS6_N6hipcub16HIPCUB_304000_NS6detail27convert_result_type_wrapperISA_SB_N2at6native12_GLOBAL__N_19CustomSumEEEEE10hipError_tPvRmT0_T1_jT2_SS_T4_T3_P12ihipStream_tbEUlT_E_NS1_11comp_targetILNS1_3genE10ELNS1_11target_archE1201ELNS1_3gpuE5ELNS1_3repE0EEENS1_30default_config_static_selectorELNS0_4arch9wavefront6targetE0EEEvSR_.has_indirect_call, 0
	.section	.AMDGPU.csdata,"",@progbits
; Kernel info:
; codeLenInByte = 0
; TotalNumSgprs: 0
; NumVgprs: 0
; ScratchSize: 0
; MemoryBound: 0
; FloatMode: 240
; IeeeMode: 1
; LDSByteSize: 0 bytes/workgroup (compile time only)
; SGPRBlocks: 0
; VGPRBlocks: 0
; NumSGPRsForWavesPerEU: 1
; NumVGPRsForWavesPerEU: 1
; NamedBarCnt: 0
; Occupancy: 16
; WaveLimiterHint : 0
; COMPUTE_PGM_RSRC2:SCRATCH_EN: 0
; COMPUTE_PGM_RSRC2:USER_SGPR: 2
; COMPUTE_PGM_RSRC2:TRAP_HANDLER: 0
; COMPUTE_PGM_RSRC2:TGID_X_EN: 1
; COMPUTE_PGM_RSRC2:TGID_Y_EN: 0
; COMPUTE_PGM_RSRC2:TGID_Z_EN: 0
; COMPUTE_PGM_RSRC2:TIDIG_COMP_CNT: 0
	.section	.text._ZN7rocprim17ROCPRIM_400000_NS6detail17trampoline_kernelINS0_14default_configENS1_32segmented_reduce_config_selectorIN3c104HalfEEEZNS1_21segmented_reduce_implIS3_PKS6_PS6_PKiS6_N6hipcub16HIPCUB_304000_NS6detail27convert_result_type_wrapperISA_SB_N2at6native12_GLOBAL__N_19CustomSumEEEEE10hipError_tPvRmT0_T1_jT2_SS_T4_T3_P12ihipStream_tbEUlT_E_NS1_11comp_targetILNS1_3genE4ELNS1_11target_archE910ELNS1_3gpuE8ELNS1_3repE0EEENS1_30default_config_static_selectorELNS0_4arch9wavefront6targetE0EEEvSR_,"axG",@progbits,_ZN7rocprim17ROCPRIM_400000_NS6detail17trampoline_kernelINS0_14default_configENS1_32segmented_reduce_config_selectorIN3c104HalfEEEZNS1_21segmented_reduce_implIS3_PKS6_PS6_PKiS6_N6hipcub16HIPCUB_304000_NS6detail27convert_result_type_wrapperISA_SB_N2at6native12_GLOBAL__N_19CustomSumEEEEE10hipError_tPvRmT0_T1_jT2_SS_T4_T3_P12ihipStream_tbEUlT_E_NS1_11comp_targetILNS1_3genE4ELNS1_11target_archE910ELNS1_3gpuE8ELNS1_3repE0EEENS1_30default_config_static_selectorELNS0_4arch9wavefront6targetE0EEEvSR_,comdat
	.globl	_ZN7rocprim17ROCPRIM_400000_NS6detail17trampoline_kernelINS0_14default_configENS1_32segmented_reduce_config_selectorIN3c104HalfEEEZNS1_21segmented_reduce_implIS3_PKS6_PS6_PKiS6_N6hipcub16HIPCUB_304000_NS6detail27convert_result_type_wrapperISA_SB_N2at6native12_GLOBAL__N_19CustomSumEEEEE10hipError_tPvRmT0_T1_jT2_SS_T4_T3_P12ihipStream_tbEUlT_E_NS1_11comp_targetILNS1_3genE4ELNS1_11target_archE910ELNS1_3gpuE8ELNS1_3repE0EEENS1_30default_config_static_selectorELNS0_4arch9wavefront6targetE0EEEvSR_ ; -- Begin function _ZN7rocprim17ROCPRIM_400000_NS6detail17trampoline_kernelINS0_14default_configENS1_32segmented_reduce_config_selectorIN3c104HalfEEEZNS1_21segmented_reduce_implIS3_PKS6_PS6_PKiS6_N6hipcub16HIPCUB_304000_NS6detail27convert_result_type_wrapperISA_SB_N2at6native12_GLOBAL__N_19CustomSumEEEEE10hipError_tPvRmT0_T1_jT2_SS_T4_T3_P12ihipStream_tbEUlT_E_NS1_11comp_targetILNS1_3genE4ELNS1_11target_archE910ELNS1_3gpuE8ELNS1_3repE0EEENS1_30default_config_static_selectorELNS0_4arch9wavefront6targetE0EEEvSR_
	.p2align	8
	.type	_ZN7rocprim17ROCPRIM_400000_NS6detail17trampoline_kernelINS0_14default_configENS1_32segmented_reduce_config_selectorIN3c104HalfEEEZNS1_21segmented_reduce_implIS3_PKS6_PS6_PKiS6_N6hipcub16HIPCUB_304000_NS6detail27convert_result_type_wrapperISA_SB_N2at6native12_GLOBAL__N_19CustomSumEEEEE10hipError_tPvRmT0_T1_jT2_SS_T4_T3_P12ihipStream_tbEUlT_E_NS1_11comp_targetILNS1_3genE4ELNS1_11target_archE910ELNS1_3gpuE8ELNS1_3repE0EEENS1_30default_config_static_selectorELNS0_4arch9wavefront6targetE0EEEvSR_,@function
_ZN7rocprim17ROCPRIM_400000_NS6detail17trampoline_kernelINS0_14default_configENS1_32segmented_reduce_config_selectorIN3c104HalfEEEZNS1_21segmented_reduce_implIS3_PKS6_PS6_PKiS6_N6hipcub16HIPCUB_304000_NS6detail27convert_result_type_wrapperISA_SB_N2at6native12_GLOBAL__N_19CustomSumEEEEE10hipError_tPvRmT0_T1_jT2_SS_T4_T3_P12ihipStream_tbEUlT_E_NS1_11comp_targetILNS1_3genE4ELNS1_11target_archE910ELNS1_3gpuE8ELNS1_3repE0EEENS1_30default_config_static_selectorELNS0_4arch9wavefront6targetE0EEEvSR_: ; @_ZN7rocprim17ROCPRIM_400000_NS6detail17trampoline_kernelINS0_14default_configENS1_32segmented_reduce_config_selectorIN3c104HalfEEEZNS1_21segmented_reduce_implIS3_PKS6_PS6_PKiS6_N6hipcub16HIPCUB_304000_NS6detail27convert_result_type_wrapperISA_SB_N2at6native12_GLOBAL__N_19CustomSumEEEEE10hipError_tPvRmT0_T1_jT2_SS_T4_T3_P12ihipStream_tbEUlT_E_NS1_11comp_targetILNS1_3genE4ELNS1_11target_archE910ELNS1_3gpuE8ELNS1_3repE0EEENS1_30default_config_static_selectorELNS0_4arch9wavefront6targetE0EEEvSR_
; %bb.0:
	.section	.rodata,"a",@progbits
	.p2align	6, 0x0
	.amdhsa_kernel _ZN7rocprim17ROCPRIM_400000_NS6detail17trampoline_kernelINS0_14default_configENS1_32segmented_reduce_config_selectorIN3c104HalfEEEZNS1_21segmented_reduce_implIS3_PKS6_PS6_PKiS6_N6hipcub16HIPCUB_304000_NS6detail27convert_result_type_wrapperISA_SB_N2at6native12_GLOBAL__N_19CustomSumEEEEE10hipError_tPvRmT0_T1_jT2_SS_T4_T3_P12ihipStream_tbEUlT_E_NS1_11comp_targetILNS1_3genE4ELNS1_11target_archE910ELNS1_3gpuE8ELNS1_3repE0EEENS1_30default_config_static_selectorELNS0_4arch9wavefront6targetE0EEEvSR_
		.amdhsa_group_segment_fixed_size 0
		.amdhsa_private_segment_fixed_size 0
		.amdhsa_kernarg_size 48
		.amdhsa_user_sgpr_count 2
		.amdhsa_user_sgpr_dispatch_ptr 0
		.amdhsa_user_sgpr_queue_ptr 0
		.amdhsa_user_sgpr_kernarg_segment_ptr 1
		.amdhsa_user_sgpr_dispatch_id 0
		.amdhsa_user_sgpr_kernarg_preload_length 0
		.amdhsa_user_sgpr_kernarg_preload_offset 0
		.amdhsa_user_sgpr_private_segment_size 0
		.amdhsa_wavefront_size32 1
		.amdhsa_uses_dynamic_stack 0
		.amdhsa_enable_private_segment 0
		.amdhsa_system_sgpr_workgroup_id_x 1
		.amdhsa_system_sgpr_workgroup_id_y 0
		.amdhsa_system_sgpr_workgroup_id_z 0
		.amdhsa_system_sgpr_workgroup_info 0
		.amdhsa_system_vgpr_workitem_id 0
		.amdhsa_next_free_vgpr 1
		.amdhsa_next_free_sgpr 1
		.amdhsa_named_barrier_count 0
		.amdhsa_reserve_vcc 0
		.amdhsa_float_round_mode_32 0
		.amdhsa_float_round_mode_16_64 0
		.amdhsa_float_denorm_mode_32 3
		.amdhsa_float_denorm_mode_16_64 3
		.amdhsa_fp16_overflow 0
		.amdhsa_memory_ordered 1
		.amdhsa_forward_progress 1
		.amdhsa_inst_pref_size 0
		.amdhsa_round_robin_scheduling 0
		.amdhsa_exception_fp_ieee_invalid_op 0
		.amdhsa_exception_fp_denorm_src 0
		.amdhsa_exception_fp_ieee_div_zero 0
		.amdhsa_exception_fp_ieee_overflow 0
		.amdhsa_exception_fp_ieee_underflow 0
		.amdhsa_exception_fp_ieee_inexact 0
		.amdhsa_exception_int_div_zero 0
	.end_amdhsa_kernel
	.section	.text._ZN7rocprim17ROCPRIM_400000_NS6detail17trampoline_kernelINS0_14default_configENS1_32segmented_reduce_config_selectorIN3c104HalfEEEZNS1_21segmented_reduce_implIS3_PKS6_PS6_PKiS6_N6hipcub16HIPCUB_304000_NS6detail27convert_result_type_wrapperISA_SB_N2at6native12_GLOBAL__N_19CustomSumEEEEE10hipError_tPvRmT0_T1_jT2_SS_T4_T3_P12ihipStream_tbEUlT_E_NS1_11comp_targetILNS1_3genE4ELNS1_11target_archE910ELNS1_3gpuE8ELNS1_3repE0EEENS1_30default_config_static_selectorELNS0_4arch9wavefront6targetE0EEEvSR_,"axG",@progbits,_ZN7rocprim17ROCPRIM_400000_NS6detail17trampoline_kernelINS0_14default_configENS1_32segmented_reduce_config_selectorIN3c104HalfEEEZNS1_21segmented_reduce_implIS3_PKS6_PS6_PKiS6_N6hipcub16HIPCUB_304000_NS6detail27convert_result_type_wrapperISA_SB_N2at6native12_GLOBAL__N_19CustomSumEEEEE10hipError_tPvRmT0_T1_jT2_SS_T4_T3_P12ihipStream_tbEUlT_E_NS1_11comp_targetILNS1_3genE4ELNS1_11target_archE910ELNS1_3gpuE8ELNS1_3repE0EEENS1_30default_config_static_selectorELNS0_4arch9wavefront6targetE0EEEvSR_,comdat
.Lfunc_end88:
	.size	_ZN7rocprim17ROCPRIM_400000_NS6detail17trampoline_kernelINS0_14default_configENS1_32segmented_reduce_config_selectorIN3c104HalfEEEZNS1_21segmented_reduce_implIS3_PKS6_PS6_PKiS6_N6hipcub16HIPCUB_304000_NS6detail27convert_result_type_wrapperISA_SB_N2at6native12_GLOBAL__N_19CustomSumEEEEE10hipError_tPvRmT0_T1_jT2_SS_T4_T3_P12ihipStream_tbEUlT_E_NS1_11comp_targetILNS1_3genE4ELNS1_11target_archE910ELNS1_3gpuE8ELNS1_3repE0EEENS1_30default_config_static_selectorELNS0_4arch9wavefront6targetE0EEEvSR_, .Lfunc_end88-_ZN7rocprim17ROCPRIM_400000_NS6detail17trampoline_kernelINS0_14default_configENS1_32segmented_reduce_config_selectorIN3c104HalfEEEZNS1_21segmented_reduce_implIS3_PKS6_PS6_PKiS6_N6hipcub16HIPCUB_304000_NS6detail27convert_result_type_wrapperISA_SB_N2at6native12_GLOBAL__N_19CustomSumEEEEE10hipError_tPvRmT0_T1_jT2_SS_T4_T3_P12ihipStream_tbEUlT_E_NS1_11comp_targetILNS1_3genE4ELNS1_11target_archE910ELNS1_3gpuE8ELNS1_3repE0EEENS1_30default_config_static_selectorELNS0_4arch9wavefront6targetE0EEEvSR_
                                        ; -- End function
	.set _ZN7rocprim17ROCPRIM_400000_NS6detail17trampoline_kernelINS0_14default_configENS1_32segmented_reduce_config_selectorIN3c104HalfEEEZNS1_21segmented_reduce_implIS3_PKS6_PS6_PKiS6_N6hipcub16HIPCUB_304000_NS6detail27convert_result_type_wrapperISA_SB_N2at6native12_GLOBAL__N_19CustomSumEEEEE10hipError_tPvRmT0_T1_jT2_SS_T4_T3_P12ihipStream_tbEUlT_E_NS1_11comp_targetILNS1_3genE4ELNS1_11target_archE910ELNS1_3gpuE8ELNS1_3repE0EEENS1_30default_config_static_selectorELNS0_4arch9wavefront6targetE0EEEvSR_.num_vgpr, 0
	.set _ZN7rocprim17ROCPRIM_400000_NS6detail17trampoline_kernelINS0_14default_configENS1_32segmented_reduce_config_selectorIN3c104HalfEEEZNS1_21segmented_reduce_implIS3_PKS6_PS6_PKiS6_N6hipcub16HIPCUB_304000_NS6detail27convert_result_type_wrapperISA_SB_N2at6native12_GLOBAL__N_19CustomSumEEEEE10hipError_tPvRmT0_T1_jT2_SS_T4_T3_P12ihipStream_tbEUlT_E_NS1_11comp_targetILNS1_3genE4ELNS1_11target_archE910ELNS1_3gpuE8ELNS1_3repE0EEENS1_30default_config_static_selectorELNS0_4arch9wavefront6targetE0EEEvSR_.num_agpr, 0
	.set _ZN7rocprim17ROCPRIM_400000_NS6detail17trampoline_kernelINS0_14default_configENS1_32segmented_reduce_config_selectorIN3c104HalfEEEZNS1_21segmented_reduce_implIS3_PKS6_PS6_PKiS6_N6hipcub16HIPCUB_304000_NS6detail27convert_result_type_wrapperISA_SB_N2at6native12_GLOBAL__N_19CustomSumEEEEE10hipError_tPvRmT0_T1_jT2_SS_T4_T3_P12ihipStream_tbEUlT_E_NS1_11comp_targetILNS1_3genE4ELNS1_11target_archE910ELNS1_3gpuE8ELNS1_3repE0EEENS1_30default_config_static_selectorELNS0_4arch9wavefront6targetE0EEEvSR_.numbered_sgpr, 0
	.set _ZN7rocprim17ROCPRIM_400000_NS6detail17trampoline_kernelINS0_14default_configENS1_32segmented_reduce_config_selectorIN3c104HalfEEEZNS1_21segmented_reduce_implIS3_PKS6_PS6_PKiS6_N6hipcub16HIPCUB_304000_NS6detail27convert_result_type_wrapperISA_SB_N2at6native12_GLOBAL__N_19CustomSumEEEEE10hipError_tPvRmT0_T1_jT2_SS_T4_T3_P12ihipStream_tbEUlT_E_NS1_11comp_targetILNS1_3genE4ELNS1_11target_archE910ELNS1_3gpuE8ELNS1_3repE0EEENS1_30default_config_static_selectorELNS0_4arch9wavefront6targetE0EEEvSR_.num_named_barrier, 0
	.set _ZN7rocprim17ROCPRIM_400000_NS6detail17trampoline_kernelINS0_14default_configENS1_32segmented_reduce_config_selectorIN3c104HalfEEEZNS1_21segmented_reduce_implIS3_PKS6_PS6_PKiS6_N6hipcub16HIPCUB_304000_NS6detail27convert_result_type_wrapperISA_SB_N2at6native12_GLOBAL__N_19CustomSumEEEEE10hipError_tPvRmT0_T1_jT2_SS_T4_T3_P12ihipStream_tbEUlT_E_NS1_11comp_targetILNS1_3genE4ELNS1_11target_archE910ELNS1_3gpuE8ELNS1_3repE0EEENS1_30default_config_static_selectorELNS0_4arch9wavefront6targetE0EEEvSR_.private_seg_size, 0
	.set _ZN7rocprim17ROCPRIM_400000_NS6detail17trampoline_kernelINS0_14default_configENS1_32segmented_reduce_config_selectorIN3c104HalfEEEZNS1_21segmented_reduce_implIS3_PKS6_PS6_PKiS6_N6hipcub16HIPCUB_304000_NS6detail27convert_result_type_wrapperISA_SB_N2at6native12_GLOBAL__N_19CustomSumEEEEE10hipError_tPvRmT0_T1_jT2_SS_T4_T3_P12ihipStream_tbEUlT_E_NS1_11comp_targetILNS1_3genE4ELNS1_11target_archE910ELNS1_3gpuE8ELNS1_3repE0EEENS1_30default_config_static_selectorELNS0_4arch9wavefront6targetE0EEEvSR_.uses_vcc, 0
	.set _ZN7rocprim17ROCPRIM_400000_NS6detail17trampoline_kernelINS0_14default_configENS1_32segmented_reduce_config_selectorIN3c104HalfEEEZNS1_21segmented_reduce_implIS3_PKS6_PS6_PKiS6_N6hipcub16HIPCUB_304000_NS6detail27convert_result_type_wrapperISA_SB_N2at6native12_GLOBAL__N_19CustomSumEEEEE10hipError_tPvRmT0_T1_jT2_SS_T4_T3_P12ihipStream_tbEUlT_E_NS1_11comp_targetILNS1_3genE4ELNS1_11target_archE910ELNS1_3gpuE8ELNS1_3repE0EEENS1_30default_config_static_selectorELNS0_4arch9wavefront6targetE0EEEvSR_.uses_flat_scratch, 0
	.set _ZN7rocprim17ROCPRIM_400000_NS6detail17trampoline_kernelINS0_14default_configENS1_32segmented_reduce_config_selectorIN3c104HalfEEEZNS1_21segmented_reduce_implIS3_PKS6_PS6_PKiS6_N6hipcub16HIPCUB_304000_NS6detail27convert_result_type_wrapperISA_SB_N2at6native12_GLOBAL__N_19CustomSumEEEEE10hipError_tPvRmT0_T1_jT2_SS_T4_T3_P12ihipStream_tbEUlT_E_NS1_11comp_targetILNS1_3genE4ELNS1_11target_archE910ELNS1_3gpuE8ELNS1_3repE0EEENS1_30default_config_static_selectorELNS0_4arch9wavefront6targetE0EEEvSR_.has_dyn_sized_stack, 0
	.set _ZN7rocprim17ROCPRIM_400000_NS6detail17trampoline_kernelINS0_14default_configENS1_32segmented_reduce_config_selectorIN3c104HalfEEEZNS1_21segmented_reduce_implIS3_PKS6_PS6_PKiS6_N6hipcub16HIPCUB_304000_NS6detail27convert_result_type_wrapperISA_SB_N2at6native12_GLOBAL__N_19CustomSumEEEEE10hipError_tPvRmT0_T1_jT2_SS_T4_T3_P12ihipStream_tbEUlT_E_NS1_11comp_targetILNS1_3genE4ELNS1_11target_archE910ELNS1_3gpuE8ELNS1_3repE0EEENS1_30default_config_static_selectorELNS0_4arch9wavefront6targetE0EEEvSR_.has_recursion, 0
	.set _ZN7rocprim17ROCPRIM_400000_NS6detail17trampoline_kernelINS0_14default_configENS1_32segmented_reduce_config_selectorIN3c104HalfEEEZNS1_21segmented_reduce_implIS3_PKS6_PS6_PKiS6_N6hipcub16HIPCUB_304000_NS6detail27convert_result_type_wrapperISA_SB_N2at6native12_GLOBAL__N_19CustomSumEEEEE10hipError_tPvRmT0_T1_jT2_SS_T4_T3_P12ihipStream_tbEUlT_E_NS1_11comp_targetILNS1_3genE4ELNS1_11target_archE910ELNS1_3gpuE8ELNS1_3repE0EEENS1_30default_config_static_selectorELNS0_4arch9wavefront6targetE0EEEvSR_.has_indirect_call, 0
	.section	.AMDGPU.csdata,"",@progbits
; Kernel info:
; codeLenInByte = 0
; TotalNumSgprs: 0
; NumVgprs: 0
; ScratchSize: 0
; MemoryBound: 0
; FloatMode: 240
; IeeeMode: 1
; LDSByteSize: 0 bytes/workgroup (compile time only)
; SGPRBlocks: 0
; VGPRBlocks: 0
; NumSGPRsForWavesPerEU: 1
; NumVGPRsForWavesPerEU: 1
; NamedBarCnt: 0
; Occupancy: 16
; WaveLimiterHint : 0
; COMPUTE_PGM_RSRC2:SCRATCH_EN: 0
; COMPUTE_PGM_RSRC2:USER_SGPR: 2
; COMPUTE_PGM_RSRC2:TRAP_HANDLER: 0
; COMPUTE_PGM_RSRC2:TGID_X_EN: 1
; COMPUTE_PGM_RSRC2:TGID_Y_EN: 0
; COMPUTE_PGM_RSRC2:TGID_Z_EN: 0
; COMPUTE_PGM_RSRC2:TIDIG_COMP_CNT: 0
	.section	.text._ZN7rocprim17ROCPRIM_400000_NS6detail17trampoline_kernelINS0_14default_configENS1_32segmented_reduce_config_selectorIN3c104HalfEEEZNS1_21segmented_reduce_implIS3_PKS6_PS6_PKiS6_N6hipcub16HIPCUB_304000_NS6detail27convert_result_type_wrapperISA_SB_N2at6native12_GLOBAL__N_19CustomSumEEEEE10hipError_tPvRmT0_T1_jT2_SS_T4_T3_P12ihipStream_tbEUlT_E_NS1_11comp_targetILNS1_3genE3ELNS1_11target_archE908ELNS1_3gpuE7ELNS1_3repE0EEENS1_30default_config_static_selectorELNS0_4arch9wavefront6targetE0EEEvSR_,"axG",@progbits,_ZN7rocprim17ROCPRIM_400000_NS6detail17trampoline_kernelINS0_14default_configENS1_32segmented_reduce_config_selectorIN3c104HalfEEEZNS1_21segmented_reduce_implIS3_PKS6_PS6_PKiS6_N6hipcub16HIPCUB_304000_NS6detail27convert_result_type_wrapperISA_SB_N2at6native12_GLOBAL__N_19CustomSumEEEEE10hipError_tPvRmT0_T1_jT2_SS_T4_T3_P12ihipStream_tbEUlT_E_NS1_11comp_targetILNS1_3genE3ELNS1_11target_archE908ELNS1_3gpuE7ELNS1_3repE0EEENS1_30default_config_static_selectorELNS0_4arch9wavefront6targetE0EEEvSR_,comdat
	.globl	_ZN7rocprim17ROCPRIM_400000_NS6detail17trampoline_kernelINS0_14default_configENS1_32segmented_reduce_config_selectorIN3c104HalfEEEZNS1_21segmented_reduce_implIS3_PKS6_PS6_PKiS6_N6hipcub16HIPCUB_304000_NS6detail27convert_result_type_wrapperISA_SB_N2at6native12_GLOBAL__N_19CustomSumEEEEE10hipError_tPvRmT0_T1_jT2_SS_T4_T3_P12ihipStream_tbEUlT_E_NS1_11comp_targetILNS1_3genE3ELNS1_11target_archE908ELNS1_3gpuE7ELNS1_3repE0EEENS1_30default_config_static_selectorELNS0_4arch9wavefront6targetE0EEEvSR_ ; -- Begin function _ZN7rocprim17ROCPRIM_400000_NS6detail17trampoline_kernelINS0_14default_configENS1_32segmented_reduce_config_selectorIN3c104HalfEEEZNS1_21segmented_reduce_implIS3_PKS6_PS6_PKiS6_N6hipcub16HIPCUB_304000_NS6detail27convert_result_type_wrapperISA_SB_N2at6native12_GLOBAL__N_19CustomSumEEEEE10hipError_tPvRmT0_T1_jT2_SS_T4_T3_P12ihipStream_tbEUlT_E_NS1_11comp_targetILNS1_3genE3ELNS1_11target_archE908ELNS1_3gpuE7ELNS1_3repE0EEENS1_30default_config_static_selectorELNS0_4arch9wavefront6targetE0EEEvSR_
	.p2align	8
	.type	_ZN7rocprim17ROCPRIM_400000_NS6detail17trampoline_kernelINS0_14default_configENS1_32segmented_reduce_config_selectorIN3c104HalfEEEZNS1_21segmented_reduce_implIS3_PKS6_PS6_PKiS6_N6hipcub16HIPCUB_304000_NS6detail27convert_result_type_wrapperISA_SB_N2at6native12_GLOBAL__N_19CustomSumEEEEE10hipError_tPvRmT0_T1_jT2_SS_T4_T3_P12ihipStream_tbEUlT_E_NS1_11comp_targetILNS1_3genE3ELNS1_11target_archE908ELNS1_3gpuE7ELNS1_3repE0EEENS1_30default_config_static_selectorELNS0_4arch9wavefront6targetE0EEEvSR_,@function
_ZN7rocprim17ROCPRIM_400000_NS6detail17trampoline_kernelINS0_14default_configENS1_32segmented_reduce_config_selectorIN3c104HalfEEEZNS1_21segmented_reduce_implIS3_PKS6_PS6_PKiS6_N6hipcub16HIPCUB_304000_NS6detail27convert_result_type_wrapperISA_SB_N2at6native12_GLOBAL__N_19CustomSumEEEEE10hipError_tPvRmT0_T1_jT2_SS_T4_T3_P12ihipStream_tbEUlT_E_NS1_11comp_targetILNS1_3genE3ELNS1_11target_archE908ELNS1_3gpuE7ELNS1_3repE0EEENS1_30default_config_static_selectorELNS0_4arch9wavefront6targetE0EEEvSR_: ; @_ZN7rocprim17ROCPRIM_400000_NS6detail17trampoline_kernelINS0_14default_configENS1_32segmented_reduce_config_selectorIN3c104HalfEEEZNS1_21segmented_reduce_implIS3_PKS6_PS6_PKiS6_N6hipcub16HIPCUB_304000_NS6detail27convert_result_type_wrapperISA_SB_N2at6native12_GLOBAL__N_19CustomSumEEEEE10hipError_tPvRmT0_T1_jT2_SS_T4_T3_P12ihipStream_tbEUlT_E_NS1_11comp_targetILNS1_3genE3ELNS1_11target_archE908ELNS1_3gpuE7ELNS1_3repE0EEENS1_30default_config_static_selectorELNS0_4arch9wavefront6targetE0EEEvSR_
; %bb.0:
	.section	.rodata,"a",@progbits
	.p2align	6, 0x0
	.amdhsa_kernel _ZN7rocprim17ROCPRIM_400000_NS6detail17trampoline_kernelINS0_14default_configENS1_32segmented_reduce_config_selectorIN3c104HalfEEEZNS1_21segmented_reduce_implIS3_PKS6_PS6_PKiS6_N6hipcub16HIPCUB_304000_NS6detail27convert_result_type_wrapperISA_SB_N2at6native12_GLOBAL__N_19CustomSumEEEEE10hipError_tPvRmT0_T1_jT2_SS_T4_T3_P12ihipStream_tbEUlT_E_NS1_11comp_targetILNS1_3genE3ELNS1_11target_archE908ELNS1_3gpuE7ELNS1_3repE0EEENS1_30default_config_static_selectorELNS0_4arch9wavefront6targetE0EEEvSR_
		.amdhsa_group_segment_fixed_size 0
		.amdhsa_private_segment_fixed_size 0
		.amdhsa_kernarg_size 48
		.amdhsa_user_sgpr_count 2
		.amdhsa_user_sgpr_dispatch_ptr 0
		.amdhsa_user_sgpr_queue_ptr 0
		.amdhsa_user_sgpr_kernarg_segment_ptr 1
		.amdhsa_user_sgpr_dispatch_id 0
		.amdhsa_user_sgpr_kernarg_preload_length 0
		.amdhsa_user_sgpr_kernarg_preload_offset 0
		.amdhsa_user_sgpr_private_segment_size 0
		.amdhsa_wavefront_size32 1
		.amdhsa_uses_dynamic_stack 0
		.amdhsa_enable_private_segment 0
		.amdhsa_system_sgpr_workgroup_id_x 1
		.amdhsa_system_sgpr_workgroup_id_y 0
		.amdhsa_system_sgpr_workgroup_id_z 0
		.amdhsa_system_sgpr_workgroup_info 0
		.amdhsa_system_vgpr_workitem_id 0
		.amdhsa_next_free_vgpr 1
		.amdhsa_next_free_sgpr 1
		.amdhsa_named_barrier_count 0
		.amdhsa_reserve_vcc 0
		.amdhsa_float_round_mode_32 0
		.amdhsa_float_round_mode_16_64 0
		.amdhsa_float_denorm_mode_32 3
		.amdhsa_float_denorm_mode_16_64 3
		.amdhsa_fp16_overflow 0
		.amdhsa_memory_ordered 1
		.amdhsa_forward_progress 1
		.amdhsa_inst_pref_size 0
		.amdhsa_round_robin_scheduling 0
		.amdhsa_exception_fp_ieee_invalid_op 0
		.amdhsa_exception_fp_denorm_src 0
		.amdhsa_exception_fp_ieee_div_zero 0
		.amdhsa_exception_fp_ieee_overflow 0
		.amdhsa_exception_fp_ieee_underflow 0
		.amdhsa_exception_fp_ieee_inexact 0
		.amdhsa_exception_int_div_zero 0
	.end_amdhsa_kernel
	.section	.text._ZN7rocprim17ROCPRIM_400000_NS6detail17trampoline_kernelINS0_14default_configENS1_32segmented_reduce_config_selectorIN3c104HalfEEEZNS1_21segmented_reduce_implIS3_PKS6_PS6_PKiS6_N6hipcub16HIPCUB_304000_NS6detail27convert_result_type_wrapperISA_SB_N2at6native12_GLOBAL__N_19CustomSumEEEEE10hipError_tPvRmT0_T1_jT2_SS_T4_T3_P12ihipStream_tbEUlT_E_NS1_11comp_targetILNS1_3genE3ELNS1_11target_archE908ELNS1_3gpuE7ELNS1_3repE0EEENS1_30default_config_static_selectorELNS0_4arch9wavefront6targetE0EEEvSR_,"axG",@progbits,_ZN7rocprim17ROCPRIM_400000_NS6detail17trampoline_kernelINS0_14default_configENS1_32segmented_reduce_config_selectorIN3c104HalfEEEZNS1_21segmented_reduce_implIS3_PKS6_PS6_PKiS6_N6hipcub16HIPCUB_304000_NS6detail27convert_result_type_wrapperISA_SB_N2at6native12_GLOBAL__N_19CustomSumEEEEE10hipError_tPvRmT0_T1_jT2_SS_T4_T3_P12ihipStream_tbEUlT_E_NS1_11comp_targetILNS1_3genE3ELNS1_11target_archE908ELNS1_3gpuE7ELNS1_3repE0EEENS1_30default_config_static_selectorELNS0_4arch9wavefront6targetE0EEEvSR_,comdat
.Lfunc_end89:
	.size	_ZN7rocprim17ROCPRIM_400000_NS6detail17trampoline_kernelINS0_14default_configENS1_32segmented_reduce_config_selectorIN3c104HalfEEEZNS1_21segmented_reduce_implIS3_PKS6_PS6_PKiS6_N6hipcub16HIPCUB_304000_NS6detail27convert_result_type_wrapperISA_SB_N2at6native12_GLOBAL__N_19CustomSumEEEEE10hipError_tPvRmT0_T1_jT2_SS_T4_T3_P12ihipStream_tbEUlT_E_NS1_11comp_targetILNS1_3genE3ELNS1_11target_archE908ELNS1_3gpuE7ELNS1_3repE0EEENS1_30default_config_static_selectorELNS0_4arch9wavefront6targetE0EEEvSR_, .Lfunc_end89-_ZN7rocprim17ROCPRIM_400000_NS6detail17trampoline_kernelINS0_14default_configENS1_32segmented_reduce_config_selectorIN3c104HalfEEEZNS1_21segmented_reduce_implIS3_PKS6_PS6_PKiS6_N6hipcub16HIPCUB_304000_NS6detail27convert_result_type_wrapperISA_SB_N2at6native12_GLOBAL__N_19CustomSumEEEEE10hipError_tPvRmT0_T1_jT2_SS_T4_T3_P12ihipStream_tbEUlT_E_NS1_11comp_targetILNS1_3genE3ELNS1_11target_archE908ELNS1_3gpuE7ELNS1_3repE0EEENS1_30default_config_static_selectorELNS0_4arch9wavefront6targetE0EEEvSR_
                                        ; -- End function
	.set _ZN7rocprim17ROCPRIM_400000_NS6detail17trampoline_kernelINS0_14default_configENS1_32segmented_reduce_config_selectorIN3c104HalfEEEZNS1_21segmented_reduce_implIS3_PKS6_PS6_PKiS6_N6hipcub16HIPCUB_304000_NS6detail27convert_result_type_wrapperISA_SB_N2at6native12_GLOBAL__N_19CustomSumEEEEE10hipError_tPvRmT0_T1_jT2_SS_T4_T3_P12ihipStream_tbEUlT_E_NS1_11comp_targetILNS1_3genE3ELNS1_11target_archE908ELNS1_3gpuE7ELNS1_3repE0EEENS1_30default_config_static_selectorELNS0_4arch9wavefront6targetE0EEEvSR_.num_vgpr, 0
	.set _ZN7rocprim17ROCPRIM_400000_NS6detail17trampoline_kernelINS0_14default_configENS1_32segmented_reduce_config_selectorIN3c104HalfEEEZNS1_21segmented_reduce_implIS3_PKS6_PS6_PKiS6_N6hipcub16HIPCUB_304000_NS6detail27convert_result_type_wrapperISA_SB_N2at6native12_GLOBAL__N_19CustomSumEEEEE10hipError_tPvRmT0_T1_jT2_SS_T4_T3_P12ihipStream_tbEUlT_E_NS1_11comp_targetILNS1_3genE3ELNS1_11target_archE908ELNS1_3gpuE7ELNS1_3repE0EEENS1_30default_config_static_selectorELNS0_4arch9wavefront6targetE0EEEvSR_.num_agpr, 0
	.set _ZN7rocprim17ROCPRIM_400000_NS6detail17trampoline_kernelINS0_14default_configENS1_32segmented_reduce_config_selectorIN3c104HalfEEEZNS1_21segmented_reduce_implIS3_PKS6_PS6_PKiS6_N6hipcub16HIPCUB_304000_NS6detail27convert_result_type_wrapperISA_SB_N2at6native12_GLOBAL__N_19CustomSumEEEEE10hipError_tPvRmT0_T1_jT2_SS_T4_T3_P12ihipStream_tbEUlT_E_NS1_11comp_targetILNS1_3genE3ELNS1_11target_archE908ELNS1_3gpuE7ELNS1_3repE0EEENS1_30default_config_static_selectorELNS0_4arch9wavefront6targetE0EEEvSR_.numbered_sgpr, 0
	.set _ZN7rocprim17ROCPRIM_400000_NS6detail17trampoline_kernelINS0_14default_configENS1_32segmented_reduce_config_selectorIN3c104HalfEEEZNS1_21segmented_reduce_implIS3_PKS6_PS6_PKiS6_N6hipcub16HIPCUB_304000_NS6detail27convert_result_type_wrapperISA_SB_N2at6native12_GLOBAL__N_19CustomSumEEEEE10hipError_tPvRmT0_T1_jT2_SS_T4_T3_P12ihipStream_tbEUlT_E_NS1_11comp_targetILNS1_3genE3ELNS1_11target_archE908ELNS1_3gpuE7ELNS1_3repE0EEENS1_30default_config_static_selectorELNS0_4arch9wavefront6targetE0EEEvSR_.num_named_barrier, 0
	.set _ZN7rocprim17ROCPRIM_400000_NS6detail17trampoline_kernelINS0_14default_configENS1_32segmented_reduce_config_selectorIN3c104HalfEEEZNS1_21segmented_reduce_implIS3_PKS6_PS6_PKiS6_N6hipcub16HIPCUB_304000_NS6detail27convert_result_type_wrapperISA_SB_N2at6native12_GLOBAL__N_19CustomSumEEEEE10hipError_tPvRmT0_T1_jT2_SS_T4_T3_P12ihipStream_tbEUlT_E_NS1_11comp_targetILNS1_3genE3ELNS1_11target_archE908ELNS1_3gpuE7ELNS1_3repE0EEENS1_30default_config_static_selectorELNS0_4arch9wavefront6targetE0EEEvSR_.private_seg_size, 0
	.set _ZN7rocprim17ROCPRIM_400000_NS6detail17trampoline_kernelINS0_14default_configENS1_32segmented_reduce_config_selectorIN3c104HalfEEEZNS1_21segmented_reduce_implIS3_PKS6_PS6_PKiS6_N6hipcub16HIPCUB_304000_NS6detail27convert_result_type_wrapperISA_SB_N2at6native12_GLOBAL__N_19CustomSumEEEEE10hipError_tPvRmT0_T1_jT2_SS_T4_T3_P12ihipStream_tbEUlT_E_NS1_11comp_targetILNS1_3genE3ELNS1_11target_archE908ELNS1_3gpuE7ELNS1_3repE0EEENS1_30default_config_static_selectorELNS0_4arch9wavefront6targetE0EEEvSR_.uses_vcc, 0
	.set _ZN7rocprim17ROCPRIM_400000_NS6detail17trampoline_kernelINS0_14default_configENS1_32segmented_reduce_config_selectorIN3c104HalfEEEZNS1_21segmented_reduce_implIS3_PKS6_PS6_PKiS6_N6hipcub16HIPCUB_304000_NS6detail27convert_result_type_wrapperISA_SB_N2at6native12_GLOBAL__N_19CustomSumEEEEE10hipError_tPvRmT0_T1_jT2_SS_T4_T3_P12ihipStream_tbEUlT_E_NS1_11comp_targetILNS1_3genE3ELNS1_11target_archE908ELNS1_3gpuE7ELNS1_3repE0EEENS1_30default_config_static_selectorELNS0_4arch9wavefront6targetE0EEEvSR_.uses_flat_scratch, 0
	.set _ZN7rocprim17ROCPRIM_400000_NS6detail17trampoline_kernelINS0_14default_configENS1_32segmented_reduce_config_selectorIN3c104HalfEEEZNS1_21segmented_reduce_implIS3_PKS6_PS6_PKiS6_N6hipcub16HIPCUB_304000_NS6detail27convert_result_type_wrapperISA_SB_N2at6native12_GLOBAL__N_19CustomSumEEEEE10hipError_tPvRmT0_T1_jT2_SS_T4_T3_P12ihipStream_tbEUlT_E_NS1_11comp_targetILNS1_3genE3ELNS1_11target_archE908ELNS1_3gpuE7ELNS1_3repE0EEENS1_30default_config_static_selectorELNS0_4arch9wavefront6targetE0EEEvSR_.has_dyn_sized_stack, 0
	.set _ZN7rocprim17ROCPRIM_400000_NS6detail17trampoline_kernelINS0_14default_configENS1_32segmented_reduce_config_selectorIN3c104HalfEEEZNS1_21segmented_reduce_implIS3_PKS6_PS6_PKiS6_N6hipcub16HIPCUB_304000_NS6detail27convert_result_type_wrapperISA_SB_N2at6native12_GLOBAL__N_19CustomSumEEEEE10hipError_tPvRmT0_T1_jT2_SS_T4_T3_P12ihipStream_tbEUlT_E_NS1_11comp_targetILNS1_3genE3ELNS1_11target_archE908ELNS1_3gpuE7ELNS1_3repE0EEENS1_30default_config_static_selectorELNS0_4arch9wavefront6targetE0EEEvSR_.has_recursion, 0
	.set _ZN7rocprim17ROCPRIM_400000_NS6detail17trampoline_kernelINS0_14default_configENS1_32segmented_reduce_config_selectorIN3c104HalfEEEZNS1_21segmented_reduce_implIS3_PKS6_PS6_PKiS6_N6hipcub16HIPCUB_304000_NS6detail27convert_result_type_wrapperISA_SB_N2at6native12_GLOBAL__N_19CustomSumEEEEE10hipError_tPvRmT0_T1_jT2_SS_T4_T3_P12ihipStream_tbEUlT_E_NS1_11comp_targetILNS1_3genE3ELNS1_11target_archE908ELNS1_3gpuE7ELNS1_3repE0EEENS1_30default_config_static_selectorELNS0_4arch9wavefront6targetE0EEEvSR_.has_indirect_call, 0
	.section	.AMDGPU.csdata,"",@progbits
; Kernel info:
; codeLenInByte = 0
; TotalNumSgprs: 0
; NumVgprs: 0
; ScratchSize: 0
; MemoryBound: 0
; FloatMode: 240
; IeeeMode: 1
; LDSByteSize: 0 bytes/workgroup (compile time only)
; SGPRBlocks: 0
; VGPRBlocks: 0
; NumSGPRsForWavesPerEU: 1
; NumVGPRsForWavesPerEU: 1
; NamedBarCnt: 0
; Occupancy: 16
; WaveLimiterHint : 0
; COMPUTE_PGM_RSRC2:SCRATCH_EN: 0
; COMPUTE_PGM_RSRC2:USER_SGPR: 2
; COMPUTE_PGM_RSRC2:TRAP_HANDLER: 0
; COMPUTE_PGM_RSRC2:TGID_X_EN: 1
; COMPUTE_PGM_RSRC2:TGID_Y_EN: 0
; COMPUTE_PGM_RSRC2:TGID_Z_EN: 0
; COMPUTE_PGM_RSRC2:TIDIG_COMP_CNT: 0
	.section	.text._ZN7rocprim17ROCPRIM_400000_NS6detail17trampoline_kernelINS0_14default_configENS1_32segmented_reduce_config_selectorIN3c104HalfEEEZNS1_21segmented_reduce_implIS3_PKS6_PS6_PKiS6_N6hipcub16HIPCUB_304000_NS6detail27convert_result_type_wrapperISA_SB_N2at6native12_GLOBAL__N_19CustomSumEEEEE10hipError_tPvRmT0_T1_jT2_SS_T4_T3_P12ihipStream_tbEUlT_E_NS1_11comp_targetILNS1_3genE2ELNS1_11target_archE906ELNS1_3gpuE6ELNS1_3repE0EEENS1_30default_config_static_selectorELNS0_4arch9wavefront6targetE0EEEvSR_,"axG",@progbits,_ZN7rocprim17ROCPRIM_400000_NS6detail17trampoline_kernelINS0_14default_configENS1_32segmented_reduce_config_selectorIN3c104HalfEEEZNS1_21segmented_reduce_implIS3_PKS6_PS6_PKiS6_N6hipcub16HIPCUB_304000_NS6detail27convert_result_type_wrapperISA_SB_N2at6native12_GLOBAL__N_19CustomSumEEEEE10hipError_tPvRmT0_T1_jT2_SS_T4_T3_P12ihipStream_tbEUlT_E_NS1_11comp_targetILNS1_3genE2ELNS1_11target_archE906ELNS1_3gpuE6ELNS1_3repE0EEENS1_30default_config_static_selectorELNS0_4arch9wavefront6targetE0EEEvSR_,comdat
	.globl	_ZN7rocprim17ROCPRIM_400000_NS6detail17trampoline_kernelINS0_14default_configENS1_32segmented_reduce_config_selectorIN3c104HalfEEEZNS1_21segmented_reduce_implIS3_PKS6_PS6_PKiS6_N6hipcub16HIPCUB_304000_NS6detail27convert_result_type_wrapperISA_SB_N2at6native12_GLOBAL__N_19CustomSumEEEEE10hipError_tPvRmT0_T1_jT2_SS_T4_T3_P12ihipStream_tbEUlT_E_NS1_11comp_targetILNS1_3genE2ELNS1_11target_archE906ELNS1_3gpuE6ELNS1_3repE0EEENS1_30default_config_static_selectorELNS0_4arch9wavefront6targetE0EEEvSR_ ; -- Begin function _ZN7rocprim17ROCPRIM_400000_NS6detail17trampoline_kernelINS0_14default_configENS1_32segmented_reduce_config_selectorIN3c104HalfEEEZNS1_21segmented_reduce_implIS3_PKS6_PS6_PKiS6_N6hipcub16HIPCUB_304000_NS6detail27convert_result_type_wrapperISA_SB_N2at6native12_GLOBAL__N_19CustomSumEEEEE10hipError_tPvRmT0_T1_jT2_SS_T4_T3_P12ihipStream_tbEUlT_E_NS1_11comp_targetILNS1_3genE2ELNS1_11target_archE906ELNS1_3gpuE6ELNS1_3repE0EEENS1_30default_config_static_selectorELNS0_4arch9wavefront6targetE0EEEvSR_
	.p2align	8
	.type	_ZN7rocprim17ROCPRIM_400000_NS6detail17trampoline_kernelINS0_14default_configENS1_32segmented_reduce_config_selectorIN3c104HalfEEEZNS1_21segmented_reduce_implIS3_PKS6_PS6_PKiS6_N6hipcub16HIPCUB_304000_NS6detail27convert_result_type_wrapperISA_SB_N2at6native12_GLOBAL__N_19CustomSumEEEEE10hipError_tPvRmT0_T1_jT2_SS_T4_T3_P12ihipStream_tbEUlT_E_NS1_11comp_targetILNS1_3genE2ELNS1_11target_archE906ELNS1_3gpuE6ELNS1_3repE0EEENS1_30default_config_static_selectorELNS0_4arch9wavefront6targetE0EEEvSR_,@function
_ZN7rocprim17ROCPRIM_400000_NS6detail17trampoline_kernelINS0_14default_configENS1_32segmented_reduce_config_selectorIN3c104HalfEEEZNS1_21segmented_reduce_implIS3_PKS6_PS6_PKiS6_N6hipcub16HIPCUB_304000_NS6detail27convert_result_type_wrapperISA_SB_N2at6native12_GLOBAL__N_19CustomSumEEEEE10hipError_tPvRmT0_T1_jT2_SS_T4_T3_P12ihipStream_tbEUlT_E_NS1_11comp_targetILNS1_3genE2ELNS1_11target_archE906ELNS1_3gpuE6ELNS1_3repE0EEENS1_30default_config_static_selectorELNS0_4arch9wavefront6targetE0EEEvSR_: ; @_ZN7rocprim17ROCPRIM_400000_NS6detail17trampoline_kernelINS0_14default_configENS1_32segmented_reduce_config_selectorIN3c104HalfEEEZNS1_21segmented_reduce_implIS3_PKS6_PS6_PKiS6_N6hipcub16HIPCUB_304000_NS6detail27convert_result_type_wrapperISA_SB_N2at6native12_GLOBAL__N_19CustomSumEEEEE10hipError_tPvRmT0_T1_jT2_SS_T4_T3_P12ihipStream_tbEUlT_E_NS1_11comp_targetILNS1_3genE2ELNS1_11target_archE906ELNS1_3gpuE6ELNS1_3repE0EEENS1_30default_config_static_selectorELNS0_4arch9wavefront6targetE0EEEvSR_
; %bb.0:
	.section	.rodata,"a",@progbits
	.p2align	6, 0x0
	.amdhsa_kernel _ZN7rocprim17ROCPRIM_400000_NS6detail17trampoline_kernelINS0_14default_configENS1_32segmented_reduce_config_selectorIN3c104HalfEEEZNS1_21segmented_reduce_implIS3_PKS6_PS6_PKiS6_N6hipcub16HIPCUB_304000_NS6detail27convert_result_type_wrapperISA_SB_N2at6native12_GLOBAL__N_19CustomSumEEEEE10hipError_tPvRmT0_T1_jT2_SS_T4_T3_P12ihipStream_tbEUlT_E_NS1_11comp_targetILNS1_3genE2ELNS1_11target_archE906ELNS1_3gpuE6ELNS1_3repE0EEENS1_30default_config_static_selectorELNS0_4arch9wavefront6targetE0EEEvSR_
		.amdhsa_group_segment_fixed_size 0
		.amdhsa_private_segment_fixed_size 0
		.amdhsa_kernarg_size 48
		.amdhsa_user_sgpr_count 2
		.amdhsa_user_sgpr_dispatch_ptr 0
		.amdhsa_user_sgpr_queue_ptr 0
		.amdhsa_user_sgpr_kernarg_segment_ptr 1
		.amdhsa_user_sgpr_dispatch_id 0
		.amdhsa_user_sgpr_kernarg_preload_length 0
		.amdhsa_user_sgpr_kernarg_preload_offset 0
		.amdhsa_user_sgpr_private_segment_size 0
		.amdhsa_wavefront_size32 1
		.amdhsa_uses_dynamic_stack 0
		.amdhsa_enable_private_segment 0
		.amdhsa_system_sgpr_workgroup_id_x 1
		.amdhsa_system_sgpr_workgroup_id_y 0
		.amdhsa_system_sgpr_workgroup_id_z 0
		.amdhsa_system_sgpr_workgroup_info 0
		.amdhsa_system_vgpr_workitem_id 0
		.amdhsa_next_free_vgpr 1
		.amdhsa_next_free_sgpr 1
		.amdhsa_named_barrier_count 0
		.amdhsa_reserve_vcc 0
		.amdhsa_float_round_mode_32 0
		.amdhsa_float_round_mode_16_64 0
		.amdhsa_float_denorm_mode_32 3
		.amdhsa_float_denorm_mode_16_64 3
		.amdhsa_fp16_overflow 0
		.amdhsa_memory_ordered 1
		.amdhsa_forward_progress 1
		.amdhsa_inst_pref_size 0
		.amdhsa_round_robin_scheduling 0
		.amdhsa_exception_fp_ieee_invalid_op 0
		.amdhsa_exception_fp_denorm_src 0
		.amdhsa_exception_fp_ieee_div_zero 0
		.amdhsa_exception_fp_ieee_overflow 0
		.amdhsa_exception_fp_ieee_underflow 0
		.amdhsa_exception_fp_ieee_inexact 0
		.amdhsa_exception_int_div_zero 0
	.end_amdhsa_kernel
	.section	.text._ZN7rocprim17ROCPRIM_400000_NS6detail17trampoline_kernelINS0_14default_configENS1_32segmented_reduce_config_selectorIN3c104HalfEEEZNS1_21segmented_reduce_implIS3_PKS6_PS6_PKiS6_N6hipcub16HIPCUB_304000_NS6detail27convert_result_type_wrapperISA_SB_N2at6native12_GLOBAL__N_19CustomSumEEEEE10hipError_tPvRmT0_T1_jT2_SS_T4_T3_P12ihipStream_tbEUlT_E_NS1_11comp_targetILNS1_3genE2ELNS1_11target_archE906ELNS1_3gpuE6ELNS1_3repE0EEENS1_30default_config_static_selectorELNS0_4arch9wavefront6targetE0EEEvSR_,"axG",@progbits,_ZN7rocprim17ROCPRIM_400000_NS6detail17trampoline_kernelINS0_14default_configENS1_32segmented_reduce_config_selectorIN3c104HalfEEEZNS1_21segmented_reduce_implIS3_PKS6_PS6_PKiS6_N6hipcub16HIPCUB_304000_NS6detail27convert_result_type_wrapperISA_SB_N2at6native12_GLOBAL__N_19CustomSumEEEEE10hipError_tPvRmT0_T1_jT2_SS_T4_T3_P12ihipStream_tbEUlT_E_NS1_11comp_targetILNS1_3genE2ELNS1_11target_archE906ELNS1_3gpuE6ELNS1_3repE0EEENS1_30default_config_static_selectorELNS0_4arch9wavefront6targetE0EEEvSR_,comdat
.Lfunc_end90:
	.size	_ZN7rocprim17ROCPRIM_400000_NS6detail17trampoline_kernelINS0_14default_configENS1_32segmented_reduce_config_selectorIN3c104HalfEEEZNS1_21segmented_reduce_implIS3_PKS6_PS6_PKiS6_N6hipcub16HIPCUB_304000_NS6detail27convert_result_type_wrapperISA_SB_N2at6native12_GLOBAL__N_19CustomSumEEEEE10hipError_tPvRmT0_T1_jT2_SS_T4_T3_P12ihipStream_tbEUlT_E_NS1_11comp_targetILNS1_3genE2ELNS1_11target_archE906ELNS1_3gpuE6ELNS1_3repE0EEENS1_30default_config_static_selectorELNS0_4arch9wavefront6targetE0EEEvSR_, .Lfunc_end90-_ZN7rocprim17ROCPRIM_400000_NS6detail17trampoline_kernelINS0_14default_configENS1_32segmented_reduce_config_selectorIN3c104HalfEEEZNS1_21segmented_reduce_implIS3_PKS6_PS6_PKiS6_N6hipcub16HIPCUB_304000_NS6detail27convert_result_type_wrapperISA_SB_N2at6native12_GLOBAL__N_19CustomSumEEEEE10hipError_tPvRmT0_T1_jT2_SS_T4_T3_P12ihipStream_tbEUlT_E_NS1_11comp_targetILNS1_3genE2ELNS1_11target_archE906ELNS1_3gpuE6ELNS1_3repE0EEENS1_30default_config_static_selectorELNS0_4arch9wavefront6targetE0EEEvSR_
                                        ; -- End function
	.set _ZN7rocprim17ROCPRIM_400000_NS6detail17trampoline_kernelINS0_14default_configENS1_32segmented_reduce_config_selectorIN3c104HalfEEEZNS1_21segmented_reduce_implIS3_PKS6_PS6_PKiS6_N6hipcub16HIPCUB_304000_NS6detail27convert_result_type_wrapperISA_SB_N2at6native12_GLOBAL__N_19CustomSumEEEEE10hipError_tPvRmT0_T1_jT2_SS_T4_T3_P12ihipStream_tbEUlT_E_NS1_11comp_targetILNS1_3genE2ELNS1_11target_archE906ELNS1_3gpuE6ELNS1_3repE0EEENS1_30default_config_static_selectorELNS0_4arch9wavefront6targetE0EEEvSR_.num_vgpr, 0
	.set _ZN7rocprim17ROCPRIM_400000_NS6detail17trampoline_kernelINS0_14default_configENS1_32segmented_reduce_config_selectorIN3c104HalfEEEZNS1_21segmented_reduce_implIS3_PKS6_PS6_PKiS6_N6hipcub16HIPCUB_304000_NS6detail27convert_result_type_wrapperISA_SB_N2at6native12_GLOBAL__N_19CustomSumEEEEE10hipError_tPvRmT0_T1_jT2_SS_T4_T3_P12ihipStream_tbEUlT_E_NS1_11comp_targetILNS1_3genE2ELNS1_11target_archE906ELNS1_3gpuE6ELNS1_3repE0EEENS1_30default_config_static_selectorELNS0_4arch9wavefront6targetE0EEEvSR_.num_agpr, 0
	.set _ZN7rocprim17ROCPRIM_400000_NS6detail17trampoline_kernelINS0_14default_configENS1_32segmented_reduce_config_selectorIN3c104HalfEEEZNS1_21segmented_reduce_implIS3_PKS6_PS6_PKiS6_N6hipcub16HIPCUB_304000_NS6detail27convert_result_type_wrapperISA_SB_N2at6native12_GLOBAL__N_19CustomSumEEEEE10hipError_tPvRmT0_T1_jT2_SS_T4_T3_P12ihipStream_tbEUlT_E_NS1_11comp_targetILNS1_3genE2ELNS1_11target_archE906ELNS1_3gpuE6ELNS1_3repE0EEENS1_30default_config_static_selectorELNS0_4arch9wavefront6targetE0EEEvSR_.numbered_sgpr, 0
	.set _ZN7rocprim17ROCPRIM_400000_NS6detail17trampoline_kernelINS0_14default_configENS1_32segmented_reduce_config_selectorIN3c104HalfEEEZNS1_21segmented_reduce_implIS3_PKS6_PS6_PKiS6_N6hipcub16HIPCUB_304000_NS6detail27convert_result_type_wrapperISA_SB_N2at6native12_GLOBAL__N_19CustomSumEEEEE10hipError_tPvRmT0_T1_jT2_SS_T4_T3_P12ihipStream_tbEUlT_E_NS1_11comp_targetILNS1_3genE2ELNS1_11target_archE906ELNS1_3gpuE6ELNS1_3repE0EEENS1_30default_config_static_selectorELNS0_4arch9wavefront6targetE0EEEvSR_.num_named_barrier, 0
	.set _ZN7rocprim17ROCPRIM_400000_NS6detail17trampoline_kernelINS0_14default_configENS1_32segmented_reduce_config_selectorIN3c104HalfEEEZNS1_21segmented_reduce_implIS3_PKS6_PS6_PKiS6_N6hipcub16HIPCUB_304000_NS6detail27convert_result_type_wrapperISA_SB_N2at6native12_GLOBAL__N_19CustomSumEEEEE10hipError_tPvRmT0_T1_jT2_SS_T4_T3_P12ihipStream_tbEUlT_E_NS1_11comp_targetILNS1_3genE2ELNS1_11target_archE906ELNS1_3gpuE6ELNS1_3repE0EEENS1_30default_config_static_selectorELNS0_4arch9wavefront6targetE0EEEvSR_.private_seg_size, 0
	.set _ZN7rocprim17ROCPRIM_400000_NS6detail17trampoline_kernelINS0_14default_configENS1_32segmented_reduce_config_selectorIN3c104HalfEEEZNS1_21segmented_reduce_implIS3_PKS6_PS6_PKiS6_N6hipcub16HIPCUB_304000_NS6detail27convert_result_type_wrapperISA_SB_N2at6native12_GLOBAL__N_19CustomSumEEEEE10hipError_tPvRmT0_T1_jT2_SS_T4_T3_P12ihipStream_tbEUlT_E_NS1_11comp_targetILNS1_3genE2ELNS1_11target_archE906ELNS1_3gpuE6ELNS1_3repE0EEENS1_30default_config_static_selectorELNS0_4arch9wavefront6targetE0EEEvSR_.uses_vcc, 0
	.set _ZN7rocprim17ROCPRIM_400000_NS6detail17trampoline_kernelINS0_14default_configENS1_32segmented_reduce_config_selectorIN3c104HalfEEEZNS1_21segmented_reduce_implIS3_PKS6_PS6_PKiS6_N6hipcub16HIPCUB_304000_NS6detail27convert_result_type_wrapperISA_SB_N2at6native12_GLOBAL__N_19CustomSumEEEEE10hipError_tPvRmT0_T1_jT2_SS_T4_T3_P12ihipStream_tbEUlT_E_NS1_11comp_targetILNS1_3genE2ELNS1_11target_archE906ELNS1_3gpuE6ELNS1_3repE0EEENS1_30default_config_static_selectorELNS0_4arch9wavefront6targetE0EEEvSR_.uses_flat_scratch, 0
	.set _ZN7rocprim17ROCPRIM_400000_NS6detail17trampoline_kernelINS0_14default_configENS1_32segmented_reduce_config_selectorIN3c104HalfEEEZNS1_21segmented_reduce_implIS3_PKS6_PS6_PKiS6_N6hipcub16HIPCUB_304000_NS6detail27convert_result_type_wrapperISA_SB_N2at6native12_GLOBAL__N_19CustomSumEEEEE10hipError_tPvRmT0_T1_jT2_SS_T4_T3_P12ihipStream_tbEUlT_E_NS1_11comp_targetILNS1_3genE2ELNS1_11target_archE906ELNS1_3gpuE6ELNS1_3repE0EEENS1_30default_config_static_selectorELNS0_4arch9wavefront6targetE0EEEvSR_.has_dyn_sized_stack, 0
	.set _ZN7rocprim17ROCPRIM_400000_NS6detail17trampoline_kernelINS0_14default_configENS1_32segmented_reduce_config_selectorIN3c104HalfEEEZNS1_21segmented_reduce_implIS3_PKS6_PS6_PKiS6_N6hipcub16HIPCUB_304000_NS6detail27convert_result_type_wrapperISA_SB_N2at6native12_GLOBAL__N_19CustomSumEEEEE10hipError_tPvRmT0_T1_jT2_SS_T4_T3_P12ihipStream_tbEUlT_E_NS1_11comp_targetILNS1_3genE2ELNS1_11target_archE906ELNS1_3gpuE6ELNS1_3repE0EEENS1_30default_config_static_selectorELNS0_4arch9wavefront6targetE0EEEvSR_.has_recursion, 0
	.set _ZN7rocprim17ROCPRIM_400000_NS6detail17trampoline_kernelINS0_14default_configENS1_32segmented_reduce_config_selectorIN3c104HalfEEEZNS1_21segmented_reduce_implIS3_PKS6_PS6_PKiS6_N6hipcub16HIPCUB_304000_NS6detail27convert_result_type_wrapperISA_SB_N2at6native12_GLOBAL__N_19CustomSumEEEEE10hipError_tPvRmT0_T1_jT2_SS_T4_T3_P12ihipStream_tbEUlT_E_NS1_11comp_targetILNS1_3genE2ELNS1_11target_archE906ELNS1_3gpuE6ELNS1_3repE0EEENS1_30default_config_static_selectorELNS0_4arch9wavefront6targetE0EEEvSR_.has_indirect_call, 0
	.section	.AMDGPU.csdata,"",@progbits
; Kernel info:
; codeLenInByte = 0
; TotalNumSgprs: 0
; NumVgprs: 0
; ScratchSize: 0
; MemoryBound: 0
; FloatMode: 240
; IeeeMode: 1
; LDSByteSize: 0 bytes/workgroup (compile time only)
; SGPRBlocks: 0
; VGPRBlocks: 0
; NumSGPRsForWavesPerEU: 1
; NumVGPRsForWavesPerEU: 1
; NamedBarCnt: 0
; Occupancy: 16
; WaveLimiterHint : 0
; COMPUTE_PGM_RSRC2:SCRATCH_EN: 0
; COMPUTE_PGM_RSRC2:USER_SGPR: 2
; COMPUTE_PGM_RSRC2:TRAP_HANDLER: 0
; COMPUTE_PGM_RSRC2:TGID_X_EN: 1
; COMPUTE_PGM_RSRC2:TGID_Y_EN: 0
; COMPUTE_PGM_RSRC2:TGID_Z_EN: 0
; COMPUTE_PGM_RSRC2:TIDIG_COMP_CNT: 0
	.section	.text._ZN7rocprim17ROCPRIM_400000_NS6detail17trampoline_kernelINS0_14default_configENS1_32segmented_reduce_config_selectorIN3c104HalfEEEZNS1_21segmented_reduce_implIS3_PKS6_PS6_PKiS6_N6hipcub16HIPCUB_304000_NS6detail27convert_result_type_wrapperISA_SB_N2at6native12_GLOBAL__N_19CustomSumEEEEE10hipError_tPvRmT0_T1_jT2_SS_T4_T3_P12ihipStream_tbEUlT_E_NS1_11comp_targetILNS1_3genE9ELNS1_11target_archE1100ELNS1_3gpuE3ELNS1_3repE0EEENS1_30default_config_static_selectorELNS0_4arch9wavefront6targetE0EEEvSR_,"axG",@progbits,_ZN7rocprim17ROCPRIM_400000_NS6detail17trampoline_kernelINS0_14default_configENS1_32segmented_reduce_config_selectorIN3c104HalfEEEZNS1_21segmented_reduce_implIS3_PKS6_PS6_PKiS6_N6hipcub16HIPCUB_304000_NS6detail27convert_result_type_wrapperISA_SB_N2at6native12_GLOBAL__N_19CustomSumEEEEE10hipError_tPvRmT0_T1_jT2_SS_T4_T3_P12ihipStream_tbEUlT_E_NS1_11comp_targetILNS1_3genE9ELNS1_11target_archE1100ELNS1_3gpuE3ELNS1_3repE0EEENS1_30default_config_static_selectorELNS0_4arch9wavefront6targetE0EEEvSR_,comdat
	.globl	_ZN7rocprim17ROCPRIM_400000_NS6detail17trampoline_kernelINS0_14default_configENS1_32segmented_reduce_config_selectorIN3c104HalfEEEZNS1_21segmented_reduce_implIS3_PKS6_PS6_PKiS6_N6hipcub16HIPCUB_304000_NS6detail27convert_result_type_wrapperISA_SB_N2at6native12_GLOBAL__N_19CustomSumEEEEE10hipError_tPvRmT0_T1_jT2_SS_T4_T3_P12ihipStream_tbEUlT_E_NS1_11comp_targetILNS1_3genE9ELNS1_11target_archE1100ELNS1_3gpuE3ELNS1_3repE0EEENS1_30default_config_static_selectorELNS0_4arch9wavefront6targetE0EEEvSR_ ; -- Begin function _ZN7rocprim17ROCPRIM_400000_NS6detail17trampoline_kernelINS0_14default_configENS1_32segmented_reduce_config_selectorIN3c104HalfEEEZNS1_21segmented_reduce_implIS3_PKS6_PS6_PKiS6_N6hipcub16HIPCUB_304000_NS6detail27convert_result_type_wrapperISA_SB_N2at6native12_GLOBAL__N_19CustomSumEEEEE10hipError_tPvRmT0_T1_jT2_SS_T4_T3_P12ihipStream_tbEUlT_E_NS1_11comp_targetILNS1_3genE9ELNS1_11target_archE1100ELNS1_3gpuE3ELNS1_3repE0EEENS1_30default_config_static_selectorELNS0_4arch9wavefront6targetE0EEEvSR_
	.p2align	8
	.type	_ZN7rocprim17ROCPRIM_400000_NS6detail17trampoline_kernelINS0_14default_configENS1_32segmented_reduce_config_selectorIN3c104HalfEEEZNS1_21segmented_reduce_implIS3_PKS6_PS6_PKiS6_N6hipcub16HIPCUB_304000_NS6detail27convert_result_type_wrapperISA_SB_N2at6native12_GLOBAL__N_19CustomSumEEEEE10hipError_tPvRmT0_T1_jT2_SS_T4_T3_P12ihipStream_tbEUlT_E_NS1_11comp_targetILNS1_3genE9ELNS1_11target_archE1100ELNS1_3gpuE3ELNS1_3repE0EEENS1_30default_config_static_selectorELNS0_4arch9wavefront6targetE0EEEvSR_,@function
_ZN7rocprim17ROCPRIM_400000_NS6detail17trampoline_kernelINS0_14default_configENS1_32segmented_reduce_config_selectorIN3c104HalfEEEZNS1_21segmented_reduce_implIS3_PKS6_PS6_PKiS6_N6hipcub16HIPCUB_304000_NS6detail27convert_result_type_wrapperISA_SB_N2at6native12_GLOBAL__N_19CustomSumEEEEE10hipError_tPvRmT0_T1_jT2_SS_T4_T3_P12ihipStream_tbEUlT_E_NS1_11comp_targetILNS1_3genE9ELNS1_11target_archE1100ELNS1_3gpuE3ELNS1_3repE0EEENS1_30default_config_static_selectorELNS0_4arch9wavefront6targetE0EEEvSR_: ; @_ZN7rocprim17ROCPRIM_400000_NS6detail17trampoline_kernelINS0_14default_configENS1_32segmented_reduce_config_selectorIN3c104HalfEEEZNS1_21segmented_reduce_implIS3_PKS6_PS6_PKiS6_N6hipcub16HIPCUB_304000_NS6detail27convert_result_type_wrapperISA_SB_N2at6native12_GLOBAL__N_19CustomSumEEEEE10hipError_tPvRmT0_T1_jT2_SS_T4_T3_P12ihipStream_tbEUlT_E_NS1_11comp_targetILNS1_3genE9ELNS1_11target_archE1100ELNS1_3gpuE3ELNS1_3repE0EEENS1_30default_config_static_selectorELNS0_4arch9wavefront6targetE0EEEvSR_
; %bb.0:
	.section	.rodata,"a",@progbits
	.p2align	6, 0x0
	.amdhsa_kernel _ZN7rocprim17ROCPRIM_400000_NS6detail17trampoline_kernelINS0_14default_configENS1_32segmented_reduce_config_selectorIN3c104HalfEEEZNS1_21segmented_reduce_implIS3_PKS6_PS6_PKiS6_N6hipcub16HIPCUB_304000_NS6detail27convert_result_type_wrapperISA_SB_N2at6native12_GLOBAL__N_19CustomSumEEEEE10hipError_tPvRmT0_T1_jT2_SS_T4_T3_P12ihipStream_tbEUlT_E_NS1_11comp_targetILNS1_3genE9ELNS1_11target_archE1100ELNS1_3gpuE3ELNS1_3repE0EEENS1_30default_config_static_selectorELNS0_4arch9wavefront6targetE0EEEvSR_
		.amdhsa_group_segment_fixed_size 0
		.amdhsa_private_segment_fixed_size 0
		.amdhsa_kernarg_size 48
		.amdhsa_user_sgpr_count 2
		.amdhsa_user_sgpr_dispatch_ptr 0
		.amdhsa_user_sgpr_queue_ptr 0
		.amdhsa_user_sgpr_kernarg_segment_ptr 1
		.amdhsa_user_sgpr_dispatch_id 0
		.amdhsa_user_sgpr_kernarg_preload_length 0
		.amdhsa_user_sgpr_kernarg_preload_offset 0
		.amdhsa_user_sgpr_private_segment_size 0
		.amdhsa_wavefront_size32 1
		.amdhsa_uses_dynamic_stack 0
		.amdhsa_enable_private_segment 0
		.amdhsa_system_sgpr_workgroup_id_x 1
		.amdhsa_system_sgpr_workgroup_id_y 0
		.amdhsa_system_sgpr_workgroup_id_z 0
		.amdhsa_system_sgpr_workgroup_info 0
		.amdhsa_system_vgpr_workitem_id 0
		.amdhsa_next_free_vgpr 1
		.amdhsa_next_free_sgpr 1
		.amdhsa_named_barrier_count 0
		.amdhsa_reserve_vcc 0
		.amdhsa_float_round_mode_32 0
		.amdhsa_float_round_mode_16_64 0
		.amdhsa_float_denorm_mode_32 3
		.amdhsa_float_denorm_mode_16_64 3
		.amdhsa_fp16_overflow 0
		.amdhsa_memory_ordered 1
		.amdhsa_forward_progress 1
		.amdhsa_inst_pref_size 0
		.amdhsa_round_robin_scheduling 0
		.amdhsa_exception_fp_ieee_invalid_op 0
		.amdhsa_exception_fp_denorm_src 0
		.amdhsa_exception_fp_ieee_div_zero 0
		.amdhsa_exception_fp_ieee_overflow 0
		.amdhsa_exception_fp_ieee_underflow 0
		.amdhsa_exception_fp_ieee_inexact 0
		.amdhsa_exception_int_div_zero 0
	.end_amdhsa_kernel
	.section	.text._ZN7rocprim17ROCPRIM_400000_NS6detail17trampoline_kernelINS0_14default_configENS1_32segmented_reduce_config_selectorIN3c104HalfEEEZNS1_21segmented_reduce_implIS3_PKS6_PS6_PKiS6_N6hipcub16HIPCUB_304000_NS6detail27convert_result_type_wrapperISA_SB_N2at6native12_GLOBAL__N_19CustomSumEEEEE10hipError_tPvRmT0_T1_jT2_SS_T4_T3_P12ihipStream_tbEUlT_E_NS1_11comp_targetILNS1_3genE9ELNS1_11target_archE1100ELNS1_3gpuE3ELNS1_3repE0EEENS1_30default_config_static_selectorELNS0_4arch9wavefront6targetE0EEEvSR_,"axG",@progbits,_ZN7rocprim17ROCPRIM_400000_NS6detail17trampoline_kernelINS0_14default_configENS1_32segmented_reduce_config_selectorIN3c104HalfEEEZNS1_21segmented_reduce_implIS3_PKS6_PS6_PKiS6_N6hipcub16HIPCUB_304000_NS6detail27convert_result_type_wrapperISA_SB_N2at6native12_GLOBAL__N_19CustomSumEEEEE10hipError_tPvRmT0_T1_jT2_SS_T4_T3_P12ihipStream_tbEUlT_E_NS1_11comp_targetILNS1_3genE9ELNS1_11target_archE1100ELNS1_3gpuE3ELNS1_3repE0EEENS1_30default_config_static_selectorELNS0_4arch9wavefront6targetE0EEEvSR_,comdat
.Lfunc_end91:
	.size	_ZN7rocprim17ROCPRIM_400000_NS6detail17trampoline_kernelINS0_14default_configENS1_32segmented_reduce_config_selectorIN3c104HalfEEEZNS1_21segmented_reduce_implIS3_PKS6_PS6_PKiS6_N6hipcub16HIPCUB_304000_NS6detail27convert_result_type_wrapperISA_SB_N2at6native12_GLOBAL__N_19CustomSumEEEEE10hipError_tPvRmT0_T1_jT2_SS_T4_T3_P12ihipStream_tbEUlT_E_NS1_11comp_targetILNS1_3genE9ELNS1_11target_archE1100ELNS1_3gpuE3ELNS1_3repE0EEENS1_30default_config_static_selectorELNS0_4arch9wavefront6targetE0EEEvSR_, .Lfunc_end91-_ZN7rocprim17ROCPRIM_400000_NS6detail17trampoline_kernelINS0_14default_configENS1_32segmented_reduce_config_selectorIN3c104HalfEEEZNS1_21segmented_reduce_implIS3_PKS6_PS6_PKiS6_N6hipcub16HIPCUB_304000_NS6detail27convert_result_type_wrapperISA_SB_N2at6native12_GLOBAL__N_19CustomSumEEEEE10hipError_tPvRmT0_T1_jT2_SS_T4_T3_P12ihipStream_tbEUlT_E_NS1_11comp_targetILNS1_3genE9ELNS1_11target_archE1100ELNS1_3gpuE3ELNS1_3repE0EEENS1_30default_config_static_selectorELNS0_4arch9wavefront6targetE0EEEvSR_
                                        ; -- End function
	.set _ZN7rocprim17ROCPRIM_400000_NS6detail17trampoline_kernelINS0_14default_configENS1_32segmented_reduce_config_selectorIN3c104HalfEEEZNS1_21segmented_reduce_implIS3_PKS6_PS6_PKiS6_N6hipcub16HIPCUB_304000_NS6detail27convert_result_type_wrapperISA_SB_N2at6native12_GLOBAL__N_19CustomSumEEEEE10hipError_tPvRmT0_T1_jT2_SS_T4_T3_P12ihipStream_tbEUlT_E_NS1_11comp_targetILNS1_3genE9ELNS1_11target_archE1100ELNS1_3gpuE3ELNS1_3repE0EEENS1_30default_config_static_selectorELNS0_4arch9wavefront6targetE0EEEvSR_.num_vgpr, 0
	.set _ZN7rocprim17ROCPRIM_400000_NS6detail17trampoline_kernelINS0_14default_configENS1_32segmented_reduce_config_selectorIN3c104HalfEEEZNS1_21segmented_reduce_implIS3_PKS6_PS6_PKiS6_N6hipcub16HIPCUB_304000_NS6detail27convert_result_type_wrapperISA_SB_N2at6native12_GLOBAL__N_19CustomSumEEEEE10hipError_tPvRmT0_T1_jT2_SS_T4_T3_P12ihipStream_tbEUlT_E_NS1_11comp_targetILNS1_3genE9ELNS1_11target_archE1100ELNS1_3gpuE3ELNS1_3repE0EEENS1_30default_config_static_selectorELNS0_4arch9wavefront6targetE0EEEvSR_.num_agpr, 0
	.set _ZN7rocprim17ROCPRIM_400000_NS6detail17trampoline_kernelINS0_14default_configENS1_32segmented_reduce_config_selectorIN3c104HalfEEEZNS1_21segmented_reduce_implIS3_PKS6_PS6_PKiS6_N6hipcub16HIPCUB_304000_NS6detail27convert_result_type_wrapperISA_SB_N2at6native12_GLOBAL__N_19CustomSumEEEEE10hipError_tPvRmT0_T1_jT2_SS_T4_T3_P12ihipStream_tbEUlT_E_NS1_11comp_targetILNS1_3genE9ELNS1_11target_archE1100ELNS1_3gpuE3ELNS1_3repE0EEENS1_30default_config_static_selectorELNS0_4arch9wavefront6targetE0EEEvSR_.numbered_sgpr, 0
	.set _ZN7rocprim17ROCPRIM_400000_NS6detail17trampoline_kernelINS0_14default_configENS1_32segmented_reduce_config_selectorIN3c104HalfEEEZNS1_21segmented_reduce_implIS3_PKS6_PS6_PKiS6_N6hipcub16HIPCUB_304000_NS6detail27convert_result_type_wrapperISA_SB_N2at6native12_GLOBAL__N_19CustomSumEEEEE10hipError_tPvRmT0_T1_jT2_SS_T4_T3_P12ihipStream_tbEUlT_E_NS1_11comp_targetILNS1_3genE9ELNS1_11target_archE1100ELNS1_3gpuE3ELNS1_3repE0EEENS1_30default_config_static_selectorELNS0_4arch9wavefront6targetE0EEEvSR_.num_named_barrier, 0
	.set _ZN7rocprim17ROCPRIM_400000_NS6detail17trampoline_kernelINS0_14default_configENS1_32segmented_reduce_config_selectorIN3c104HalfEEEZNS1_21segmented_reduce_implIS3_PKS6_PS6_PKiS6_N6hipcub16HIPCUB_304000_NS6detail27convert_result_type_wrapperISA_SB_N2at6native12_GLOBAL__N_19CustomSumEEEEE10hipError_tPvRmT0_T1_jT2_SS_T4_T3_P12ihipStream_tbEUlT_E_NS1_11comp_targetILNS1_3genE9ELNS1_11target_archE1100ELNS1_3gpuE3ELNS1_3repE0EEENS1_30default_config_static_selectorELNS0_4arch9wavefront6targetE0EEEvSR_.private_seg_size, 0
	.set _ZN7rocprim17ROCPRIM_400000_NS6detail17trampoline_kernelINS0_14default_configENS1_32segmented_reduce_config_selectorIN3c104HalfEEEZNS1_21segmented_reduce_implIS3_PKS6_PS6_PKiS6_N6hipcub16HIPCUB_304000_NS6detail27convert_result_type_wrapperISA_SB_N2at6native12_GLOBAL__N_19CustomSumEEEEE10hipError_tPvRmT0_T1_jT2_SS_T4_T3_P12ihipStream_tbEUlT_E_NS1_11comp_targetILNS1_3genE9ELNS1_11target_archE1100ELNS1_3gpuE3ELNS1_3repE0EEENS1_30default_config_static_selectorELNS0_4arch9wavefront6targetE0EEEvSR_.uses_vcc, 0
	.set _ZN7rocprim17ROCPRIM_400000_NS6detail17trampoline_kernelINS0_14default_configENS1_32segmented_reduce_config_selectorIN3c104HalfEEEZNS1_21segmented_reduce_implIS3_PKS6_PS6_PKiS6_N6hipcub16HIPCUB_304000_NS6detail27convert_result_type_wrapperISA_SB_N2at6native12_GLOBAL__N_19CustomSumEEEEE10hipError_tPvRmT0_T1_jT2_SS_T4_T3_P12ihipStream_tbEUlT_E_NS1_11comp_targetILNS1_3genE9ELNS1_11target_archE1100ELNS1_3gpuE3ELNS1_3repE0EEENS1_30default_config_static_selectorELNS0_4arch9wavefront6targetE0EEEvSR_.uses_flat_scratch, 0
	.set _ZN7rocprim17ROCPRIM_400000_NS6detail17trampoline_kernelINS0_14default_configENS1_32segmented_reduce_config_selectorIN3c104HalfEEEZNS1_21segmented_reduce_implIS3_PKS6_PS6_PKiS6_N6hipcub16HIPCUB_304000_NS6detail27convert_result_type_wrapperISA_SB_N2at6native12_GLOBAL__N_19CustomSumEEEEE10hipError_tPvRmT0_T1_jT2_SS_T4_T3_P12ihipStream_tbEUlT_E_NS1_11comp_targetILNS1_3genE9ELNS1_11target_archE1100ELNS1_3gpuE3ELNS1_3repE0EEENS1_30default_config_static_selectorELNS0_4arch9wavefront6targetE0EEEvSR_.has_dyn_sized_stack, 0
	.set _ZN7rocprim17ROCPRIM_400000_NS6detail17trampoline_kernelINS0_14default_configENS1_32segmented_reduce_config_selectorIN3c104HalfEEEZNS1_21segmented_reduce_implIS3_PKS6_PS6_PKiS6_N6hipcub16HIPCUB_304000_NS6detail27convert_result_type_wrapperISA_SB_N2at6native12_GLOBAL__N_19CustomSumEEEEE10hipError_tPvRmT0_T1_jT2_SS_T4_T3_P12ihipStream_tbEUlT_E_NS1_11comp_targetILNS1_3genE9ELNS1_11target_archE1100ELNS1_3gpuE3ELNS1_3repE0EEENS1_30default_config_static_selectorELNS0_4arch9wavefront6targetE0EEEvSR_.has_recursion, 0
	.set _ZN7rocprim17ROCPRIM_400000_NS6detail17trampoline_kernelINS0_14default_configENS1_32segmented_reduce_config_selectorIN3c104HalfEEEZNS1_21segmented_reduce_implIS3_PKS6_PS6_PKiS6_N6hipcub16HIPCUB_304000_NS6detail27convert_result_type_wrapperISA_SB_N2at6native12_GLOBAL__N_19CustomSumEEEEE10hipError_tPvRmT0_T1_jT2_SS_T4_T3_P12ihipStream_tbEUlT_E_NS1_11comp_targetILNS1_3genE9ELNS1_11target_archE1100ELNS1_3gpuE3ELNS1_3repE0EEENS1_30default_config_static_selectorELNS0_4arch9wavefront6targetE0EEEvSR_.has_indirect_call, 0
	.section	.AMDGPU.csdata,"",@progbits
; Kernel info:
; codeLenInByte = 0
; TotalNumSgprs: 0
; NumVgprs: 0
; ScratchSize: 0
; MemoryBound: 0
; FloatMode: 240
; IeeeMode: 1
; LDSByteSize: 0 bytes/workgroup (compile time only)
; SGPRBlocks: 0
; VGPRBlocks: 0
; NumSGPRsForWavesPerEU: 1
; NumVGPRsForWavesPerEU: 1
; NamedBarCnt: 0
; Occupancy: 16
; WaveLimiterHint : 0
; COMPUTE_PGM_RSRC2:SCRATCH_EN: 0
; COMPUTE_PGM_RSRC2:USER_SGPR: 2
; COMPUTE_PGM_RSRC2:TRAP_HANDLER: 0
; COMPUTE_PGM_RSRC2:TGID_X_EN: 1
; COMPUTE_PGM_RSRC2:TGID_Y_EN: 0
; COMPUTE_PGM_RSRC2:TGID_Z_EN: 0
; COMPUTE_PGM_RSRC2:TIDIG_COMP_CNT: 0
	.section	.text._ZN7rocprim17ROCPRIM_400000_NS6detail17trampoline_kernelINS0_14default_configENS1_32segmented_reduce_config_selectorIN3c104HalfEEEZNS1_21segmented_reduce_implIS3_PKS6_PS6_PKiS6_N6hipcub16HIPCUB_304000_NS6detail27convert_result_type_wrapperISA_SB_N2at6native12_GLOBAL__N_19CustomSumEEEEE10hipError_tPvRmT0_T1_jT2_SS_T4_T3_P12ihipStream_tbEUlT_E_NS1_11comp_targetILNS1_3genE8ELNS1_11target_archE1030ELNS1_3gpuE2ELNS1_3repE0EEENS1_30default_config_static_selectorELNS0_4arch9wavefront6targetE0EEEvSR_,"axG",@progbits,_ZN7rocprim17ROCPRIM_400000_NS6detail17trampoline_kernelINS0_14default_configENS1_32segmented_reduce_config_selectorIN3c104HalfEEEZNS1_21segmented_reduce_implIS3_PKS6_PS6_PKiS6_N6hipcub16HIPCUB_304000_NS6detail27convert_result_type_wrapperISA_SB_N2at6native12_GLOBAL__N_19CustomSumEEEEE10hipError_tPvRmT0_T1_jT2_SS_T4_T3_P12ihipStream_tbEUlT_E_NS1_11comp_targetILNS1_3genE8ELNS1_11target_archE1030ELNS1_3gpuE2ELNS1_3repE0EEENS1_30default_config_static_selectorELNS0_4arch9wavefront6targetE0EEEvSR_,comdat
	.globl	_ZN7rocprim17ROCPRIM_400000_NS6detail17trampoline_kernelINS0_14default_configENS1_32segmented_reduce_config_selectorIN3c104HalfEEEZNS1_21segmented_reduce_implIS3_PKS6_PS6_PKiS6_N6hipcub16HIPCUB_304000_NS6detail27convert_result_type_wrapperISA_SB_N2at6native12_GLOBAL__N_19CustomSumEEEEE10hipError_tPvRmT0_T1_jT2_SS_T4_T3_P12ihipStream_tbEUlT_E_NS1_11comp_targetILNS1_3genE8ELNS1_11target_archE1030ELNS1_3gpuE2ELNS1_3repE0EEENS1_30default_config_static_selectorELNS0_4arch9wavefront6targetE0EEEvSR_ ; -- Begin function _ZN7rocprim17ROCPRIM_400000_NS6detail17trampoline_kernelINS0_14default_configENS1_32segmented_reduce_config_selectorIN3c104HalfEEEZNS1_21segmented_reduce_implIS3_PKS6_PS6_PKiS6_N6hipcub16HIPCUB_304000_NS6detail27convert_result_type_wrapperISA_SB_N2at6native12_GLOBAL__N_19CustomSumEEEEE10hipError_tPvRmT0_T1_jT2_SS_T4_T3_P12ihipStream_tbEUlT_E_NS1_11comp_targetILNS1_3genE8ELNS1_11target_archE1030ELNS1_3gpuE2ELNS1_3repE0EEENS1_30default_config_static_selectorELNS0_4arch9wavefront6targetE0EEEvSR_
	.p2align	8
	.type	_ZN7rocprim17ROCPRIM_400000_NS6detail17trampoline_kernelINS0_14default_configENS1_32segmented_reduce_config_selectorIN3c104HalfEEEZNS1_21segmented_reduce_implIS3_PKS6_PS6_PKiS6_N6hipcub16HIPCUB_304000_NS6detail27convert_result_type_wrapperISA_SB_N2at6native12_GLOBAL__N_19CustomSumEEEEE10hipError_tPvRmT0_T1_jT2_SS_T4_T3_P12ihipStream_tbEUlT_E_NS1_11comp_targetILNS1_3genE8ELNS1_11target_archE1030ELNS1_3gpuE2ELNS1_3repE0EEENS1_30default_config_static_selectorELNS0_4arch9wavefront6targetE0EEEvSR_,@function
_ZN7rocprim17ROCPRIM_400000_NS6detail17trampoline_kernelINS0_14default_configENS1_32segmented_reduce_config_selectorIN3c104HalfEEEZNS1_21segmented_reduce_implIS3_PKS6_PS6_PKiS6_N6hipcub16HIPCUB_304000_NS6detail27convert_result_type_wrapperISA_SB_N2at6native12_GLOBAL__N_19CustomSumEEEEE10hipError_tPvRmT0_T1_jT2_SS_T4_T3_P12ihipStream_tbEUlT_E_NS1_11comp_targetILNS1_3genE8ELNS1_11target_archE1030ELNS1_3gpuE2ELNS1_3repE0EEENS1_30default_config_static_selectorELNS0_4arch9wavefront6targetE0EEEvSR_: ; @_ZN7rocprim17ROCPRIM_400000_NS6detail17trampoline_kernelINS0_14default_configENS1_32segmented_reduce_config_selectorIN3c104HalfEEEZNS1_21segmented_reduce_implIS3_PKS6_PS6_PKiS6_N6hipcub16HIPCUB_304000_NS6detail27convert_result_type_wrapperISA_SB_N2at6native12_GLOBAL__N_19CustomSumEEEEE10hipError_tPvRmT0_T1_jT2_SS_T4_T3_P12ihipStream_tbEUlT_E_NS1_11comp_targetILNS1_3genE8ELNS1_11target_archE1030ELNS1_3gpuE2ELNS1_3repE0EEENS1_30default_config_static_selectorELNS0_4arch9wavefront6targetE0EEEvSR_
; %bb.0:
	.section	.rodata,"a",@progbits
	.p2align	6, 0x0
	.amdhsa_kernel _ZN7rocprim17ROCPRIM_400000_NS6detail17trampoline_kernelINS0_14default_configENS1_32segmented_reduce_config_selectorIN3c104HalfEEEZNS1_21segmented_reduce_implIS3_PKS6_PS6_PKiS6_N6hipcub16HIPCUB_304000_NS6detail27convert_result_type_wrapperISA_SB_N2at6native12_GLOBAL__N_19CustomSumEEEEE10hipError_tPvRmT0_T1_jT2_SS_T4_T3_P12ihipStream_tbEUlT_E_NS1_11comp_targetILNS1_3genE8ELNS1_11target_archE1030ELNS1_3gpuE2ELNS1_3repE0EEENS1_30default_config_static_selectorELNS0_4arch9wavefront6targetE0EEEvSR_
		.amdhsa_group_segment_fixed_size 0
		.amdhsa_private_segment_fixed_size 0
		.amdhsa_kernarg_size 48
		.amdhsa_user_sgpr_count 2
		.amdhsa_user_sgpr_dispatch_ptr 0
		.amdhsa_user_sgpr_queue_ptr 0
		.amdhsa_user_sgpr_kernarg_segment_ptr 1
		.amdhsa_user_sgpr_dispatch_id 0
		.amdhsa_user_sgpr_kernarg_preload_length 0
		.amdhsa_user_sgpr_kernarg_preload_offset 0
		.amdhsa_user_sgpr_private_segment_size 0
		.amdhsa_wavefront_size32 1
		.amdhsa_uses_dynamic_stack 0
		.amdhsa_enable_private_segment 0
		.amdhsa_system_sgpr_workgroup_id_x 1
		.amdhsa_system_sgpr_workgroup_id_y 0
		.amdhsa_system_sgpr_workgroup_id_z 0
		.amdhsa_system_sgpr_workgroup_info 0
		.amdhsa_system_vgpr_workitem_id 0
		.amdhsa_next_free_vgpr 1
		.amdhsa_next_free_sgpr 1
		.amdhsa_named_barrier_count 0
		.amdhsa_reserve_vcc 0
		.amdhsa_float_round_mode_32 0
		.amdhsa_float_round_mode_16_64 0
		.amdhsa_float_denorm_mode_32 3
		.amdhsa_float_denorm_mode_16_64 3
		.amdhsa_fp16_overflow 0
		.amdhsa_memory_ordered 1
		.amdhsa_forward_progress 1
		.amdhsa_inst_pref_size 0
		.amdhsa_round_robin_scheduling 0
		.amdhsa_exception_fp_ieee_invalid_op 0
		.amdhsa_exception_fp_denorm_src 0
		.amdhsa_exception_fp_ieee_div_zero 0
		.amdhsa_exception_fp_ieee_overflow 0
		.amdhsa_exception_fp_ieee_underflow 0
		.amdhsa_exception_fp_ieee_inexact 0
		.amdhsa_exception_int_div_zero 0
	.end_amdhsa_kernel
	.section	.text._ZN7rocprim17ROCPRIM_400000_NS6detail17trampoline_kernelINS0_14default_configENS1_32segmented_reduce_config_selectorIN3c104HalfEEEZNS1_21segmented_reduce_implIS3_PKS6_PS6_PKiS6_N6hipcub16HIPCUB_304000_NS6detail27convert_result_type_wrapperISA_SB_N2at6native12_GLOBAL__N_19CustomSumEEEEE10hipError_tPvRmT0_T1_jT2_SS_T4_T3_P12ihipStream_tbEUlT_E_NS1_11comp_targetILNS1_3genE8ELNS1_11target_archE1030ELNS1_3gpuE2ELNS1_3repE0EEENS1_30default_config_static_selectorELNS0_4arch9wavefront6targetE0EEEvSR_,"axG",@progbits,_ZN7rocprim17ROCPRIM_400000_NS6detail17trampoline_kernelINS0_14default_configENS1_32segmented_reduce_config_selectorIN3c104HalfEEEZNS1_21segmented_reduce_implIS3_PKS6_PS6_PKiS6_N6hipcub16HIPCUB_304000_NS6detail27convert_result_type_wrapperISA_SB_N2at6native12_GLOBAL__N_19CustomSumEEEEE10hipError_tPvRmT0_T1_jT2_SS_T4_T3_P12ihipStream_tbEUlT_E_NS1_11comp_targetILNS1_3genE8ELNS1_11target_archE1030ELNS1_3gpuE2ELNS1_3repE0EEENS1_30default_config_static_selectorELNS0_4arch9wavefront6targetE0EEEvSR_,comdat
.Lfunc_end92:
	.size	_ZN7rocprim17ROCPRIM_400000_NS6detail17trampoline_kernelINS0_14default_configENS1_32segmented_reduce_config_selectorIN3c104HalfEEEZNS1_21segmented_reduce_implIS3_PKS6_PS6_PKiS6_N6hipcub16HIPCUB_304000_NS6detail27convert_result_type_wrapperISA_SB_N2at6native12_GLOBAL__N_19CustomSumEEEEE10hipError_tPvRmT0_T1_jT2_SS_T4_T3_P12ihipStream_tbEUlT_E_NS1_11comp_targetILNS1_3genE8ELNS1_11target_archE1030ELNS1_3gpuE2ELNS1_3repE0EEENS1_30default_config_static_selectorELNS0_4arch9wavefront6targetE0EEEvSR_, .Lfunc_end92-_ZN7rocprim17ROCPRIM_400000_NS6detail17trampoline_kernelINS0_14default_configENS1_32segmented_reduce_config_selectorIN3c104HalfEEEZNS1_21segmented_reduce_implIS3_PKS6_PS6_PKiS6_N6hipcub16HIPCUB_304000_NS6detail27convert_result_type_wrapperISA_SB_N2at6native12_GLOBAL__N_19CustomSumEEEEE10hipError_tPvRmT0_T1_jT2_SS_T4_T3_P12ihipStream_tbEUlT_E_NS1_11comp_targetILNS1_3genE8ELNS1_11target_archE1030ELNS1_3gpuE2ELNS1_3repE0EEENS1_30default_config_static_selectorELNS0_4arch9wavefront6targetE0EEEvSR_
                                        ; -- End function
	.set _ZN7rocprim17ROCPRIM_400000_NS6detail17trampoline_kernelINS0_14default_configENS1_32segmented_reduce_config_selectorIN3c104HalfEEEZNS1_21segmented_reduce_implIS3_PKS6_PS6_PKiS6_N6hipcub16HIPCUB_304000_NS6detail27convert_result_type_wrapperISA_SB_N2at6native12_GLOBAL__N_19CustomSumEEEEE10hipError_tPvRmT0_T1_jT2_SS_T4_T3_P12ihipStream_tbEUlT_E_NS1_11comp_targetILNS1_3genE8ELNS1_11target_archE1030ELNS1_3gpuE2ELNS1_3repE0EEENS1_30default_config_static_selectorELNS0_4arch9wavefront6targetE0EEEvSR_.num_vgpr, 0
	.set _ZN7rocprim17ROCPRIM_400000_NS6detail17trampoline_kernelINS0_14default_configENS1_32segmented_reduce_config_selectorIN3c104HalfEEEZNS1_21segmented_reduce_implIS3_PKS6_PS6_PKiS6_N6hipcub16HIPCUB_304000_NS6detail27convert_result_type_wrapperISA_SB_N2at6native12_GLOBAL__N_19CustomSumEEEEE10hipError_tPvRmT0_T1_jT2_SS_T4_T3_P12ihipStream_tbEUlT_E_NS1_11comp_targetILNS1_3genE8ELNS1_11target_archE1030ELNS1_3gpuE2ELNS1_3repE0EEENS1_30default_config_static_selectorELNS0_4arch9wavefront6targetE0EEEvSR_.num_agpr, 0
	.set _ZN7rocprim17ROCPRIM_400000_NS6detail17trampoline_kernelINS0_14default_configENS1_32segmented_reduce_config_selectorIN3c104HalfEEEZNS1_21segmented_reduce_implIS3_PKS6_PS6_PKiS6_N6hipcub16HIPCUB_304000_NS6detail27convert_result_type_wrapperISA_SB_N2at6native12_GLOBAL__N_19CustomSumEEEEE10hipError_tPvRmT0_T1_jT2_SS_T4_T3_P12ihipStream_tbEUlT_E_NS1_11comp_targetILNS1_3genE8ELNS1_11target_archE1030ELNS1_3gpuE2ELNS1_3repE0EEENS1_30default_config_static_selectorELNS0_4arch9wavefront6targetE0EEEvSR_.numbered_sgpr, 0
	.set _ZN7rocprim17ROCPRIM_400000_NS6detail17trampoline_kernelINS0_14default_configENS1_32segmented_reduce_config_selectorIN3c104HalfEEEZNS1_21segmented_reduce_implIS3_PKS6_PS6_PKiS6_N6hipcub16HIPCUB_304000_NS6detail27convert_result_type_wrapperISA_SB_N2at6native12_GLOBAL__N_19CustomSumEEEEE10hipError_tPvRmT0_T1_jT2_SS_T4_T3_P12ihipStream_tbEUlT_E_NS1_11comp_targetILNS1_3genE8ELNS1_11target_archE1030ELNS1_3gpuE2ELNS1_3repE0EEENS1_30default_config_static_selectorELNS0_4arch9wavefront6targetE0EEEvSR_.num_named_barrier, 0
	.set _ZN7rocprim17ROCPRIM_400000_NS6detail17trampoline_kernelINS0_14default_configENS1_32segmented_reduce_config_selectorIN3c104HalfEEEZNS1_21segmented_reduce_implIS3_PKS6_PS6_PKiS6_N6hipcub16HIPCUB_304000_NS6detail27convert_result_type_wrapperISA_SB_N2at6native12_GLOBAL__N_19CustomSumEEEEE10hipError_tPvRmT0_T1_jT2_SS_T4_T3_P12ihipStream_tbEUlT_E_NS1_11comp_targetILNS1_3genE8ELNS1_11target_archE1030ELNS1_3gpuE2ELNS1_3repE0EEENS1_30default_config_static_selectorELNS0_4arch9wavefront6targetE0EEEvSR_.private_seg_size, 0
	.set _ZN7rocprim17ROCPRIM_400000_NS6detail17trampoline_kernelINS0_14default_configENS1_32segmented_reduce_config_selectorIN3c104HalfEEEZNS1_21segmented_reduce_implIS3_PKS6_PS6_PKiS6_N6hipcub16HIPCUB_304000_NS6detail27convert_result_type_wrapperISA_SB_N2at6native12_GLOBAL__N_19CustomSumEEEEE10hipError_tPvRmT0_T1_jT2_SS_T4_T3_P12ihipStream_tbEUlT_E_NS1_11comp_targetILNS1_3genE8ELNS1_11target_archE1030ELNS1_3gpuE2ELNS1_3repE0EEENS1_30default_config_static_selectorELNS0_4arch9wavefront6targetE0EEEvSR_.uses_vcc, 0
	.set _ZN7rocprim17ROCPRIM_400000_NS6detail17trampoline_kernelINS0_14default_configENS1_32segmented_reduce_config_selectorIN3c104HalfEEEZNS1_21segmented_reduce_implIS3_PKS6_PS6_PKiS6_N6hipcub16HIPCUB_304000_NS6detail27convert_result_type_wrapperISA_SB_N2at6native12_GLOBAL__N_19CustomSumEEEEE10hipError_tPvRmT0_T1_jT2_SS_T4_T3_P12ihipStream_tbEUlT_E_NS1_11comp_targetILNS1_3genE8ELNS1_11target_archE1030ELNS1_3gpuE2ELNS1_3repE0EEENS1_30default_config_static_selectorELNS0_4arch9wavefront6targetE0EEEvSR_.uses_flat_scratch, 0
	.set _ZN7rocprim17ROCPRIM_400000_NS6detail17trampoline_kernelINS0_14default_configENS1_32segmented_reduce_config_selectorIN3c104HalfEEEZNS1_21segmented_reduce_implIS3_PKS6_PS6_PKiS6_N6hipcub16HIPCUB_304000_NS6detail27convert_result_type_wrapperISA_SB_N2at6native12_GLOBAL__N_19CustomSumEEEEE10hipError_tPvRmT0_T1_jT2_SS_T4_T3_P12ihipStream_tbEUlT_E_NS1_11comp_targetILNS1_3genE8ELNS1_11target_archE1030ELNS1_3gpuE2ELNS1_3repE0EEENS1_30default_config_static_selectorELNS0_4arch9wavefront6targetE0EEEvSR_.has_dyn_sized_stack, 0
	.set _ZN7rocprim17ROCPRIM_400000_NS6detail17trampoline_kernelINS0_14default_configENS1_32segmented_reduce_config_selectorIN3c104HalfEEEZNS1_21segmented_reduce_implIS3_PKS6_PS6_PKiS6_N6hipcub16HIPCUB_304000_NS6detail27convert_result_type_wrapperISA_SB_N2at6native12_GLOBAL__N_19CustomSumEEEEE10hipError_tPvRmT0_T1_jT2_SS_T4_T3_P12ihipStream_tbEUlT_E_NS1_11comp_targetILNS1_3genE8ELNS1_11target_archE1030ELNS1_3gpuE2ELNS1_3repE0EEENS1_30default_config_static_selectorELNS0_4arch9wavefront6targetE0EEEvSR_.has_recursion, 0
	.set _ZN7rocprim17ROCPRIM_400000_NS6detail17trampoline_kernelINS0_14default_configENS1_32segmented_reduce_config_selectorIN3c104HalfEEEZNS1_21segmented_reduce_implIS3_PKS6_PS6_PKiS6_N6hipcub16HIPCUB_304000_NS6detail27convert_result_type_wrapperISA_SB_N2at6native12_GLOBAL__N_19CustomSumEEEEE10hipError_tPvRmT0_T1_jT2_SS_T4_T3_P12ihipStream_tbEUlT_E_NS1_11comp_targetILNS1_3genE8ELNS1_11target_archE1030ELNS1_3gpuE2ELNS1_3repE0EEENS1_30default_config_static_selectorELNS0_4arch9wavefront6targetE0EEEvSR_.has_indirect_call, 0
	.section	.AMDGPU.csdata,"",@progbits
; Kernel info:
; codeLenInByte = 0
; TotalNumSgprs: 0
; NumVgprs: 0
; ScratchSize: 0
; MemoryBound: 0
; FloatMode: 240
; IeeeMode: 1
; LDSByteSize: 0 bytes/workgroup (compile time only)
; SGPRBlocks: 0
; VGPRBlocks: 0
; NumSGPRsForWavesPerEU: 1
; NumVGPRsForWavesPerEU: 1
; NamedBarCnt: 0
; Occupancy: 16
; WaveLimiterHint : 0
; COMPUTE_PGM_RSRC2:SCRATCH_EN: 0
; COMPUTE_PGM_RSRC2:USER_SGPR: 2
; COMPUTE_PGM_RSRC2:TRAP_HANDLER: 0
; COMPUTE_PGM_RSRC2:TGID_X_EN: 1
; COMPUTE_PGM_RSRC2:TGID_Y_EN: 0
; COMPUTE_PGM_RSRC2:TGID_Z_EN: 0
; COMPUTE_PGM_RSRC2:TIDIG_COMP_CNT: 0
	.section	.text._ZN2at6native12_GLOBAL__N_119post_sum_div_kernelIN3c104HalfEiEEvPT_PKT0_lbS5_,"axG",@progbits,_ZN2at6native12_GLOBAL__N_119post_sum_div_kernelIN3c104HalfEiEEvPT_PKT0_lbS5_,comdat
	.globl	_ZN2at6native12_GLOBAL__N_119post_sum_div_kernelIN3c104HalfEiEEvPT_PKT0_lbS5_ ; -- Begin function _ZN2at6native12_GLOBAL__N_119post_sum_div_kernelIN3c104HalfEiEEvPT_PKT0_lbS5_
	.p2align	8
	.type	_ZN2at6native12_GLOBAL__N_119post_sum_div_kernelIN3c104HalfEiEEvPT_PKT0_lbS5_,@function
_ZN2at6native12_GLOBAL__N_119post_sum_div_kernelIN3c104HalfEiEEvPT_PKT0_lbS5_: ; @_ZN2at6native12_GLOBAL__N_119post_sum_div_kernelIN3c104HalfEiEEvPT_PKT0_lbS5_
; %bb.0:
	s_clause 0x1
	s_load_b32 s4, s[0:1], 0x2c
	s_load_b64 s[2:3], s[0:1], 0x10
	s_bfe_u32 s5, ttmp6, 0x4000c
	s_and_b32 s6, ttmp6, 15
	s_add_co_i32 s5, s5, 1
	s_getreg_b32 s7, hwreg(HW_REG_IB_STS2, 6, 4)
	s_mul_i32 s5, ttmp9, s5
	v_mov_b32_e32 v1, 0
	s_add_co_i32 s6, s6, s5
	s_mov_b32 s9, 0
	s_wait_kmcnt 0x0
	s_and_b32 s8, s4, 0xffff
	s_cmp_eq_u32 s7, 0
	s_cselect_b32 s4, ttmp9, s6
	s_delay_alu instid0(SALU_CYCLE_1) | instskip(SKIP_1) | instid1(VALU_DEP_1)
	v_mad_nc_u64_u32 v[2:3], s8, s4, v[0:1]
	s_mov_b32 s4, exec_lo
	v_cmpx_gt_i64_e64 s[2:3], v[2:3]
	s_cbranch_execz .LBB93_15
; %bb.1:
	s_load_b32 s12, s[0:1], 0x18
	s_add_nc_u64 s[10:11], s[0:1], 32
	s_load_b32 s13, s[10:11], 0x0
	s_load_b128 s[4:7], s[0:1], 0x0
	v_dual_mov_b32 v0, v1 :: v_dual_mov_b32 v1, v2
	v_mov_b32_e32 v6, 0x7e00
	s_wait_xcnt 0x0
	s_mov_b32 s0, s9
                                        ; implicit-def: $sgpr15
                                        ; implicit-def: $sgpr14
	s_wait_kmcnt 0x0
	s_bitcmp1_b32 s12, 0
	s_mul_i32 s8, s13, s8
	s_cselect_b32 s1, -1, 0
	s_lshr_b32 s10, s12, 16
	s_xor_b32 s11, s1, -1
	s_mov_b32 s1, s8
	s_mov_b32 s12, s9
                                        ; implicit-def: $sgpr13
.LBB93_2:                               ; =>This Inner Loop Header: Depth=1
	v_ashrrev_i64 v[4:5], 30, v[0:1]
	s_or_b32 s14, s14, exec_lo
	s_or_b32 s15, s15, exec_lo
	s_mov_b32 s16, exec_lo
	s_delay_alu instid0(VALU_DEP_1)
	v_add_nc_u64_e32 v[4:5], s[6:7], v[4:5]
	global_load_b32 v7, v[4:5], off
	s_wait_loadcnt 0x0
	s_wait_xcnt 0x0
	v_cmpx_lt_i32_e32 -1, v7
	s_cbranch_execz .LBB93_13
; %bb.3:                                ;   in Loop: Header=BB93_2 Depth=1
	v_dual_mov_b32 v4, v1 :: v_dual_ashrrev_i32 v5, 31, v1
	s_mov_b32 s17, exec_lo
	s_delay_alu instid0(VALU_DEP_1)
	v_lshl_add_u64 v[4:5], v[4:5], 1, s[4:5]
	v_cmpx_ne_u32_e32 0, v7
	s_xor_b32 s17, exec_lo, s17
	s_cbranch_execz .LBB93_7
; %bb.4:                                ;   in Loop: Header=BB93_2 Depth=1
	global_load_u16 v8, v[4:5], off
	s_mov_b32 s18, exec_lo
	s_wait_loadcnt 0x0
	s_wait_xcnt 0x0
	v_cmpx_o_f16_e32 v8, v8
	s_cbranch_execz .LBB93_6
; %bb.5:                                ;   in Loop: Header=BB93_2 Depth=1
	v_cvt_f32_u32_e32 v7, v7
	v_cvt_f32_f16_e32 v10, v8
	s_delay_alu instid0(VALU_DEP_2) | instskip(NEXT) | instid1(VALU_DEP_1)
	v_cvt_f16_f32_e32 v7, v7
	v_cvt_f32_f16_e32 v9, v7
	s_delay_alu instid0(VALU_DEP_1) | instskip(SKIP_1) | instid1(TRANS32_DEP_1)
	v_rcp_f32_e32 v9, v9
	v_nop
	v_mul_f32_e32 v10, v10, v9
	s_delay_alu instid0(VALU_DEP_1) | instskip(NEXT) | instid1(VALU_DEP_1)
	v_fma_mix_f32 v11, -v7, v10, v8 op_sel_hi:[1,0,1]
	v_fmac_f32_e32 v10, v11, v9
	s_delay_alu instid0(VALU_DEP_1) | instskip(NEXT) | instid1(VALU_DEP_1)
	v_fma_mix_f32 v11, -v7, v10, v8 op_sel_hi:[1,0,1]
	v_mul_f32_e32 v9, v11, v9
	s_delay_alu instid0(VALU_DEP_1) | instskip(NEXT) | instid1(VALU_DEP_1)
	v_and_b32_e32 v9, 0xff800000, v9
	v_add_f32_e32 v9, v9, v10
	s_delay_alu instid0(VALU_DEP_1) | instskip(NEXT) | instid1(VALU_DEP_1)
	v_cvt_f16_f32_e32 v9, v9
	v_div_fixup_f16 v7, v9, v7, v8
	global_store_b16 v[4:5], v7, off
.LBB93_6:                               ;   in Loop: Header=BB93_2 Depth=1
	s_wait_xcnt 0x0
	s_or_b32 exec_lo, exec_lo, s18
                                        ; implicit-def: $vgpr4_vgpr5
.LBB93_7:                               ;   in Loop: Header=BB93_2 Depth=1
	s_and_not1_saveexec_b32 s17, s17
	s_cbranch_execz .LBB93_12
; %bb.8:                                ;   in Loop: Header=BB93_2 Depth=1
	s_and_b32 vcc_lo, exec_lo, s11
	s_mov_b32 s18, -1
	s_cbranch_vccz .LBB93_10
; %bb.9:                                ;   in Loop: Header=BB93_2 Depth=1
	s_mov_b32 s18, 0
	global_store_b16 v[4:5], v6, off
.LBB93_10:                              ;   in Loop: Header=BB93_2 Depth=1
	s_and_not1_b32 vcc_lo, exec_lo, s18
	s_cbranch_vccnz .LBB93_12
; %bb.11:                               ;   in Loop: Header=BB93_2 Depth=1
	v_mov_b32_e32 v7, s10
	global_store_b16 v[4:5], v7, off
.LBB93_12:                              ;   in Loop: Header=BB93_2 Depth=1
	s_wait_xcnt 0x0
	s_or_b32 exec_lo, exec_lo, s17
	v_add_nc_u64_e32 v[2:3], s[8:9], v[2:3]
	v_add_nc_u64_e32 v[0:1], s[0:1], v[0:1]
	s_and_not1_b32 s15, s15, exec_lo
	s_and_not1_b32 s14, s14, exec_lo
	s_delay_alu instid0(VALU_DEP_2) | instskip(SKIP_1) | instid1(SALU_CYCLE_1)
	v_cmp_le_i64_e32 vcc_lo, s[2:3], v[2:3]
	s_and_b32 s17, vcc_lo, exec_lo
	s_or_b32 s15, s15, s17
.LBB93_13:                              ;   in Loop: Header=BB93_2 Depth=1
	s_or_b32 exec_lo, exec_lo, s16
	s_delay_alu instid0(SALU_CYCLE_1) | instskip(NEXT) | instid1(SALU_CYCLE_1)
	s_and_b32 s16, exec_lo, s15
	s_or_b32 s12, s16, s12
	s_and_not1_b32 s13, s13, exec_lo
	s_and_b32 s16, s14, exec_lo
	s_delay_alu instid0(SALU_CYCLE_1)
	s_or_b32 s13, s13, s16
	s_and_not1_b32 exec_lo, exec_lo, s12
	s_cbranch_execnz .LBB93_2
; %bb.14:
	s_or_b32 exec_lo, exec_lo, s12
	s_and_saveexec_b32 s0, s13
	s_delay_alu instid0(SALU_CYCLE_1)
	s_xor_b32 s0, exec_lo, s0
	s_cbranch_execnz .LBB93_16
.LBB93_15:
	s_endpgm
.LBB93_16:
	s_trap 2
	; divergent unreachable
	s_endpgm
	.section	.rodata,"a",@progbits
	.p2align	6, 0x0
	.amdhsa_kernel _ZN2at6native12_GLOBAL__N_119post_sum_div_kernelIN3c104HalfEiEEvPT_PKT0_lbS5_
		.amdhsa_group_segment_fixed_size 0
		.amdhsa_private_segment_fixed_size 0
		.amdhsa_kernarg_size 288
		.amdhsa_user_sgpr_count 2
		.amdhsa_user_sgpr_dispatch_ptr 0
		.amdhsa_user_sgpr_queue_ptr 0
		.amdhsa_user_sgpr_kernarg_segment_ptr 1
		.amdhsa_user_sgpr_dispatch_id 0
		.amdhsa_user_sgpr_kernarg_preload_length 0
		.amdhsa_user_sgpr_kernarg_preload_offset 0
		.amdhsa_user_sgpr_private_segment_size 0
		.amdhsa_wavefront_size32 1
		.amdhsa_uses_dynamic_stack 0
		.amdhsa_enable_private_segment 0
		.amdhsa_system_sgpr_workgroup_id_x 1
		.amdhsa_system_sgpr_workgroup_id_y 0
		.amdhsa_system_sgpr_workgroup_id_z 0
		.amdhsa_system_sgpr_workgroup_info 0
		.amdhsa_system_vgpr_workitem_id 0
		.amdhsa_next_free_vgpr 12
		.amdhsa_next_free_sgpr 19
		.amdhsa_named_barrier_count 0
		.amdhsa_reserve_vcc 1
		.amdhsa_float_round_mode_32 0
		.amdhsa_float_round_mode_16_64 0
		.amdhsa_float_denorm_mode_32 3
		.amdhsa_float_denorm_mode_16_64 3
		.amdhsa_fp16_overflow 0
		.amdhsa_memory_ordered 1
		.amdhsa_forward_progress 1
		.amdhsa_inst_pref_size 5
		.amdhsa_round_robin_scheduling 0
		.amdhsa_exception_fp_ieee_invalid_op 0
		.amdhsa_exception_fp_denorm_src 0
		.amdhsa_exception_fp_ieee_div_zero 0
		.amdhsa_exception_fp_ieee_overflow 0
		.amdhsa_exception_fp_ieee_underflow 0
		.amdhsa_exception_fp_ieee_inexact 0
		.amdhsa_exception_int_div_zero 0
	.end_amdhsa_kernel
	.section	.text._ZN2at6native12_GLOBAL__N_119post_sum_div_kernelIN3c104HalfEiEEvPT_PKT0_lbS5_,"axG",@progbits,_ZN2at6native12_GLOBAL__N_119post_sum_div_kernelIN3c104HalfEiEEvPT_PKT0_lbS5_,comdat
.Lfunc_end93:
	.size	_ZN2at6native12_GLOBAL__N_119post_sum_div_kernelIN3c104HalfEiEEvPT_PKT0_lbS5_, .Lfunc_end93-_ZN2at6native12_GLOBAL__N_119post_sum_div_kernelIN3c104HalfEiEEvPT_PKT0_lbS5_
                                        ; -- End function
	.set _ZN2at6native12_GLOBAL__N_119post_sum_div_kernelIN3c104HalfEiEEvPT_PKT0_lbS5_.num_vgpr, 12
	.set _ZN2at6native12_GLOBAL__N_119post_sum_div_kernelIN3c104HalfEiEEvPT_PKT0_lbS5_.num_agpr, 0
	.set _ZN2at6native12_GLOBAL__N_119post_sum_div_kernelIN3c104HalfEiEEvPT_PKT0_lbS5_.numbered_sgpr, 19
	.set _ZN2at6native12_GLOBAL__N_119post_sum_div_kernelIN3c104HalfEiEEvPT_PKT0_lbS5_.num_named_barrier, 0
	.set _ZN2at6native12_GLOBAL__N_119post_sum_div_kernelIN3c104HalfEiEEvPT_PKT0_lbS5_.private_seg_size, 0
	.set _ZN2at6native12_GLOBAL__N_119post_sum_div_kernelIN3c104HalfEiEEvPT_PKT0_lbS5_.uses_vcc, 1
	.set _ZN2at6native12_GLOBAL__N_119post_sum_div_kernelIN3c104HalfEiEEvPT_PKT0_lbS5_.uses_flat_scratch, 0
	.set _ZN2at6native12_GLOBAL__N_119post_sum_div_kernelIN3c104HalfEiEEvPT_PKT0_lbS5_.has_dyn_sized_stack, 0
	.set _ZN2at6native12_GLOBAL__N_119post_sum_div_kernelIN3c104HalfEiEEvPT_PKT0_lbS5_.has_recursion, 0
	.set _ZN2at6native12_GLOBAL__N_119post_sum_div_kernelIN3c104HalfEiEEvPT_PKT0_lbS5_.has_indirect_call, 0
	.section	.AMDGPU.csdata,"",@progbits
; Kernel info:
; codeLenInByte = 604
; TotalNumSgprs: 21
; NumVgprs: 12
; ScratchSize: 0
; MemoryBound: 0
; FloatMode: 240
; IeeeMode: 1
; LDSByteSize: 0 bytes/workgroup (compile time only)
; SGPRBlocks: 0
; VGPRBlocks: 0
; NumSGPRsForWavesPerEU: 21
; NumVGPRsForWavesPerEU: 12
; NamedBarCnt: 0
; Occupancy: 16
; WaveLimiterHint : 0
; COMPUTE_PGM_RSRC2:SCRATCH_EN: 0
; COMPUTE_PGM_RSRC2:USER_SGPR: 2
; COMPUTE_PGM_RSRC2:TRAP_HANDLER: 0
; COMPUTE_PGM_RSRC2:TGID_X_EN: 1
; COMPUTE_PGM_RSRC2:TGID_Y_EN: 0
; COMPUTE_PGM_RSRC2:TGID_Z_EN: 0
; COMPUTE_PGM_RSRC2:TIDIG_COMP_CNT: 0
	.section	.text._ZN7rocprim17ROCPRIM_400000_NS6detail17trampoline_kernelINS0_14default_configENS1_32segmented_reduce_config_selectorIN3c104HalfEEEZNS1_21segmented_reduce_implIS3_PKS6_PS6_PKiS6_N6hipcub16HIPCUB_304000_NS6detail27convert_result_type_wrapperISA_SB_N2at6native12_GLOBAL__N_19CustomMinEEEEE10hipError_tPvRmT0_T1_jT2_SS_T4_T3_P12ihipStream_tbEUlT_E_NS1_11comp_targetILNS1_3genE0ELNS1_11target_archE4294967295ELNS1_3gpuE0ELNS1_3repE0EEENS1_30default_config_static_selectorELNS0_4arch9wavefront6targetE0EEEvSR_,"axG",@progbits,_ZN7rocprim17ROCPRIM_400000_NS6detail17trampoline_kernelINS0_14default_configENS1_32segmented_reduce_config_selectorIN3c104HalfEEEZNS1_21segmented_reduce_implIS3_PKS6_PS6_PKiS6_N6hipcub16HIPCUB_304000_NS6detail27convert_result_type_wrapperISA_SB_N2at6native12_GLOBAL__N_19CustomMinEEEEE10hipError_tPvRmT0_T1_jT2_SS_T4_T3_P12ihipStream_tbEUlT_E_NS1_11comp_targetILNS1_3genE0ELNS1_11target_archE4294967295ELNS1_3gpuE0ELNS1_3repE0EEENS1_30default_config_static_selectorELNS0_4arch9wavefront6targetE0EEEvSR_,comdat
	.globl	_ZN7rocprim17ROCPRIM_400000_NS6detail17trampoline_kernelINS0_14default_configENS1_32segmented_reduce_config_selectorIN3c104HalfEEEZNS1_21segmented_reduce_implIS3_PKS6_PS6_PKiS6_N6hipcub16HIPCUB_304000_NS6detail27convert_result_type_wrapperISA_SB_N2at6native12_GLOBAL__N_19CustomMinEEEEE10hipError_tPvRmT0_T1_jT2_SS_T4_T3_P12ihipStream_tbEUlT_E_NS1_11comp_targetILNS1_3genE0ELNS1_11target_archE4294967295ELNS1_3gpuE0ELNS1_3repE0EEENS1_30default_config_static_selectorELNS0_4arch9wavefront6targetE0EEEvSR_ ; -- Begin function _ZN7rocprim17ROCPRIM_400000_NS6detail17trampoline_kernelINS0_14default_configENS1_32segmented_reduce_config_selectorIN3c104HalfEEEZNS1_21segmented_reduce_implIS3_PKS6_PS6_PKiS6_N6hipcub16HIPCUB_304000_NS6detail27convert_result_type_wrapperISA_SB_N2at6native12_GLOBAL__N_19CustomMinEEEEE10hipError_tPvRmT0_T1_jT2_SS_T4_T3_P12ihipStream_tbEUlT_E_NS1_11comp_targetILNS1_3genE0ELNS1_11target_archE4294967295ELNS1_3gpuE0ELNS1_3repE0EEENS1_30default_config_static_selectorELNS0_4arch9wavefront6targetE0EEEvSR_
	.p2align	8
	.type	_ZN7rocprim17ROCPRIM_400000_NS6detail17trampoline_kernelINS0_14default_configENS1_32segmented_reduce_config_selectorIN3c104HalfEEEZNS1_21segmented_reduce_implIS3_PKS6_PS6_PKiS6_N6hipcub16HIPCUB_304000_NS6detail27convert_result_type_wrapperISA_SB_N2at6native12_GLOBAL__N_19CustomMinEEEEE10hipError_tPvRmT0_T1_jT2_SS_T4_T3_P12ihipStream_tbEUlT_E_NS1_11comp_targetILNS1_3genE0ELNS1_11target_archE4294967295ELNS1_3gpuE0ELNS1_3repE0EEENS1_30default_config_static_selectorELNS0_4arch9wavefront6targetE0EEEvSR_,@function
_ZN7rocprim17ROCPRIM_400000_NS6detail17trampoline_kernelINS0_14default_configENS1_32segmented_reduce_config_selectorIN3c104HalfEEEZNS1_21segmented_reduce_implIS3_PKS6_PS6_PKiS6_N6hipcub16HIPCUB_304000_NS6detail27convert_result_type_wrapperISA_SB_N2at6native12_GLOBAL__N_19CustomMinEEEEE10hipError_tPvRmT0_T1_jT2_SS_T4_T3_P12ihipStream_tbEUlT_E_NS1_11comp_targetILNS1_3genE0ELNS1_11target_archE4294967295ELNS1_3gpuE0ELNS1_3repE0EEENS1_30default_config_static_selectorELNS0_4arch9wavefront6targetE0EEEvSR_: ; @_ZN7rocprim17ROCPRIM_400000_NS6detail17trampoline_kernelINS0_14default_configENS1_32segmented_reduce_config_selectorIN3c104HalfEEEZNS1_21segmented_reduce_implIS3_PKS6_PS6_PKiS6_N6hipcub16HIPCUB_304000_NS6detail27convert_result_type_wrapperISA_SB_N2at6native12_GLOBAL__N_19CustomMinEEEEE10hipError_tPvRmT0_T1_jT2_SS_T4_T3_P12ihipStream_tbEUlT_E_NS1_11comp_targetILNS1_3genE0ELNS1_11target_archE4294967295ELNS1_3gpuE0ELNS1_3repE0EEENS1_30default_config_static_selectorELNS0_4arch9wavefront6targetE0EEEvSR_
; %bb.0:
	v_mov_b32_e32 v1, 0
	s_clause 0x1
	s_load_b256 s[16:23], s[0:1], 0x0
	s_load_b64 s[2:3], s[0:1], 0x20
	s_bfe_u32 s4, ttmp6, 0x4000c
	s_and_b32 s5, ttmp6, 15
	s_add_co_i32 s4, s4, 1
	global_load_u16 v1, v1, s[0:1] offset:42
	s_mul_i32 s4, ttmp9, s4
	s_getreg_b32 s6, hwreg(HW_REG_IB_STS2, 6, 4)
	s_add_co_i32 s7, s5, s4
	s_mov_b32 s15, 0
	v_cmp_eq_u32_e32 vcc_lo, 0, v0
	s_wait_kmcnt 0x0
	s_lshl_b64 s[0:1], s[20:21], 2
	s_cmp_eq_u32 s6, 0
	s_add_nc_u64 s[4:5], s[22:23], s[0:1]
	s_cselect_b32 s22, ttmp9, s7
	s_add_nc_u64 s[0:1], s[2:3], s[0:1]
	s_load_b32 s24, s[4:5], s22 offset:0x0 scale_offset
	s_load_b32 s28, s[0:1], s22 offset:0x0 scale_offset
	s_mov_b32 s23, 0
	s_wait_xcnt 0x0
	s_mov_b32 s0, -1
	s_wait_kmcnt 0x0
	s_cmp_gt_i32 s28, s24
	s_cbranch_scc0 .LBB94_4
; %bb.1:
	s_and_not1_b32 vcc_lo, exec_lo, s0
	s_cbranch_vccz .LBB94_5
.LBB94_2:
	s_and_saveexec_b32 s0, s15
	s_cbranch_execnz .LBB94_408
.LBB94_3:
	s_endpgm
.LBB94_4:
	s_and_b32 s15, vcc_lo, exec_lo
	s_cbranch_execnz .LBB94_2
.LBB94_5:
	s_add_co_i32 s0, s24, 0x1000
	s_delay_alu instid0(SALU_CYCLE_1)
	s_cmp_le_i32 s0, s28
	s_cbranch_scc0 .LBB94_133
; %bb.6:
	s_ashr_i32 s25, s24, 31
	s_mov_b32 s1, exec_lo
	s_lshl_b64 s[2:3], s[24:25], 1
	s_delay_alu instid0(SALU_CYCLE_1)
	s_add_nc_u64 s[2:3], s[16:17], s[2:3]
	s_clause 0xf
	global_load_u16 v20, v0, s[2:3] scale_offset
	global_load_u16 v19, v0, s[2:3] offset:512 scale_offset
	global_load_u16 v18, v0, s[2:3] offset:1024 scale_offset
	;; [unrolled: 1-line block ×15, first 2 shown]
	s_wait_loadcnt 0xf
	v_mov_b32_e32 v12, v20
	s_wait_xcnt 0x0
	v_cmpx_o_f16_e32 v20, v20
	s_cbranch_execz .LBB94_10
; %bb.7:
	s_wait_loadcnt 0xe
	v_mov_b32_e32 v12, v19
	s_mov_b32 s2, exec_lo
	v_cmpx_o_f16_e32 v19, v19
; %bb.8:
	v_cmp_lt_f16_e32 vcc_lo, v19, v20
	v_cndmask_b32_e32 v12, v20, v19, vcc_lo
; %bb.9:
	s_or_b32 exec_lo, exec_lo, s2
.LBB94_10:
	s_delay_alu instid0(SALU_CYCLE_1) | instskip(NEXT) | instid1(SALU_CYCLE_1)
	s_or_b32 exec_lo, exec_lo, s1
	s_mov_b32 s1, exec_lo
	s_delay_alu instid0(VALU_DEP_1)
	v_cmpx_o_f16_e32 v12, v12
	s_cbranch_execz .LBB94_14
; %bb.11:
	s_wait_loadcnt 0xd
	v_mov_b32_e32 v2, v18
	s_mov_b32 s2, exec_lo
	v_cmpx_o_f16_e32 v18, v18
; %bb.12:
	v_cmp_gt_f16_e32 vcc_lo, v12, v18
	v_cndmask_b32_e32 v2, v12, v18, vcc_lo
; %bb.13:
	s_or_b32 exec_lo, exec_lo, s2
	s_delay_alu instid0(VALU_DEP_1)
	v_mov_b32_e32 v12, v2
.LBB94_14:
	s_or_b32 exec_lo, exec_lo, s1
	s_delay_alu instid0(SALU_CYCLE_1) | instskip(NEXT) | instid1(VALU_DEP_1)
	s_mov_b32 s1, exec_lo
	v_cmpx_o_f16_e32 v12, v12
	s_cbranch_execz .LBB94_18
; %bb.15:
	s_wait_loadcnt 0xc
	v_mov_b32_e32 v2, v17
	s_mov_b32 s2, exec_lo
	v_cmpx_o_f16_e32 v17, v17
; %bb.16:
	v_cmp_gt_f16_e32 vcc_lo, v12, v17
	v_cndmask_b32_e32 v2, v12, v17, vcc_lo
; %bb.17:
	s_or_b32 exec_lo, exec_lo, s2
	s_delay_alu instid0(VALU_DEP_1)
	v_mov_b32_e32 v12, v2
.LBB94_18:
	s_or_b32 exec_lo, exec_lo, s1
	s_delay_alu instid0(SALU_CYCLE_1) | instskip(NEXT) | instid1(VALU_DEP_1)
	s_mov_b32 s1, exec_lo
	;; [unrolled: 18-line block ×13, first 2 shown]
	v_cmpx_o_f16_e32 v12, v12
	s_cbranch_execz .LBB94_66
; %bb.63:
	s_wait_loadcnt 0x0
	v_mov_b32_e32 v2, v4
	s_mov_b32 s2, exec_lo
	v_cmpx_o_f16_e32 v4, v4
; %bb.64:
	v_cmp_gt_f16_e32 vcc_lo, v12, v4
	v_cndmask_b32_e32 v2, v12, v4, vcc_lo
; %bb.65:
	s_or_b32 exec_lo, exec_lo, s2
	s_delay_alu instid0(VALU_DEP_1)
	v_mov_b32_e32 v12, v2
.LBB94_66:
	s_or_b32 exec_lo, exec_lo, s1
	s_add_co_i32 s1, s24, 0x2000
	s_delay_alu instid0(SALU_CYCLE_1)
	s_cmp_ge_i32 s1, s28
	s_cbranch_scc1 .LBB94_134
; %bb.67:
	v_dual_mov_b32 v3, 0 :: v_dual_lshlrev_b32 v2, 1, v0
	s_delay_alu instid0(VALU_DEP_1)
	v_add_nc_u64_e32 v[2:3], s[16:17], v[2:3]
	s_branch .LBB94_70
.LBB94_68:                              ;   in Loop: Header=BB94_70 Depth=1
	s_or_b32 exec_lo, exec_lo, s2
	s_delay_alu instid0(VALU_DEP_1)
	v_mov_b32_e32 v12, v22
.LBB94_69:                              ;   in Loop: Header=BB94_70 Depth=1
	s_or_b32 exec_lo, exec_lo, s1
	s_add_co_i32 s1, s0, 0x2000
	s_addk_co_i32 s0, 0x1000
	s_cmp_lt_i32 s1, s28
	s_cbranch_scc0 .LBB94_134
.LBB94_70:                              ; =>This Inner Loop Header: Depth=1
	s_ashr_i32 s1, s0, 31
	v_mov_b32_e32 v21, v12
	s_delay_alu instid0(VALU_DEP_2)
	v_lshl_add_u64 v[22:23], s[0:1], 1, v[2:3]
	s_mov_b32 s1, exec_lo
	s_wait_loadcnt 0xf
	global_load_u16 v20, v[22:23], off
	s_wait_loadcnt 0xf
	global_load_u16 v19, v[22:23], off offset:512
	s_wait_loadcnt 0xf
	global_load_u16 v18, v[22:23], off offset:1024
	;; [unrolled: 2-line block ×15, first 2 shown]
	s_wait_xcnt 0x0
	v_cmpx_o_f16_e32 v12, v12
	s_cbranch_execz .LBB94_74
; %bb.71:                               ;   in Loop: Header=BB94_70 Depth=1
	s_wait_loadcnt 0xf
	v_mov_b32_e32 v21, v20
	s_mov_b32 s2, exec_lo
	v_cmpx_o_f16_e32 v20, v20
; %bb.72:                               ;   in Loop: Header=BB94_70 Depth=1
	v_cmp_lt_f16_e32 vcc_lo, v20, v12
	v_cndmask_b32_e32 v21, v12, v20, vcc_lo
; %bb.73:                               ;   in Loop: Header=BB94_70 Depth=1
	s_or_b32 exec_lo, exec_lo, s2
	s_delay_alu instid0(VALU_DEP_1)
	v_mov_b32_e32 v12, v21
.LBB94_74:                              ;   in Loop: Header=BB94_70 Depth=1
	s_or_b32 exec_lo, exec_lo, s1
	s_delay_alu instid0(SALU_CYCLE_1)
	s_mov_b32 s1, exec_lo
	v_cmpx_o_f16_e32 v21, v21
	s_cbranch_execz .LBB94_78
; %bb.75:                               ;   in Loop: Header=BB94_70 Depth=1
	s_wait_loadcnt 0xe
	v_mov_b32_e32 v22, v19
	s_mov_b32 s2, exec_lo
	v_cmpx_o_f16_e32 v19, v19
; %bb.76:                               ;   in Loop: Header=BB94_70 Depth=1
	v_cmp_gt_f16_e32 vcc_lo, v21, v19
	v_cndmask_b32_e32 v22, v12, v19, vcc_lo
; %bb.77:                               ;   in Loop: Header=BB94_70 Depth=1
	s_or_b32 exec_lo, exec_lo, s2
	s_delay_alu instid0(VALU_DEP_1)
	v_dual_mov_b32 v21, v22 :: v_dual_mov_b32 v12, v22
.LBB94_78:                              ;   in Loop: Header=BB94_70 Depth=1
	s_or_b32 exec_lo, exec_lo, s1
	s_delay_alu instid0(SALU_CYCLE_1) | instskip(NEXT) | instid1(VALU_DEP_1)
	s_mov_b32 s1, exec_lo
	v_cmpx_o_f16_e32 v21, v21
	s_cbranch_execz .LBB94_82
; %bb.79:                               ;   in Loop: Header=BB94_70 Depth=1
	s_wait_loadcnt 0xd
	v_mov_b32_e32 v22, v18
	s_mov_b32 s2, exec_lo
	v_cmpx_o_f16_e32 v18, v18
; %bb.80:                               ;   in Loop: Header=BB94_70 Depth=1
	v_cmp_gt_f16_e32 vcc_lo, v21, v18
	v_cndmask_b32_e32 v22, v12, v18, vcc_lo
; %bb.81:                               ;   in Loop: Header=BB94_70 Depth=1
	s_or_b32 exec_lo, exec_lo, s2
	s_delay_alu instid0(VALU_DEP_1)
	v_dual_mov_b32 v21, v22 :: v_dual_mov_b32 v12, v22
.LBB94_82:                              ;   in Loop: Header=BB94_70 Depth=1
	s_or_b32 exec_lo, exec_lo, s1
	s_delay_alu instid0(SALU_CYCLE_1) | instskip(NEXT) | instid1(VALU_DEP_1)
	;; [unrolled: 18-line block ×6, first 2 shown]
	s_mov_b32 s1, exec_lo
	v_cmpx_o_f16_e32 v21, v21
	s_cbranch_execz .LBB94_102
; %bb.99:                               ;   in Loop: Header=BB94_70 Depth=1
	s_wait_loadcnt 0x8
	v_mov_b32_e32 v22, v13
	s_mov_b32 s2, exec_lo
	v_cmpx_o_f16_e32 v13, v13
; %bb.100:                              ;   in Loop: Header=BB94_70 Depth=1
	v_cmp_gt_f16_e32 vcc_lo, v21, v13
	v_cndmask_b32_e32 v22, v12, v13, vcc_lo
; %bb.101:                              ;   in Loop: Header=BB94_70 Depth=1
	s_or_b32 exec_lo, exec_lo, s2
	s_delay_alu instid0(VALU_DEP_1)
	v_dual_mov_b32 v21, v22 :: v_dual_mov_b32 v12, v22
.LBB94_102:                             ;   in Loop: Header=BB94_70 Depth=1
	s_or_b32 exec_lo, exec_lo, s1
	s_delay_alu instid0(SALU_CYCLE_1) | instskip(NEXT) | instid1(VALU_DEP_1)
	s_mov_b32 s1, exec_lo
	v_cmpx_o_f16_e32 v21, v21
	s_cbranch_execz .LBB94_106
; %bb.103:                              ;   in Loop: Header=BB94_70 Depth=1
	s_wait_loadcnt 0x7
	v_mov_b32_e32 v22, v11
	s_mov_b32 s2, exec_lo
	v_cmpx_o_f16_e32 v11, v11
; %bb.104:                              ;   in Loop: Header=BB94_70 Depth=1
	v_cmp_gt_f16_e32 vcc_lo, v21, v11
	v_cndmask_b32_e32 v22, v12, v11, vcc_lo
; %bb.105:                              ;   in Loop: Header=BB94_70 Depth=1
	s_or_b32 exec_lo, exec_lo, s2
	s_delay_alu instid0(VALU_DEP_1)
	v_dual_mov_b32 v21, v22 :: v_dual_mov_b32 v12, v22
.LBB94_106:                             ;   in Loop: Header=BB94_70 Depth=1
	s_or_b32 exec_lo, exec_lo, s1
	s_delay_alu instid0(SALU_CYCLE_1) | instskip(NEXT) | instid1(VALU_DEP_1)
	s_mov_b32 s1, exec_lo
	v_cmpx_o_f16_e32 v21, v21
	s_cbranch_execz .LBB94_110
; %bb.107:                              ;   in Loop: Header=BB94_70 Depth=1
	s_wait_loadcnt 0x6
	v_mov_b32_e32 v22, v10
	s_mov_b32 s2, exec_lo
	v_cmpx_o_f16_e32 v10, v10
; %bb.108:                              ;   in Loop: Header=BB94_70 Depth=1
	v_cmp_gt_f16_e32 vcc_lo, v21, v10
	v_cndmask_b32_e32 v22, v12, v10, vcc_lo
; %bb.109:                              ;   in Loop: Header=BB94_70 Depth=1
	s_or_b32 exec_lo, exec_lo, s2
	s_delay_alu instid0(VALU_DEP_1)
	v_dual_mov_b32 v21, v22 :: v_dual_mov_b32 v12, v22
.LBB94_110:                             ;   in Loop: Header=BB94_70 Depth=1
	;; [unrolled: 18-line block ×7, first 2 shown]
	s_or_b32 exec_lo, exec_lo, s1
	s_delay_alu instid0(SALU_CYCLE_1) | instskip(NEXT) | instid1(VALU_DEP_1)
	s_mov_b32 s1, exec_lo
	v_cmpx_o_f16_e32 v21, v21
	s_cbranch_execz .LBB94_69
; %bb.131:                              ;   in Loop: Header=BB94_70 Depth=1
	s_wait_loadcnt 0x0
	v_mov_b32_e32 v22, v4
	s_mov_b32 s2, exec_lo
	v_cmpx_o_f16_e32 v4, v4
	s_cbranch_execz .LBB94_68
; %bb.132:                              ;   in Loop: Header=BB94_70 Depth=1
	v_cmp_gt_f16_e32 vcc_lo, v21, v4
	v_cndmask_b32_e32 v22, v12, v4, vcc_lo
	s_branch .LBB94_68
.LBB94_133:
                                        ; implicit-def: $vgpr3
	s_cbranch_execnz .LBB94_299
	s_branch .LBB94_401
.LBB94_134:
	s_sub_co_i32 s25, s28, s0
	s_ashr_i32 s1, s0, 31
	v_cmp_gt_u32_e64 s14, s25, v0
	s_lshl_b64 s[0:1], s[0:1], 1
	s_delay_alu instid0(SALU_CYCLE_1)
	s_add_nc_u64 s[26:27], s[16:17], s[0:1]
	s_and_saveexec_b32 s0, s14
	s_cbranch_execz .LBB94_136
; %bb.135:
	s_wait_loadcnt 0xf
	global_load_u16 v20, v0, s[26:27] scale_offset
.LBB94_136:
	s_wait_xcnt 0x0
	s_or_b32 exec_lo, exec_lo, s0
	v_or_b32_e32 v2, 0x100, v0
	s_delay_alu instid0(VALU_DEP_1)
	v_cmp_gt_u32_e64 s13, s25, v2
	s_and_saveexec_b32 s0, s13
	s_cbranch_execz .LBB94_138
; %bb.137:
	s_wait_loadcnt 0xe
	global_load_u16 v19, v0, s[26:27] offset:512 scale_offset
.LBB94_138:
	s_wait_xcnt 0x0
	s_or_b32 exec_lo, exec_lo, s0
	v_or_b32_e32 v2, 0x200, v0
	s_delay_alu instid0(VALU_DEP_1)
	v_cmp_gt_u32_e64 s12, s25, v2
	s_and_saveexec_b32 s0, s12
	s_cbranch_execz .LBB94_140
; %bb.139:
	s_wait_loadcnt 0xd
	global_load_u16 v18, v0, s[26:27] offset:1024 scale_offset
.LBB94_140:
	;; [unrolled: 11-line block ×14, first 2 shown]
	s_wait_xcnt 0x0
	s_or_b32 exec_lo, exec_lo, s29
	v_or_b32_e32 v2, 0xf00, v0
	s_delay_alu instid0(VALU_DEP_1)
	v_cmp_gt_u32_e32 vcc_lo, s25, v2
	s_and_saveexec_b32 s25, vcc_lo
	s_cbranch_execnz .LBB94_181
; %bb.165:
	s_or_b32 exec_lo, exec_lo, s25
	s_and_saveexec_b32 s25, s14
	s_cbranch_execnz .LBB94_182
.LBB94_166:
	s_or_b32 exec_lo, exec_lo, s25
	s_and_saveexec_b32 s14, s13
	s_cbranch_execnz .LBB94_187
.LBB94_167:
	s_or_b32 exec_lo, exec_lo, s14
	s_and_saveexec_b32 s13, s12
	s_cbranch_execnz .LBB94_192
.LBB94_168:
	s_or_b32 exec_lo, exec_lo, s13
	s_and_saveexec_b32 s12, s11
	s_cbranch_execnz .LBB94_197
.LBB94_169:
	s_or_b32 exec_lo, exec_lo, s12
	s_and_saveexec_b32 s11, s10
	s_cbranch_execnz .LBB94_202
.LBB94_170:
	s_or_b32 exec_lo, exec_lo, s11
	s_and_saveexec_b32 s10, s9
	s_cbranch_execnz .LBB94_207
.LBB94_171:
	s_or_b32 exec_lo, exec_lo, s10
	s_and_saveexec_b32 s9, s8
	s_cbranch_execnz .LBB94_212
.LBB94_172:
	s_or_b32 exec_lo, exec_lo, s9
	s_and_saveexec_b32 s8, s7
	s_cbranch_execnz .LBB94_217
.LBB94_173:
	s_or_b32 exec_lo, exec_lo, s8
	s_and_saveexec_b32 s7, s6
	s_cbranch_execnz .LBB94_222
.LBB94_174:
	s_or_b32 exec_lo, exec_lo, s7
	s_and_saveexec_b32 s6, s5
	s_cbranch_execnz .LBB94_227
.LBB94_175:
	s_or_b32 exec_lo, exec_lo, s6
	s_and_saveexec_b32 s5, s4
	s_cbranch_execnz .LBB94_232
.LBB94_176:
	s_or_b32 exec_lo, exec_lo, s5
	s_and_saveexec_b32 s4, s3
	s_cbranch_execnz .LBB94_237
.LBB94_177:
	s_or_b32 exec_lo, exec_lo, s4
	s_and_saveexec_b32 s3, s2
	s_cbranch_execnz .LBB94_242
.LBB94_178:
	s_or_b32 exec_lo, exec_lo, s3
	s_and_saveexec_b32 s2, s1
	s_cbranch_execnz .LBB94_247
.LBB94_179:
	s_or_b32 exec_lo, exec_lo, s2
	s_and_saveexec_b32 s1, s0
	s_cbranch_execnz .LBB94_252
.LBB94_180:
	s_or_b32 exec_lo, exec_lo, s1
	s_and_saveexec_b32 s0, vcc_lo
	s_cbranch_execnz .LBB94_257
	s_branch .LBB94_262
.LBB94_181:
	s_wait_loadcnt 0x0
	global_load_u16 v4, v0, s[26:27] offset:7680 scale_offset
	s_wait_xcnt 0x0
	s_or_b32 exec_lo, exec_lo, s25
	s_and_saveexec_b32 s25, s14
	s_cbranch_execz .LBB94_166
.LBB94_182:
	s_mov_b32 s26, exec_lo
	v_cmpx_o_f16_e32 v12, v12
	s_cbranch_execz .LBB94_186
; %bb.183:
	s_mov_b32 s27, exec_lo
	s_wait_loadcnt 0x0
	v_cmpx_o_f16_e32 v20, v20
; %bb.184:
	v_cmp_lt_f16_e64 s14, v20, v12
	s_delay_alu instid0(VALU_DEP_1)
	v_cndmask_b32_e64 v20, v12, v20, s14
; %bb.185:
	s_or_b32 exec_lo, exec_lo, s27
	s_delay_alu instid0(VALU_DEP_1)
	v_mov_b32_e32 v12, v20
.LBB94_186:
	s_or_b32 exec_lo, exec_lo, s26
	s_delay_alu instid0(SALU_CYCLE_1)
	s_or_b32 exec_lo, exec_lo, s25
	s_and_saveexec_b32 s14, s13
	s_cbranch_execz .LBB94_167
.LBB94_187:
	s_mov_b32 s25, exec_lo
	v_cmpx_o_f16_e32 v12, v12
	s_cbranch_execz .LBB94_191
; %bb.188:
	s_mov_b32 s26, exec_lo
	s_wait_loadcnt 0x0
	v_cmpx_o_f16_e32 v19, v19
; %bb.189:
	v_cmp_lt_f16_e64 s13, v19, v12
	s_delay_alu instid0(VALU_DEP_1)
	v_cndmask_b32_e64 v19, v12, v19, s13
; %bb.190:
	s_or_b32 exec_lo, exec_lo, s26
	s_delay_alu instid0(VALU_DEP_1)
	v_mov_b32_e32 v12, v19
.LBB94_191:
	s_or_b32 exec_lo, exec_lo, s25
	s_delay_alu instid0(SALU_CYCLE_1)
	s_or_b32 exec_lo, exec_lo, s14
	s_and_saveexec_b32 s13, s12
	s_cbranch_execz .LBB94_168
.LBB94_192:
	s_mov_b32 s14, exec_lo
	v_cmpx_o_f16_e32 v12, v12
	s_cbranch_execz .LBB94_196
; %bb.193:
	s_mov_b32 s25, exec_lo
	s_wait_loadcnt 0x0
	v_cmpx_o_f16_e32 v18, v18
; %bb.194:
	v_cmp_lt_f16_e64 s12, v18, v12
	s_delay_alu instid0(VALU_DEP_1)
	v_cndmask_b32_e64 v18, v12, v18, s12
; %bb.195:
	s_or_b32 exec_lo, exec_lo, s25
	s_delay_alu instid0(VALU_DEP_1)
	v_mov_b32_e32 v12, v18
.LBB94_196:
	s_or_b32 exec_lo, exec_lo, s14
	s_delay_alu instid0(SALU_CYCLE_1)
	s_or_b32 exec_lo, exec_lo, s13
	s_and_saveexec_b32 s12, s11
	s_cbranch_execz .LBB94_169
.LBB94_197:
	s_mov_b32 s13, exec_lo
	v_cmpx_o_f16_e32 v12, v12
	s_cbranch_execz .LBB94_201
; %bb.198:
	s_mov_b32 s14, exec_lo
	s_wait_loadcnt 0x0
	v_cmpx_o_f16_e32 v17, v17
; %bb.199:
	v_cmp_lt_f16_e64 s11, v17, v12
	s_delay_alu instid0(VALU_DEP_1)
	v_cndmask_b32_e64 v17, v12, v17, s11
; %bb.200:
	s_or_b32 exec_lo, exec_lo, s14
	s_delay_alu instid0(VALU_DEP_1)
	v_mov_b32_e32 v12, v17
.LBB94_201:
	s_or_b32 exec_lo, exec_lo, s13
	s_delay_alu instid0(SALU_CYCLE_1)
	s_or_b32 exec_lo, exec_lo, s12
	s_and_saveexec_b32 s11, s10
	s_cbranch_execz .LBB94_170
.LBB94_202:
	s_mov_b32 s12, exec_lo
	v_cmpx_o_f16_e32 v12, v12
	s_cbranch_execz .LBB94_206
; %bb.203:
	s_mov_b32 s13, exec_lo
	s_wait_loadcnt 0x0
	v_cmpx_o_f16_e32 v16, v16
; %bb.204:
	v_cmp_lt_f16_e64 s10, v16, v12
	s_delay_alu instid0(VALU_DEP_1)
	v_cndmask_b32_e64 v16, v12, v16, s10
; %bb.205:
	s_or_b32 exec_lo, exec_lo, s13
	s_delay_alu instid0(VALU_DEP_1)
	v_mov_b32_e32 v12, v16
.LBB94_206:
	s_or_b32 exec_lo, exec_lo, s12
	s_delay_alu instid0(SALU_CYCLE_1)
	s_or_b32 exec_lo, exec_lo, s11
	s_and_saveexec_b32 s10, s9
	s_cbranch_execz .LBB94_171
.LBB94_207:
	s_mov_b32 s11, exec_lo
	v_cmpx_o_f16_e32 v12, v12
	s_cbranch_execz .LBB94_211
; %bb.208:
	s_mov_b32 s12, exec_lo
	s_wait_loadcnt 0x0
	v_cmpx_o_f16_e32 v15, v15
; %bb.209:
	v_cmp_lt_f16_e64 s9, v15, v12
	s_delay_alu instid0(VALU_DEP_1)
	v_cndmask_b32_e64 v15, v12, v15, s9
; %bb.210:
	s_or_b32 exec_lo, exec_lo, s12
	s_delay_alu instid0(VALU_DEP_1)
	v_mov_b32_e32 v12, v15
.LBB94_211:
	s_or_b32 exec_lo, exec_lo, s11
	s_delay_alu instid0(SALU_CYCLE_1)
	s_or_b32 exec_lo, exec_lo, s10
	s_and_saveexec_b32 s9, s8
	s_cbranch_execz .LBB94_172
.LBB94_212:
	s_mov_b32 s10, exec_lo
	v_cmpx_o_f16_e32 v12, v12
	s_cbranch_execz .LBB94_216
; %bb.213:
	s_mov_b32 s11, exec_lo
	s_wait_loadcnt 0x0
	v_cmpx_o_f16_e32 v14, v14
; %bb.214:
	v_cmp_lt_f16_e64 s8, v14, v12
	s_delay_alu instid0(VALU_DEP_1)
	v_cndmask_b32_e64 v14, v12, v14, s8
; %bb.215:
	s_or_b32 exec_lo, exec_lo, s11
	s_delay_alu instid0(VALU_DEP_1)
	v_mov_b32_e32 v12, v14
.LBB94_216:
	s_or_b32 exec_lo, exec_lo, s10
	s_delay_alu instid0(SALU_CYCLE_1)
	s_or_b32 exec_lo, exec_lo, s9
	s_and_saveexec_b32 s8, s7
	s_cbranch_execz .LBB94_173
.LBB94_217:
	s_mov_b32 s9, exec_lo
	v_cmpx_o_f16_e32 v12, v12
	s_cbranch_execz .LBB94_221
; %bb.218:
	s_mov_b32 s10, exec_lo
	s_wait_loadcnt 0x0
	v_cmpx_o_f16_e32 v13, v13
; %bb.219:
	v_cmp_lt_f16_e64 s7, v13, v12
	s_delay_alu instid0(VALU_DEP_1)
	v_cndmask_b32_e64 v13, v12, v13, s7
; %bb.220:
	s_or_b32 exec_lo, exec_lo, s10
	s_delay_alu instid0(VALU_DEP_1)
	v_mov_b32_e32 v12, v13
.LBB94_221:
	s_or_b32 exec_lo, exec_lo, s9
	s_delay_alu instid0(SALU_CYCLE_1)
	s_or_b32 exec_lo, exec_lo, s8
	s_and_saveexec_b32 s7, s6
	s_cbranch_execz .LBB94_174
.LBB94_222:
	s_mov_b32 s8, exec_lo
	v_cmpx_o_f16_e32 v12, v12
	s_cbranch_execz .LBB94_226
; %bb.223:
	s_mov_b32 s9, exec_lo
	s_wait_loadcnt 0x0
	v_cmpx_o_f16_e32 v11, v11
; %bb.224:
	v_cmp_lt_f16_e64 s6, v11, v12
	s_delay_alu instid0(VALU_DEP_1)
	v_cndmask_b32_e64 v11, v12, v11, s6
; %bb.225:
	s_or_b32 exec_lo, exec_lo, s9
	s_delay_alu instid0(VALU_DEP_1)
	v_mov_b32_e32 v12, v11
.LBB94_226:
	s_or_b32 exec_lo, exec_lo, s8
	s_delay_alu instid0(SALU_CYCLE_1)
	s_or_b32 exec_lo, exec_lo, s7
	s_and_saveexec_b32 s6, s5
	s_cbranch_execz .LBB94_175
.LBB94_227:
	s_mov_b32 s7, exec_lo
	v_cmpx_o_f16_e32 v12, v12
	s_cbranch_execz .LBB94_231
; %bb.228:
	s_mov_b32 s8, exec_lo
	s_wait_loadcnt 0x0
	v_cmpx_o_f16_e32 v10, v10
; %bb.229:
	v_cmp_lt_f16_e64 s5, v10, v12
	s_delay_alu instid0(VALU_DEP_1)
	v_cndmask_b32_e64 v10, v12, v10, s5
; %bb.230:
	s_or_b32 exec_lo, exec_lo, s8
	s_delay_alu instid0(VALU_DEP_1)
	v_mov_b32_e32 v12, v10
.LBB94_231:
	s_or_b32 exec_lo, exec_lo, s7
	s_delay_alu instid0(SALU_CYCLE_1)
	s_or_b32 exec_lo, exec_lo, s6
	s_and_saveexec_b32 s5, s4
	s_cbranch_execz .LBB94_176
.LBB94_232:
	s_mov_b32 s6, exec_lo
	v_cmpx_o_f16_e32 v12, v12
	s_cbranch_execz .LBB94_236
; %bb.233:
	s_mov_b32 s7, exec_lo
	s_wait_loadcnt 0x0
	v_cmpx_o_f16_e32 v9, v9
; %bb.234:
	v_cmp_lt_f16_e64 s4, v9, v12
	s_delay_alu instid0(VALU_DEP_1)
	v_cndmask_b32_e64 v9, v12, v9, s4
; %bb.235:
	s_or_b32 exec_lo, exec_lo, s7
	s_delay_alu instid0(VALU_DEP_1)
	v_mov_b32_e32 v12, v9
.LBB94_236:
	s_or_b32 exec_lo, exec_lo, s6
	s_delay_alu instid0(SALU_CYCLE_1)
	s_or_b32 exec_lo, exec_lo, s5
	s_and_saveexec_b32 s4, s3
	s_cbranch_execz .LBB94_177
.LBB94_237:
	s_mov_b32 s5, exec_lo
	v_cmpx_o_f16_e32 v12, v12
	s_cbranch_execz .LBB94_241
; %bb.238:
	s_mov_b32 s6, exec_lo
	s_wait_loadcnt 0x0
	v_cmpx_o_f16_e32 v8, v8
; %bb.239:
	v_cmp_lt_f16_e64 s3, v8, v12
	s_delay_alu instid0(VALU_DEP_1)
	v_cndmask_b32_e64 v8, v12, v8, s3
; %bb.240:
	s_or_b32 exec_lo, exec_lo, s6
	s_delay_alu instid0(VALU_DEP_1)
	v_mov_b32_e32 v12, v8
.LBB94_241:
	s_or_b32 exec_lo, exec_lo, s5
	s_delay_alu instid0(SALU_CYCLE_1)
	s_or_b32 exec_lo, exec_lo, s4
	s_and_saveexec_b32 s3, s2
	s_cbranch_execz .LBB94_178
.LBB94_242:
	s_mov_b32 s4, exec_lo
	v_cmpx_o_f16_e32 v12, v12
	s_cbranch_execz .LBB94_246
; %bb.243:
	s_mov_b32 s5, exec_lo
	s_wait_loadcnt 0x0
	v_cmpx_o_f16_e32 v7, v7
; %bb.244:
	v_cmp_lt_f16_e64 s2, v7, v12
	s_delay_alu instid0(VALU_DEP_1)
	v_cndmask_b32_e64 v7, v12, v7, s2
; %bb.245:
	s_or_b32 exec_lo, exec_lo, s5
	s_delay_alu instid0(VALU_DEP_1)
	v_mov_b32_e32 v12, v7
.LBB94_246:
	s_or_b32 exec_lo, exec_lo, s4
	s_delay_alu instid0(SALU_CYCLE_1)
	s_or_b32 exec_lo, exec_lo, s3
	s_and_saveexec_b32 s2, s1
	s_cbranch_execz .LBB94_179
.LBB94_247:
	s_mov_b32 s3, exec_lo
	v_cmpx_o_f16_e32 v12, v12
	s_cbranch_execz .LBB94_251
; %bb.248:
	s_mov_b32 s4, exec_lo
	s_wait_loadcnt 0x0
	v_cmpx_o_f16_e32 v6, v6
; %bb.249:
	v_cmp_lt_f16_e64 s1, v6, v12
	s_delay_alu instid0(VALU_DEP_1)
	v_cndmask_b32_e64 v6, v12, v6, s1
; %bb.250:
	s_or_b32 exec_lo, exec_lo, s4
	s_delay_alu instid0(VALU_DEP_1)
	v_mov_b32_e32 v12, v6
.LBB94_251:
	s_or_b32 exec_lo, exec_lo, s3
	s_delay_alu instid0(SALU_CYCLE_1)
	s_or_b32 exec_lo, exec_lo, s2
	s_and_saveexec_b32 s1, s0
	s_cbranch_execz .LBB94_180
.LBB94_252:
	s_mov_b32 s2, exec_lo
	v_cmpx_o_f16_e32 v12, v12
	s_cbranch_execz .LBB94_256
; %bb.253:
	s_mov_b32 s3, exec_lo
	s_wait_loadcnt 0x0
	v_cmpx_o_f16_e32 v5, v5
; %bb.254:
	v_cmp_lt_f16_e64 s0, v5, v12
	s_delay_alu instid0(VALU_DEP_1)
	v_cndmask_b32_e64 v5, v12, v5, s0
; %bb.255:
	s_or_b32 exec_lo, exec_lo, s3
	s_delay_alu instid0(VALU_DEP_1)
	v_mov_b32_e32 v12, v5
.LBB94_256:
	s_or_b32 exec_lo, exec_lo, s2
	s_delay_alu instid0(SALU_CYCLE_1)
	s_or_b32 exec_lo, exec_lo, s1
	s_and_saveexec_b32 s0, vcc_lo
	s_cbranch_execz .LBB94_262
.LBB94_257:
	s_mov_b32 s1, exec_lo
	v_cmpx_o_f16_e32 v12, v12
	s_cbranch_execz .LBB94_261
; %bb.258:
	s_mov_b32 s2, exec_lo
	s_wait_loadcnt 0x0
	v_cmpx_o_f16_e32 v4, v4
; %bb.259:
	v_cmp_lt_f16_e32 vcc_lo, v4, v12
	v_cndmask_b32_e32 v4, v12, v4, vcc_lo
; %bb.260:
	s_or_b32 exec_lo, exec_lo, s2
	s_delay_alu instid0(VALU_DEP_1)
	v_mov_b32_e32 v12, v4
.LBB94_261:
	s_or_b32 exec_lo, exec_lo, s1
.LBB94_262:
	s_delay_alu instid0(SALU_CYCLE_1) | instskip(NEXT) | instid1(VALU_DEP_1)
	s_or_b32 exec_lo, exec_lo, s0
	v_and_b32_e32 v2, 0xffff, v12
	s_mov_b32 s0, exec_lo
	s_delay_alu instid0(VALU_DEP_1) | instskip(NEXT) | instid1(VALU_DEP_1)
	v_mov_b32_dpp v2, v2 quad_perm:[1,0,3,2] row_mask:0xf bank_mask:0xf
	v_cmpx_o_f16_e32 v2, v2
	s_xor_b32 s0, exec_lo, s0
	s_cbranch_execz .LBB94_266
; %bb.263:
	s_mov_b32 s1, exec_lo
	v_cmpx_o_f16_e32 v12, v12
; %bb.264:
	v_cmp_lt_f16_e32 vcc_lo, v12, v2
	v_cndmask_b32_e32 v12, v2, v12, vcc_lo
; %bb.265:
	s_or_b32 exec_lo, exec_lo, s1
	s_delay_alu instid0(VALU_DEP_1)
	v_mov_b32_e32 v2, v12
.LBB94_266:
	s_or_b32 exec_lo, exec_lo, s0
	s_delay_alu instid0(VALU_DEP_1) | instskip(SKIP_1) | instid1(VALU_DEP_1)
	v_and_b32_e32 v3, 0xffff, v2
	s_mov_b32 s0, exec_lo
	v_mov_b32_dpp v3, v3 quad_perm:[2,3,0,1] row_mask:0xf bank_mask:0xf
	s_delay_alu instid0(VALU_DEP_1)
	v_cmpx_o_f16_e32 v3, v3
	s_cbranch_execz .LBB94_270
; %bb.267:
	s_mov_b32 s1, exec_lo
	v_cmpx_o_f16_e32 v2, v2
; %bb.268:
	v_cmp_lt_f16_e32 vcc_lo, v2, v3
	v_cndmask_b32_e32 v2, v3, v2, vcc_lo
; %bb.269:
	s_or_b32 exec_lo, exec_lo, s1
	s_delay_alu instid0(VALU_DEP_1)
	v_mov_b32_e32 v3, v2
.LBB94_270:
	s_or_b32 exec_lo, exec_lo, s0
	s_delay_alu instid0(VALU_DEP_1) | instskip(SKIP_1) | instid1(VALU_DEP_1)
	v_and_b32_e32 v2, 0xffff, v3
	s_mov_b32 s0, exec_lo
	v_mov_b32_dpp v2, v2 row_ror:4 row_mask:0xf bank_mask:0xf
	s_delay_alu instid0(VALU_DEP_1)
	v_cmpx_o_f16_e32 v2, v2
	s_cbranch_execz .LBB94_274
; %bb.271:
	s_mov_b32 s1, exec_lo
	v_cmpx_o_f16_e32 v3, v3
; %bb.272:
	v_cmp_lt_f16_e32 vcc_lo, v3, v2
	v_cndmask_b32_e32 v3, v2, v3, vcc_lo
; %bb.273:
	s_or_b32 exec_lo, exec_lo, s1
	s_delay_alu instid0(VALU_DEP_1)
	v_mov_b32_e32 v2, v3
.LBB94_274:
	s_or_b32 exec_lo, exec_lo, s0
	s_delay_alu instid0(VALU_DEP_1) | instskip(SKIP_1) | instid1(VALU_DEP_1)
	v_and_b32_e32 v3, 0xffff, v2
	s_mov_b32 s0, exec_lo
	v_mov_b32_dpp v3, v3 row_ror:8 row_mask:0xf bank_mask:0xf
	s_delay_alu instid0(VALU_DEP_1)
	v_cmpx_o_f16_e32 v3, v3
	s_cbranch_execz .LBB94_278
; %bb.275:
	s_mov_b32 s1, exec_lo
	v_cmpx_o_f16_e32 v2, v2
; %bb.276:
	v_cmp_lt_f16_e32 vcc_lo, v2, v3
	v_cndmask_b32_e32 v2, v3, v2, vcc_lo
; %bb.277:
	s_or_b32 exec_lo, exec_lo, s1
	s_delay_alu instid0(VALU_DEP_1)
	v_mov_b32_e32 v3, v2
.LBB94_278:
	s_or_b32 exec_lo, exec_lo, s0
	s_delay_alu instid0(VALU_DEP_1)
	v_and_b32_e32 v2, 0xffff, v3
	s_mov_b32 s0, exec_lo
	ds_swizzle_b32 v2, v2 offset:swizzle(BROADCAST,32,15)
	s_wait_dscnt 0x0
	v_cmpx_o_f16_e32 v2, v2
	s_cbranch_execz .LBB94_282
; %bb.279:
	s_mov_b32 s1, exec_lo
	v_cmpx_o_f16_e32 v3, v3
; %bb.280:
	v_cmp_lt_f16_e32 vcc_lo, v3, v2
	v_cndmask_b32_e32 v3, v2, v3, vcc_lo
; %bb.281:
	s_or_b32 exec_lo, exec_lo, s1
	s_delay_alu instid0(VALU_DEP_1)
	v_mov_b32_e32 v2, v3
.LBB94_282:
	s_or_b32 exec_lo, exec_lo, s0
	s_delay_alu instid0(VALU_DEP_1) | instskip(SKIP_4) | instid1(VALU_DEP_1)
	v_and_b32_e32 v2, 0xffff, v2
	v_mov_b32_e32 v3, 0
	s_mov_b32 s0, exec_lo
	ds_bpermute_b32 v3, v3, v2 offset:124
	v_mbcnt_lo_u32_b32 v2, -1, 0
	v_cmpx_eq_u32_e32 0, v2
	s_cbranch_execz .LBB94_284
; %bb.283:
	s_wait_loadcnt 0x0
	v_lshrrev_b32_e32 v4, 4, v0
	s_delay_alu instid0(VALU_DEP_1)
	v_and_b32_e32 v4, 14, v4
	s_wait_dscnt 0x0
	ds_store_b16 v4, v3
.LBB94_284:
	s_or_b32 exec_lo, exec_lo, s0
	s_delay_alu instid0(SALU_CYCLE_1)
	s_mov_b32 s0, exec_lo
	s_wait_loadcnt_dscnt 0x0
	s_barrier_signal -1
	s_barrier_wait -1
	v_cmpx_gt_u32_e32 32, v0
	s_cbranch_execz .LBB94_298
; %bb.285:
	v_and_b32_e32 v4, 7, v2
	s_mov_b32 s1, exec_lo
	s_delay_alu instid0(VALU_DEP_1) | instskip(SKIP_1) | instid1(VALU_DEP_1)
	v_cmp_ne_u32_e32 vcc_lo, 7, v4
	v_add_co_ci_u32_e64 v5, null, 0, v2, vcc_lo
	v_dual_lshlrev_b32 v5, 2, v5 :: v_dual_lshlrev_b32 v3, 1, v4
	ds_load_u16 v3, v3
	s_wait_dscnt 0x0
	v_and_b32_e32 v6, 0xffff, v3
	ds_bpermute_b32 v5, v5, v6
	v_cmpx_o_f16_e32 v3, v3
	s_cbranch_execz .LBB94_289
; %bb.286:
	s_mov_b32 s2, exec_lo
	s_wait_dscnt 0x0
	v_cmpx_o_f16_e32 v5, v5
; %bb.287:
	v_cmp_gt_f16_e32 vcc_lo, v3, v5
	v_cndmask_b32_e32 v5, v3, v5, vcc_lo
; %bb.288:
	s_or_b32 exec_lo, exec_lo, s2
	s_delay_alu instid0(VALU_DEP_1)
	v_mov_b32_e32 v3, v5
.LBB94_289:
	s_or_b32 exec_lo, exec_lo, s1
	v_cmp_gt_u32_e32 vcc_lo, 6, v4
	s_wait_dscnt 0x0
	s_delay_alu instid0(VALU_DEP_2) | instskip(SKIP_2) | instid1(VALU_DEP_1)
	v_and_b32_e32 v5, 0xffff, v3
	s_mov_b32 s1, exec_lo
	v_cndmask_b32_e64 v4, 0, 2, vcc_lo
	v_add_lshl_u32 v4, v4, v2, 2
	v_lshlrev_b32_e32 v2, 2, v2
	ds_bpermute_b32 v4, v4, v5
	v_cmpx_o_f16_e32 v3, v3
	s_cbranch_execz .LBB94_293
; %bb.290:
	s_mov_b32 s2, exec_lo
	s_wait_dscnt 0x0
	v_cmpx_o_f16_e32 v4, v4
; %bb.291:
	v_cmp_gt_f16_e32 vcc_lo, v3, v4
	v_cndmask_b32_e32 v4, v3, v4, vcc_lo
; %bb.292:
	s_or_b32 exec_lo, exec_lo, s2
	s_delay_alu instid0(VALU_DEP_1)
	v_mov_b32_e32 v3, v4
.LBB94_293:
	s_or_b32 exec_lo, exec_lo, s1
	v_or_b32_e32 v2, 16, v2
	s_wait_dscnt 0x0
	s_delay_alu instid0(VALU_DEP_2)
	v_and_b32_e32 v4, 0xffff, v3
	s_mov_b32 s1, exec_lo
	ds_bpermute_b32 v2, v2, v4
	v_cmpx_o_f16_e32 v3, v3
	s_cbranch_execz .LBB94_297
; %bb.294:
	s_mov_b32 s2, exec_lo
	s_wait_dscnt 0x0
	v_cmpx_o_f16_e32 v2, v2
; %bb.295:
	v_cmp_gt_f16_e32 vcc_lo, v3, v2
	v_cndmask_b32_e32 v2, v3, v2, vcc_lo
; %bb.296:
	s_or_b32 exec_lo, exec_lo, s2
	s_delay_alu instid0(VALU_DEP_1)
	v_mov_b32_e32 v3, v2
.LBB94_297:
	s_or_b32 exec_lo, exec_lo, s1
.LBB94_298:
	s_delay_alu instid0(SALU_CYCLE_1)
	s_or_b32 exec_lo, exec_lo, s0
	s_branch .LBB94_401
.LBB94_299:
	s_sub_co_i32 s0, s28, s24
	s_mov_b32 s1, exec_lo
                                        ; implicit-def: $vgpr5
	v_cmpx_gt_u32_e64 s0, v0
	s_cbranch_execz .LBB94_309
; %bb.300:
	s_wait_dscnt 0x0
	v_add_nc_u32_e32 v2, s24, v0
	s_mov_b32 s2, exec_lo
	global_load_u16 v5, v2, s[16:17] scale_offset
	s_wait_xcnt 0x0
	v_add_nc_u32_e32 v2, 0x100, v2
	s_delay_alu instid0(VALU_DEP_1)
	v_cmpx_gt_i32_e64 s28, v2
	s_cbranch_execz .LBB94_308
; %bb.301:
	s_mov_b32 s3, 0
	s_branch .LBB94_304
.LBB94_302:                             ;   in Loop: Header=BB94_304 Depth=1
	s_or_b32 exec_lo, exec_lo, s5
	s_delay_alu instid0(VALU_DEP_1)
	v_mov_b32_e32 v5, v3
.LBB94_303:                             ;   in Loop: Header=BB94_304 Depth=1
	s_or_b32 exec_lo, exec_lo, s4
	v_add_nc_u32_e32 v2, 0x100, v2
	s_delay_alu instid0(VALU_DEP_1) | instskip(SKIP_1) | instid1(SALU_CYCLE_1)
	v_cmp_le_i32_e32 vcc_lo, s28, v2
	s_or_b32 s3, vcc_lo, s3
	s_and_not1_b32 exec_lo, exec_lo, s3
	s_cbranch_execz .LBB94_307
.LBB94_304:                             ; =>This Inner Loop Header: Depth=1
	s_mov_b32 s4, exec_lo
	s_wait_loadcnt 0x0
	v_cmpx_o_f16_e32 v5, v5
	s_cbranch_execz .LBB94_303
; %bb.305:                              ;   in Loop: Header=BB94_304 Depth=1
	global_load_u16 v3, v2, s[16:17] scale_offset
	s_mov_b32 s5, exec_lo
	s_wait_loadcnt 0x0
	v_cmpx_o_f16_e32 v3, v3
	s_cbranch_execz .LBB94_302
; %bb.306:                              ;   in Loop: Header=BB94_304 Depth=1
	v_cmp_lt_f16_e32 vcc_lo, v3, v5
	v_cndmask_b32_e32 v3, v5, v3, vcc_lo
	s_branch .LBB94_302
.LBB94_307:
	s_or_b32 exec_lo, exec_lo, s3
.LBB94_308:
	s_delay_alu instid0(SALU_CYCLE_1)
	s_or_b32 exec_lo, exec_lo, s2
.LBB94_309:
	s_delay_alu instid0(SALU_CYCLE_1)
	s_or_b32 exec_lo, exec_lo, s1
	v_lshrrev_b32_e32 v4, 5, v0
	s_wait_dscnt 0x0
	v_mbcnt_lo_u32_b32 v2, -1, 0
	s_wait_loadcnt 0x0
	v_and_b32_e32 v6, 0xffff, v5
	s_cmp_lt_u32 s0, 0x100
	s_mov_b32 s1, -1
                                        ; implicit-def: $vgpr3
	s_cbranch_scc0 .LBB94_363
; %bb.310:
	v_cmp_ne_u32_e32 vcc_lo, 31, v2
	v_mov_b32_e32 v9, v6
	v_add_co_ci_u32_e64 v3, null, 0, v2, vcc_lo
	s_delay_alu instid0(VALU_DEP_1) | instskip(SKIP_2) | instid1(VALU_DEP_1)
	v_lshlrev_b32_e32 v3, 2, v3
	ds_bpermute_b32 v8, v3, v6
	v_and_b32_e32 v3, 0xe0, v0
	v_sub_nc_u32_e64 v7, s0, v3 clamp
	v_add_nc_u32_e32 v3, 1, v2
	s_delay_alu instid0(VALU_DEP_1)
	v_cmp_lt_u32_e32 vcc_lo, v3, v7
	v_mov_b32_e32 v3, v5
	s_and_saveexec_b32 s1, vcc_lo
	s_cbranch_execz .LBB94_316
; %bb.311:
	v_mov_b32_e32 v3, v5
	s_mov_b32 s2, exec_lo
	v_cmpx_o_f16_e32 v5, v5
	s_cbranch_execz .LBB94_315
; %bb.312:
	s_mov_b32 s3, exec_lo
	s_wait_dscnt 0x0
	v_cmpx_o_f16_e32 v8, v8
; %bb.313:
	v_cmp_gt_f16_e32 vcc_lo, v5, v8
	v_cndmask_b32_e32 v8, v5, v8, vcc_lo
; %bb.314:
	s_or_b32 exec_lo, exec_lo, s3
	s_delay_alu instid0(VALU_DEP_1)
	v_mov_b32_e32 v3, v8
.LBB94_315:
	s_or_b32 exec_lo, exec_lo, s2
	s_delay_alu instid0(VALU_DEP_1)
	v_and_b32_e32 v9, 0xffff, v3
.LBB94_316:
	s_or_b32 exec_lo, exec_lo, s1
	v_cmp_gt_u32_e32 vcc_lo, 30, v2
	v_add_nc_u32_e32 v10, 2, v2
	s_mov_b32 s1, exec_lo
	s_wait_dscnt 0x0
	v_cndmask_b32_e64 v8, 0, 2, vcc_lo
	s_delay_alu instid0(VALU_DEP_1)
	v_add_lshl_u32 v8, v8, v2, 2
	ds_bpermute_b32 v8, v8, v9
	v_cmpx_lt_u32_e64 v10, v7
	s_cbranch_execz .LBB94_322
; %bb.317:
	s_mov_b32 s2, exec_lo
	v_cmpx_o_f16_e32 v3, v3
	s_cbranch_execz .LBB94_321
; %bb.318:
	s_mov_b32 s3, exec_lo
	s_wait_dscnt 0x0
	v_cmpx_o_f16_e32 v8, v8
; %bb.319:
	v_cmp_gt_f16_e32 vcc_lo, v3, v8
	v_cndmask_b32_e32 v8, v3, v8, vcc_lo
; %bb.320:
	s_or_b32 exec_lo, exec_lo, s3
	s_delay_alu instid0(VALU_DEP_1)
	v_mov_b32_e32 v3, v8
.LBB94_321:
	s_or_b32 exec_lo, exec_lo, s2
	s_delay_alu instid0(VALU_DEP_1)
	v_and_b32_e32 v9, 0xffff, v3
.LBB94_322:
	s_or_b32 exec_lo, exec_lo, s1
	v_cmp_gt_u32_e32 vcc_lo, 28, v2
	v_add_nc_u32_e32 v10, 4, v2
	s_mov_b32 s1, exec_lo
	s_wait_dscnt 0x0
	v_cndmask_b32_e64 v8, 0, 4, vcc_lo
	s_delay_alu instid0(VALU_DEP_1)
	v_add_lshl_u32 v8, v8, v2, 2
	ds_bpermute_b32 v8, v8, v9
	v_cmpx_lt_u32_e64 v10, v7
	s_cbranch_execz .LBB94_328
; %bb.323:
	s_mov_b32 s2, exec_lo
	v_cmpx_o_f16_e32 v3, v3
	s_cbranch_execz .LBB94_327
; %bb.324:
	s_mov_b32 s3, exec_lo
	s_wait_dscnt 0x0
	v_cmpx_o_f16_e32 v8, v8
; %bb.325:
	v_cmp_gt_f16_e32 vcc_lo, v3, v8
	v_cndmask_b32_e32 v8, v3, v8, vcc_lo
; %bb.326:
	s_or_b32 exec_lo, exec_lo, s3
	s_delay_alu instid0(VALU_DEP_1)
	v_mov_b32_e32 v3, v8
.LBB94_327:
	s_or_b32 exec_lo, exec_lo, s2
	s_delay_alu instid0(VALU_DEP_1)
	v_and_b32_e32 v9, 0xffff, v3
.LBB94_328:
	;; [unrolled: 31-line block ×3, first 2 shown]
	s_or_b32 exec_lo, exec_lo, s1
	s_wait_dscnt 0x0
	v_lshlrev_b32_e32 v8, 2, v2
	s_mov_b32 s1, exec_lo
	s_delay_alu instid0(VALU_DEP_1) | instskip(SKIP_2) | instid1(VALU_DEP_1)
	v_or_b32_e32 v10, 64, v8
	ds_bpermute_b32 v9, v10, v9
	v_add_nc_u32_e32 v10, 16, v2
	v_cmpx_lt_u32_e64 v10, v7
	s_cbranch_execz .LBB94_340
; %bb.335:
	s_mov_b32 s2, exec_lo
	v_cmpx_o_f16_e32 v3, v3
	s_cbranch_execz .LBB94_339
; %bb.336:
	s_mov_b32 s3, exec_lo
	s_wait_dscnt 0x0
	v_cmpx_o_f16_e32 v9, v9
; %bb.337:
	v_cmp_gt_f16_e32 vcc_lo, v3, v9
	v_cndmask_b32_e32 v9, v3, v9, vcc_lo
; %bb.338:
	s_or_b32 exec_lo, exec_lo, s3
	s_delay_alu instid0(VALU_DEP_1)
	v_mov_b32_e32 v3, v9
.LBB94_339:
	s_or_b32 exec_lo, exec_lo, s2
.LBB94_340:
	s_delay_alu instid0(SALU_CYCLE_1) | instskip(NEXT) | instid1(SALU_CYCLE_1)
	s_or_b32 exec_lo, exec_lo, s1
	s_mov_b32 s1, exec_lo
	v_cmpx_eq_u32_e32 0, v2
; %bb.341:
	v_lshlrev_b32_e32 v7, 1, v4
	ds_store_b16 v7, v3
; %bb.342:
	s_or_b32 exec_lo, exec_lo, s1
	s_delay_alu instid0(SALU_CYCLE_1)
	s_mov_b32 s1, exec_lo
	s_wait_dscnt 0x0
	s_barrier_signal -1
	s_barrier_wait -1
	v_cmpx_gt_u32_e32 8, v0
	s_cbranch_execz .LBB94_362
; %bb.343:
	v_dual_lshlrev_b32 v3, 1, v2 :: v_dual_bitop2_b32 v7, 7, v2 bitop3:0x40
	s_add_co_i32 s0, s0, 31
	s_mov_b32 s2, exec_lo
	s_lshr_b32 s0, s0, 5
	ds_load_u16 v3, v3
	v_cmp_ne_u32_e32 vcc_lo, 7, v7
	v_add_nc_u32_e32 v11, 1, v7
	v_add_co_ci_u32_e64 v9, null, 0, v2, vcc_lo
	s_delay_alu instid0(VALU_DEP_1)
	v_lshlrev_b32_e32 v10, 2, v9
	s_wait_dscnt 0x0
	v_and_b32_e32 v9, 0xffff, v3
	ds_bpermute_b32 v10, v10, v9
	v_cmpx_gt_u32_e64 s0, v11
	s_cbranch_execz .LBB94_349
; %bb.344:
	s_mov_b32 s3, exec_lo
	v_cmpx_o_f16_e32 v3, v3
	s_cbranch_execz .LBB94_348
; %bb.345:
	s_mov_b32 s4, exec_lo
	s_wait_dscnt 0x0
	v_cmpx_o_f16_e32 v10, v10
; %bb.346:
	v_cmp_gt_f16_e32 vcc_lo, v3, v10
	v_cndmask_b32_e32 v10, v3, v10, vcc_lo
; %bb.347:
	s_or_b32 exec_lo, exec_lo, s4
	s_delay_alu instid0(VALU_DEP_1)
	v_mov_b32_e32 v3, v10
.LBB94_348:
	s_or_b32 exec_lo, exec_lo, s3
	s_delay_alu instid0(VALU_DEP_1)
	v_and_b32_e32 v9, 0xffff, v3
.LBB94_349:
	s_or_b32 exec_lo, exec_lo, s2
	v_cmp_gt_u32_e32 vcc_lo, 6, v7
	v_add_nc_u32_e32 v11, 2, v7
	s_mov_b32 s2, exec_lo
	s_wait_dscnt 0x0
	v_cndmask_b32_e64 v10, 0, 2, vcc_lo
	s_delay_alu instid0(VALU_DEP_1)
	v_add_lshl_u32 v10, v10, v2, 2
	ds_bpermute_b32 v10, v10, v9
	v_cmpx_gt_u32_e64 s0, v11
	s_cbranch_execz .LBB94_355
; %bb.350:
	s_mov_b32 s3, exec_lo
	v_cmpx_o_f16_e32 v3, v3
	s_cbranch_execz .LBB94_354
; %bb.351:
	s_mov_b32 s4, exec_lo
	s_wait_dscnt 0x0
	v_cmpx_o_f16_e32 v10, v10
; %bb.352:
	v_cmp_gt_f16_e32 vcc_lo, v3, v10
	v_cndmask_b32_e32 v10, v3, v10, vcc_lo
; %bb.353:
	s_or_b32 exec_lo, exec_lo, s4
	s_delay_alu instid0(VALU_DEP_1)
	v_mov_b32_e32 v3, v10
.LBB94_354:
	s_or_b32 exec_lo, exec_lo, s3
	s_delay_alu instid0(VALU_DEP_1)
	v_and_b32_e32 v9, 0xffff, v3
.LBB94_355:
	s_or_b32 exec_lo, exec_lo, s2
	v_dual_add_nc_u32 v7, 4, v7 :: v_dual_bitop2_b32 v8, 16, v8 bitop3:0x54
	ds_bpermute_b32 v8, v8, v9
	v_cmp_gt_u32_e32 vcc_lo, s0, v7
	s_and_saveexec_b32 s0, vcc_lo
	s_cbranch_execz .LBB94_361
; %bb.356:
	s_mov_b32 s2, exec_lo
	v_cmpx_o_f16_e32 v3, v3
	s_cbranch_execz .LBB94_360
; %bb.357:
	s_mov_b32 s3, exec_lo
	s_wait_dscnt 0x0
	v_cmpx_o_f16_e32 v8, v8
; %bb.358:
	v_cmp_gt_f16_e32 vcc_lo, v3, v8
	v_cndmask_b32_e32 v8, v3, v8, vcc_lo
; %bb.359:
	s_or_b32 exec_lo, exec_lo, s3
	s_delay_alu instid0(VALU_DEP_1)
	v_mov_b32_e32 v3, v8
.LBB94_360:
	s_or_b32 exec_lo, exec_lo, s2
.LBB94_361:
	s_delay_alu instid0(SALU_CYCLE_1)
	s_or_b32 exec_lo, exec_lo, s0
.LBB94_362:
	s_delay_alu instid0(SALU_CYCLE_1)
	s_or_b32 exec_lo, exec_lo, s1
	s_mov_b32 s1, 0
.LBB94_363:
	s_delay_alu instid0(SALU_CYCLE_1)
	s_and_b32 vcc_lo, exec_lo, s1
	s_cbranch_vccz .LBB94_401
; %bb.364:
	v_mov_b32_dpp v3, v6 quad_perm:[1,0,3,2] row_mask:0xf bank_mask:0xf
	s_mov_b32 s0, exec_lo
	s_delay_alu instid0(VALU_DEP_1)
	v_cmpx_o_f16_e32 v3, v3
	s_cbranch_execz .LBB94_368
; %bb.365:
	s_mov_b32 s1, exec_lo
	v_cmpx_o_f16_e32 v5, v5
; %bb.366:
	v_cmp_lt_f16_e32 vcc_lo, v5, v3
	v_cndmask_b32_e32 v5, v3, v5, vcc_lo
; %bb.367:
	s_or_b32 exec_lo, exec_lo, s1
	s_delay_alu instid0(VALU_DEP_1)
	v_mov_b32_e32 v3, v5
.LBB94_368:
	s_or_b32 exec_lo, exec_lo, s0
	s_delay_alu instid0(VALU_DEP_1) | instskip(SKIP_1) | instid1(VALU_DEP_1)
	v_and_b32_e32 v5, 0xffff, v3
	s_mov_b32 s0, exec_lo
	v_mov_b32_dpp v5, v5 quad_perm:[2,3,0,1] row_mask:0xf bank_mask:0xf
	s_delay_alu instid0(VALU_DEP_1)
	v_cmpx_o_f16_e32 v5, v5
	s_cbranch_execz .LBB94_372
; %bb.369:
	s_mov_b32 s1, exec_lo
	v_cmpx_o_f16_e32 v3, v3
; %bb.370:
	v_cmp_lt_f16_e32 vcc_lo, v3, v5
	v_cndmask_b32_e32 v3, v5, v3, vcc_lo
; %bb.371:
	s_or_b32 exec_lo, exec_lo, s1
	s_delay_alu instid0(VALU_DEP_1)
	v_mov_b32_e32 v5, v3
.LBB94_372:
	s_or_b32 exec_lo, exec_lo, s0
	s_delay_alu instid0(VALU_DEP_1) | instskip(SKIP_1) | instid1(VALU_DEP_1)
	v_and_b32_e32 v3, 0xffff, v5
	s_mov_b32 s0, exec_lo
	v_mov_b32_dpp v3, v3 row_ror:4 row_mask:0xf bank_mask:0xf
	s_delay_alu instid0(VALU_DEP_1)
	v_cmpx_o_f16_e32 v3, v3
	s_cbranch_execz .LBB94_376
; %bb.373:
	s_mov_b32 s1, exec_lo
	v_cmpx_o_f16_e32 v5, v5
; %bb.374:
	v_cmp_lt_f16_e32 vcc_lo, v5, v3
	v_cndmask_b32_e32 v5, v3, v5, vcc_lo
; %bb.375:
	s_or_b32 exec_lo, exec_lo, s1
	s_delay_alu instid0(VALU_DEP_1)
	v_mov_b32_e32 v3, v5
.LBB94_376:
	s_or_b32 exec_lo, exec_lo, s0
	s_delay_alu instid0(VALU_DEP_1) | instskip(SKIP_1) | instid1(VALU_DEP_1)
	v_and_b32_e32 v5, 0xffff, v3
	s_mov_b32 s0, exec_lo
	v_mov_b32_dpp v5, v5 row_ror:8 row_mask:0xf bank_mask:0xf
	s_delay_alu instid0(VALU_DEP_1)
	v_cmpx_o_f16_e32 v5, v5
	s_cbranch_execz .LBB94_380
; %bb.377:
	s_mov_b32 s1, exec_lo
	v_cmpx_o_f16_e32 v3, v3
; %bb.378:
	v_cmp_lt_f16_e32 vcc_lo, v3, v5
	v_cndmask_b32_e32 v3, v5, v3, vcc_lo
; %bb.379:
	s_or_b32 exec_lo, exec_lo, s1
	s_delay_alu instid0(VALU_DEP_1)
	v_mov_b32_e32 v5, v3
.LBB94_380:
	s_or_b32 exec_lo, exec_lo, s0
	s_delay_alu instid0(VALU_DEP_1)
	v_and_b32_e32 v3, 0xffff, v5
	s_mov_b32 s0, exec_lo
	ds_swizzle_b32 v3, v3 offset:swizzle(BROADCAST,32,15)
	s_wait_dscnt 0x0
	v_cmpx_o_f16_e32 v3, v3
	s_cbranch_execz .LBB94_384
; %bb.381:
	s_mov_b32 s1, exec_lo
	v_cmpx_o_f16_e32 v5, v5
; %bb.382:
	v_cmp_lt_f16_e32 vcc_lo, v5, v3
	v_cndmask_b32_e32 v5, v3, v5, vcc_lo
; %bb.383:
	s_or_b32 exec_lo, exec_lo, s1
	s_delay_alu instid0(VALU_DEP_1)
	v_mov_b32_e32 v3, v5
.LBB94_384:
	s_or_b32 exec_lo, exec_lo, s0
	s_delay_alu instid0(VALU_DEP_1)
	v_and_b32_e32 v3, 0xffff, v3
	v_mov_b32_e32 v5, 0
	s_mov_b32 s0, exec_lo
	ds_bpermute_b32 v3, v5, v3 offset:124
	v_cmpx_eq_u32_e32 0, v2
	s_cbranch_execz .LBB94_386
; %bb.385:
	v_lshlrev_b32_e32 v4, 1, v4
	s_wait_dscnt 0x0
	ds_store_b16 v4, v3
.LBB94_386:
	s_or_b32 exec_lo, exec_lo, s0
	s_delay_alu instid0(SALU_CYCLE_1)
	s_mov_b32 s0, exec_lo
	s_wait_dscnt 0x0
	s_barrier_signal -1
	s_barrier_wait -1
	v_cmpx_gt_u32_e32 32, v0
	s_cbranch_execz .LBB94_400
; %bb.387:
	v_and_b32_e32 v4, 7, v2
	s_mov_b32 s1, exec_lo
	s_delay_alu instid0(VALU_DEP_1) | instskip(SKIP_1) | instid1(VALU_DEP_1)
	v_cmp_ne_u32_e32 vcc_lo, 7, v4
	v_add_co_ci_u32_e64 v5, null, 0, v2, vcc_lo
	v_dual_lshlrev_b32 v5, 2, v5 :: v_dual_lshlrev_b32 v3, 1, v4
	ds_load_u16 v3, v3
	s_wait_dscnt 0x0
	v_and_b32_e32 v6, 0xffff, v3
	ds_bpermute_b32 v5, v5, v6
	v_cmpx_o_f16_e32 v3, v3
	s_cbranch_execz .LBB94_391
; %bb.388:
	s_mov_b32 s2, exec_lo
	s_wait_dscnt 0x0
	v_cmpx_o_f16_e32 v5, v5
; %bb.389:
	v_cmp_gt_f16_e32 vcc_lo, v3, v5
	v_cndmask_b32_e32 v5, v3, v5, vcc_lo
; %bb.390:
	s_or_b32 exec_lo, exec_lo, s2
	s_delay_alu instid0(VALU_DEP_1)
	v_mov_b32_e32 v3, v5
.LBB94_391:
	s_or_b32 exec_lo, exec_lo, s1
	v_cmp_gt_u32_e32 vcc_lo, 6, v4
	s_wait_dscnt 0x0
	s_delay_alu instid0(VALU_DEP_2) | instskip(SKIP_2) | instid1(VALU_DEP_1)
	v_and_b32_e32 v5, 0xffff, v3
	s_mov_b32 s1, exec_lo
	v_cndmask_b32_e64 v4, 0, 2, vcc_lo
	v_add_lshl_u32 v4, v4, v2, 2
	v_lshlrev_b32_e32 v2, 2, v2
	ds_bpermute_b32 v4, v4, v5
	v_cmpx_o_f16_e32 v3, v3
	s_cbranch_execz .LBB94_395
; %bb.392:
	s_mov_b32 s2, exec_lo
	s_wait_dscnt 0x0
	v_cmpx_o_f16_e32 v4, v4
; %bb.393:
	v_cmp_gt_f16_e32 vcc_lo, v3, v4
	v_cndmask_b32_e32 v4, v3, v4, vcc_lo
; %bb.394:
	s_or_b32 exec_lo, exec_lo, s2
	s_delay_alu instid0(VALU_DEP_1)
	v_mov_b32_e32 v3, v4
.LBB94_395:
	s_or_b32 exec_lo, exec_lo, s1
	v_or_b32_e32 v2, 16, v2
	s_wait_dscnt 0x0
	s_delay_alu instid0(VALU_DEP_2)
	v_and_b32_e32 v4, 0xffff, v3
	s_mov_b32 s1, exec_lo
	ds_bpermute_b32 v2, v2, v4
	v_cmpx_o_f16_e32 v3, v3
	s_cbranch_execz .LBB94_399
; %bb.396:
	s_mov_b32 s2, exec_lo
	s_wait_dscnt 0x0
	v_cmpx_o_f16_e32 v2, v2
; %bb.397:
	v_cmp_gt_f16_e32 vcc_lo, v3, v2
	v_cndmask_b32_e32 v2, v3, v2, vcc_lo
; %bb.398:
	s_or_b32 exec_lo, exec_lo, s2
	s_delay_alu instid0(VALU_DEP_1)
	v_mov_b32_e32 v3, v2
.LBB94_399:
	s_or_b32 exec_lo, exec_lo, s1
.LBB94_400:
	s_delay_alu instid0(SALU_CYCLE_1)
	s_or_b32 exec_lo, exec_lo, s0
.LBB94_401:
	s_delay_alu instid0(SALU_CYCLE_1)
	s_mov_b32 s0, exec_lo
	v_cmpx_eq_u32_e32 0, v0
	s_cbranch_execz .LBB94_407
; %bb.402:
	s_wait_loadcnt 0x0
	v_cmp_u_f16_e32 vcc_lo, v1, v1
	s_cbranch_vccnz .LBB94_406
; %bb.403:
	s_mov_b32 s1, exec_lo
	v_cmpx_o_f16_e32 v3, v3
; %bb.404:
	v_cmp_lt_f16_e32 vcc_lo, v3, v1
	v_cndmask_b32_e32 v3, v1, v3, vcc_lo
; %bb.405:
	s_or_b32 exec_lo, exec_lo, s1
	s_delay_alu instid0(VALU_DEP_1)
	v_mov_b32_e32 v1, v3
.LBB94_406:
	s_or_b32 s15, s15, exec_lo
.LBB94_407:
	s_or_b32 exec_lo, exec_lo, s0
	s_and_saveexec_b32 s0, s15
	s_cbranch_execz .LBB94_3
.LBB94_408:
	s_lshl_b64 s[0:1], s[20:21], 1
	v_mov_b32_e32 v0, 0
	s_add_nc_u64 s[0:1], s[18:19], s[0:1]
	s_lshl_b64 s[2:3], s[22:23], 1
	s_delay_alu instid0(SALU_CYCLE_1)
	s_add_nc_u64 s[0:1], s[0:1], s[2:3]
	s_wait_loadcnt 0x0
	global_store_b16 v0, v1, s[0:1]
	s_endpgm
	.section	.rodata,"a",@progbits
	.p2align	6, 0x0
	.amdhsa_kernel _ZN7rocprim17ROCPRIM_400000_NS6detail17trampoline_kernelINS0_14default_configENS1_32segmented_reduce_config_selectorIN3c104HalfEEEZNS1_21segmented_reduce_implIS3_PKS6_PS6_PKiS6_N6hipcub16HIPCUB_304000_NS6detail27convert_result_type_wrapperISA_SB_N2at6native12_GLOBAL__N_19CustomMinEEEEE10hipError_tPvRmT0_T1_jT2_SS_T4_T3_P12ihipStream_tbEUlT_E_NS1_11comp_targetILNS1_3genE0ELNS1_11target_archE4294967295ELNS1_3gpuE0ELNS1_3repE0EEENS1_30default_config_static_selectorELNS0_4arch9wavefront6targetE0EEEvSR_
		.amdhsa_group_segment_fixed_size 16
		.amdhsa_private_segment_fixed_size 0
		.amdhsa_kernarg_size 48
		.amdhsa_user_sgpr_count 2
		.amdhsa_user_sgpr_dispatch_ptr 0
		.amdhsa_user_sgpr_queue_ptr 0
		.amdhsa_user_sgpr_kernarg_segment_ptr 1
		.amdhsa_user_sgpr_dispatch_id 0
		.amdhsa_user_sgpr_kernarg_preload_length 0
		.amdhsa_user_sgpr_kernarg_preload_offset 0
		.amdhsa_user_sgpr_private_segment_size 0
		.amdhsa_wavefront_size32 1
		.amdhsa_uses_dynamic_stack 0
		.amdhsa_enable_private_segment 0
		.amdhsa_system_sgpr_workgroup_id_x 1
		.amdhsa_system_sgpr_workgroup_id_y 0
		.amdhsa_system_sgpr_workgroup_id_z 0
		.amdhsa_system_sgpr_workgroup_info 0
		.amdhsa_system_vgpr_workitem_id 0
		.amdhsa_next_free_vgpr 24
		.amdhsa_next_free_sgpr 30
		.amdhsa_named_barrier_count 0
		.amdhsa_reserve_vcc 1
		.amdhsa_float_round_mode_32 0
		.amdhsa_float_round_mode_16_64 0
		.amdhsa_float_denorm_mode_32 3
		.amdhsa_float_denorm_mode_16_64 3
		.amdhsa_fp16_overflow 0
		.amdhsa_memory_ordered 1
		.amdhsa_forward_progress 1
		.amdhsa_inst_pref_size 60
		.amdhsa_round_robin_scheduling 0
		.amdhsa_exception_fp_ieee_invalid_op 0
		.amdhsa_exception_fp_denorm_src 0
		.amdhsa_exception_fp_ieee_div_zero 0
		.amdhsa_exception_fp_ieee_overflow 0
		.amdhsa_exception_fp_ieee_underflow 0
		.amdhsa_exception_fp_ieee_inexact 0
		.amdhsa_exception_int_div_zero 0
	.end_amdhsa_kernel
	.section	.text._ZN7rocprim17ROCPRIM_400000_NS6detail17trampoline_kernelINS0_14default_configENS1_32segmented_reduce_config_selectorIN3c104HalfEEEZNS1_21segmented_reduce_implIS3_PKS6_PS6_PKiS6_N6hipcub16HIPCUB_304000_NS6detail27convert_result_type_wrapperISA_SB_N2at6native12_GLOBAL__N_19CustomMinEEEEE10hipError_tPvRmT0_T1_jT2_SS_T4_T3_P12ihipStream_tbEUlT_E_NS1_11comp_targetILNS1_3genE0ELNS1_11target_archE4294967295ELNS1_3gpuE0ELNS1_3repE0EEENS1_30default_config_static_selectorELNS0_4arch9wavefront6targetE0EEEvSR_,"axG",@progbits,_ZN7rocprim17ROCPRIM_400000_NS6detail17trampoline_kernelINS0_14default_configENS1_32segmented_reduce_config_selectorIN3c104HalfEEEZNS1_21segmented_reduce_implIS3_PKS6_PS6_PKiS6_N6hipcub16HIPCUB_304000_NS6detail27convert_result_type_wrapperISA_SB_N2at6native12_GLOBAL__N_19CustomMinEEEEE10hipError_tPvRmT0_T1_jT2_SS_T4_T3_P12ihipStream_tbEUlT_E_NS1_11comp_targetILNS1_3genE0ELNS1_11target_archE4294967295ELNS1_3gpuE0ELNS1_3repE0EEENS1_30default_config_static_selectorELNS0_4arch9wavefront6targetE0EEEvSR_,comdat
.Lfunc_end94:
	.size	_ZN7rocprim17ROCPRIM_400000_NS6detail17trampoline_kernelINS0_14default_configENS1_32segmented_reduce_config_selectorIN3c104HalfEEEZNS1_21segmented_reduce_implIS3_PKS6_PS6_PKiS6_N6hipcub16HIPCUB_304000_NS6detail27convert_result_type_wrapperISA_SB_N2at6native12_GLOBAL__N_19CustomMinEEEEE10hipError_tPvRmT0_T1_jT2_SS_T4_T3_P12ihipStream_tbEUlT_E_NS1_11comp_targetILNS1_3genE0ELNS1_11target_archE4294967295ELNS1_3gpuE0ELNS1_3repE0EEENS1_30default_config_static_selectorELNS0_4arch9wavefront6targetE0EEEvSR_, .Lfunc_end94-_ZN7rocprim17ROCPRIM_400000_NS6detail17trampoline_kernelINS0_14default_configENS1_32segmented_reduce_config_selectorIN3c104HalfEEEZNS1_21segmented_reduce_implIS3_PKS6_PS6_PKiS6_N6hipcub16HIPCUB_304000_NS6detail27convert_result_type_wrapperISA_SB_N2at6native12_GLOBAL__N_19CustomMinEEEEE10hipError_tPvRmT0_T1_jT2_SS_T4_T3_P12ihipStream_tbEUlT_E_NS1_11comp_targetILNS1_3genE0ELNS1_11target_archE4294967295ELNS1_3gpuE0ELNS1_3repE0EEENS1_30default_config_static_selectorELNS0_4arch9wavefront6targetE0EEEvSR_
                                        ; -- End function
	.set _ZN7rocprim17ROCPRIM_400000_NS6detail17trampoline_kernelINS0_14default_configENS1_32segmented_reduce_config_selectorIN3c104HalfEEEZNS1_21segmented_reduce_implIS3_PKS6_PS6_PKiS6_N6hipcub16HIPCUB_304000_NS6detail27convert_result_type_wrapperISA_SB_N2at6native12_GLOBAL__N_19CustomMinEEEEE10hipError_tPvRmT0_T1_jT2_SS_T4_T3_P12ihipStream_tbEUlT_E_NS1_11comp_targetILNS1_3genE0ELNS1_11target_archE4294967295ELNS1_3gpuE0ELNS1_3repE0EEENS1_30default_config_static_selectorELNS0_4arch9wavefront6targetE0EEEvSR_.num_vgpr, 24
	.set _ZN7rocprim17ROCPRIM_400000_NS6detail17trampoline_kernelINS0_14default_configENS1_32segmented_reduce_config_selectorIN3c104HalfEEEZNS1_21segmented_reduce_implIS3_PKS6_PS6_PKiS6_N6hipcub16HIPCUB_304000_NS6detail27convert_result_type_wrapperISA_SB_N2at6native12_GLOBAL__N_19CustomMinEEEEE10hipError_tPvRmT0_T1_jT2_SS_T4_T3_P12ihipStream_tbEUlT_E_NS1_11comp_targetILNS1_3genE0ELNS1_11target_archE4294967295ELNS1_3gpuE0ELNS1_3repE0EEENS1_30default_config_static_selectorELNS0_4arch9wavefront6targetE0EEEvSR_.num_agpr, 0
	.set _ZN7rocprim17ROCPRIM_400000_NS6detail17trampoline_kernelINS0_14default_configENS1_32segmented_reduce_config_selectorIN3c104HalfEEEZNS1_21segmented_reduce_implIS3_PKS6_PS6_PKiS6_N6hipcub16HIPCUB_304000_NS6detail27convert_result_type_wrapperISA_SB_N2at6native12_GLOBAL__N_19CustomMinEEEEE10hipError_tPvRmT0_T1_jT2_SS_T4_T3_P12ihipStream_tbEUlT_E_NS1_11comp_targetILNS1_3genE0ELNS1_11target_archE4294967295ELNS1_3gpuE0ELNS1_3repE0EEENS1_30default_config_static_selectorELNS0_4arch9wavefront6targetE0EEEvSR_.numbered_sgpr, 30
	.set _ZN7rocprim17ROCPRIM_400000_NS6detail17trampoline_kernelINS0_14default_configENS1_32segmented_reduce_config_selectorIN3c104HalfEEEZNS1_21segmented_reduce_implIS3_PKS6_PS6_PKiS6_N6hipcub16HIPCUB_304000_NS6detail27convert_result_type_wrapperISA_SB_N2at6native12_GLOBAL__N_19CustomMinEEEEE10hipError_tPvRmT0_T1_jT2_SS_T4_T3_P12ihipStream_tbEUlT_E_NS1_11comp_targetILNS1_3genE0ELNS1_11target_archE4294967295ELNS1_3gpuE0ELNS1_3repE0EEENS1_30default_config_static_selectorELNS0_4arch9wavefront6targetE0EEEvSR_.num_named_barrier, 0
	.set _ZN7rocprim17ROCPRIM_400000_NS6detail17trampoline_kernelINS0_14default_configENS1_32segmented_reduce_config_selectorIN3c104HalfEEEZNS1_21segmented_reduce_implIS3_PKS6_PS6_PKiS6_N6hipcub16HIPCUB_304000_NS6detail27convert_result_type_wrapperISA_SB_N2at6native12_GLOBAL__N_19CustomMinEEEEE10hipError_tPvRmT0_T1_jT2_SS_T4_T3_P12ihipStream_tbEUlT_E_NS1_11comp_targetILNS1_3genE0ELNS1_11target_archE4294967295ELNS1_3gpuE0ELNS1_3repE0EEENS1_30default_config_static_selectorELNS0_4arch9wavefront6targetE0EEEvSR_.private_seg_size, 0
	.set _ZN7rocprim17ROCPRIM_400000_NS6detail17trampoline_kernelINS0_14default_configENS1_32segmented_reduce_config_selectorIN3c104HalfEEEZNS1_21segmented_reduce_implIS3_PKS6_PS6_PKiS6_N6hipcub16HIPCUB_304000_NS6detail27convert_result_type_wrapperISA_SB_N2at6native12_GLOBAL__N_19CustomMinEEEEE10hipError_tPvRmT0_T1_jT2_SS_T4_T3_P12ihipStream_tbEUlT_E_NS1_11comp_targetILNS1_3genE0ELNS1_11target_archE4294967295ELNS1_3gpuE0ELNS1_3repE0EEENS1_30default_config_static_selectorELNS0_4arch9wavefront6targetE0EEEvSR_.uses_vcc, 1
	.set _ZN7rocprim17ROCPRIM_400000_NS6detail17trampoline_kernelINS0_14default_configENS1_32segmented_reduce_config_selectorIN3c104HalfEEEZNS1_21segmented_reduce_implIS3_PKS6_PS6_PKiS6_N6hipcub16HIPCUB_304000_NS6detail27convert_result_type_wrapperISA_SB_N2at6native12_GLOBAL__N_19CustomMinEEEEE10hipError_tPvRmT0_T1_jT2_SS_T4_T3_P12ihipStream_tbEUlT_E_NS1_11comp_targetILNS1_3genE0ELNS1_11target_archE4294967295ELNS1_3gpuE0ELNS1_3repE0EEENS1_30default_config_static_selectorELNS0_4arch9wavefront6targetE0EEEvSR_.uses_flat_scratch, 0
	.set _ZN7rocprim17ROCPRIM_400000_NS6detail17trampoline_kernelINS0_14default_configENS1_32segmented_reduce_config_selectorIN3c104HalfEEEZNS1_21segmented_reduce_implIS3_PKS6_PS6_PKiS6_N6hipcub16HIPCUB_304000_NS6detail27convert_result_type_wrapperISA_SB_N2at6native12_GLOBAL__N_19CustomMinEEEEE10hipError_tPvRmT0_T1_jT2_SS_T4_T3_P12ihipStream_tbEUlT_E_NS1_11comp_targetILNS1_3genE0ELNS1_11target_archE4294967295ELNS1_3gpuE0ELNS1_3repE0EEENS1_30default_config_static_selectorELNS0_4arch9wavefront6targetE0EEEvSR_.has_dyn_sized_stack, 0
	.set _ZN7rocprim17ROCPRIM_400000_NS6detail17trampoline_kernelINS0_14default_configENS1_32segmented_reduce_config_selectorIN3c104HalfEEEZNS1_21segmented_reduce_implIS3_PKS6_PS6_PKiS6_N6hipcub16HIPCUB_304000_NS6detail27convert_result_type_wrapperISA_SB_N2at6native12_GLOBAL__N_19CustomMinEEEEE10hipError_tPvRmT0_T1_jT2_SS_T4_T3_P12ihipStream_tbEUlT_E_NS1_11comp_targetILNS1_3genE0ELNS1_11target_archE4294967295ELNS1_3gpuE0ELNS1_3repE0EEENS1_30default_config_static_selectorELNS0_4arch9wavefront6targetE0EEEvSR_.has_recursion, 0
	.set _ZN7rocprim17ROCPRIM_400000_NS6detail17trampoline_kernelINS0_14default_configENS1_32segmented_reduce_config_selectorIN3c104HalfEEEZNS1_21segmented_reduce_implIS3_PKS6_PS6_PKiS6_N6hipcub16HIPCUB_304000_NS6detail27convert_result_type_wrapperISA_SB_N2at6native12_GLOBAL__N_19CustomMinEEEEE10hipError_tPvRmT0_T1_jT2_SS_T4_T3_P12ihipStream_tbEUlT_E_NS1_11comp_targetILNS1_3genE0ELNS1_11target_archE4294967295ELNS1_3gpuE0ELNS1_3repE0EEENS1_30default_config_static_selectorELNS0_4arch9wavefront6targetE0EEEvSR_.has_indirect_call, 0
	.section	.AMDGPU.csdata,"",@progbits
; Kernel info:
; codeLenInByte = 7612
; TotalNumSgprs: 32
; NumVgprs: 24
; ScratchSize: 0
; MemoryBound: 0
; FloatMode: 240
; IeeeMode: 1
; LDSByteSize: 16 bytes/workgroup (compile time only)
; SGPRBlocks: 0
; VGPRBlocks: 1
; NumSGPRsForWavesPerEU: 32
; NumVGPRsForWavesPerEU: 24
; NamedBarCnt: 0
; Occupancy: 16
; WaveLimiterHint : 1
; COMPUTE_PGM_RSRC2:SCRATCH_EN: 0
; COMPUTE_PGM_RSRC2:USER_SGPR: 2
; COMPUTE_PGM_RSRC2:TRAP_HANDLER: 0
; COMPUTE_PGM_RSRC2:TGID_X_EN: 1
; COMPUTE_PGM_RSRC2:TGID_Y_EN: 0
; COMPUTE_PGM_RSRC2:TGID_Z_EN: 0
; COMPUTE_PGM_RSRC2:TIDIG_COMP_CNT: 0
	.section	.text._ZN7rocprim17ROCPRIM_400000_NS6detail17trampoline_kernelINS0_14default_configENS1_32segmented_reduce_config_selectorIN3c104HalfEEEZNS1_21segmented_reduce_implIS3_PKS6_PS6_PKiS6_N6hipcub16HIPCUB_304000_NS6detail27convert_result_type_wrapperISA_SB_N2at6native12_GLOBAL__N_19CustomMinEEEEE10hipError_tPvRmT0_T1_jT2_SS_T4_T3_P12ihipStream_tbEUlT_E_NS1_11comp_targetILNS1_3genE5ELNS1_11target_archE942ELNS1_3gpuE9ELNS1_3repE0EEENS1_30default_config_static_selectorELNS0_4arch9wavefront6targetE0EEEvSR_,"axG",@progbits,_ZN7rocprim17ROCPRIM_400000_NS6detail17trampoline_kernelINS0_14default_configENS1_32segmented_reduce_config_selectorIN3c104HalfEEEZNS1_21segmented_reduce_implIS3_PKS6_PS6_PKiS6_N6hipcub16HIPCUB_304000_NS6detail27convert_result_type_wrapperISA_SB_N2at6native12_GLOBAL__N_19CustomMinEEEEE10hipError_tPvRmT0_T1_jT2_SS_T4_T3_P12ihipStream_tbEUlT_E_NS1_11comp_targetILNS1_3genE5ELNS1_11target_archE942ELNS1_3gpuE9ELNS1_3repE0EEENS1_30default_config_static_selectorELNS0_4arch9wavefront6targetE0EEEvSR_,comdat
	.globl	_ZN7rocprim17ROCPRIM_400000_NS6detail17trampoline_kernelINS0_14default_configENS1_32segmented_reduce_config_selectorIN3c104HalfEEEZNS1_21segmented_reduce_implIS3_PKS6_PS6_PKiS6_N6hipcub16HIPCUB_304000_NS6detail27convert_result_type_wrapperISA_SB_N2at6native12_GLOBAL__N_19CustomMinEEEEE10hipError_tPvRmT0_T1_jT2_SS_T4_T3_P12ihipStream_tbEUlT_E_NS1_11comp_targetILNS1_3genE5ELNS1_11target_archE942ELNS1_3gpuE9ELNS1_3repE0EEENS1_30default_config_static_selectorELNS0_4arch9wavefront6targetE0EEEvSR_ ; -- Begin function _ZN7rocprim17ROCPRIM_400000_NS6detail17trampoline_kernelINS0_14default_configENS1_32segmented_reduce_config_selectorIN3c104HalfEEEZNS1_21segmented_reduce_implIS3_PKS6_PS6_PKiS6_N6hipcub16HIPCUB_304000_NS6detail27convert_result_type_wrapperISA_SB_N2at6native12_GLOBAL__N_19CustomMinEEEEE10hipError_tPvRmT0_T1_jT2_SS_T4_T3_P12ihipStream_tbEUlT_E_NS1_11comp_targetILNS1_3genE5ELNS1_11target_archE942ELNS1_3gpuE9ELNS1_3repE0EEENS1_30default_config_static_selectorELNS0_4arch9wavefront6targetE0EEEvSR_
	.p2align	8
	.type	_ZN7rocprim17ROCPRIM_400000_NS6detail17trampoline_kernelINS0_14default_configENS1_32segmented_reduce_config_selectorIN3c104HalfEEEZNS1_21segmented_reduce_implIS3_PKS6_PS6_PKiS6_N6hipcub16HIPCUB_304000_NS6detail27convert_result_type_wrapperISA_SB_N2at6native12_GLOBAL__N_19CustomMinEEEEE10hipError_tPvRmT0_T1_jT2_SS_T4_T3_P12ihipStream_tbEUlT_E_NS1_11comp_targetILNS1_3genE5ELNS1_11target_archE942ELNS1_3gpuE9ELNS1_3repE0EEENS1_30default_config_static_selectorELNS0_4arch9wavefront6targetE0EEEvSR_,@function
_ZN7rocprim17ROCPRIM_400000_NS6detail17trampoline_kernelINS0_14default_configENS1_32segmented_reduce_config_selectorIN3c104HalfEEEZNS1_21segmented_reduce_implIS3_PKS6_PS6_PKiS6_N6hipcub16HIPCUB_304000_NS6detail27convert_result_type_wrapperISA_SB_N2at6native12_GLOBAL__N_19CustomMinEEEEE10hipError_tPvRmT0_T1_jT2_SS_T4_T3_P12ihipStream_tbEUlT_E_NS1_11comp_targetILNS1_3genE5ELNS1_11target_archE942ELNS1_3gpuE9ELNS1_3repE0EEENS1_30default_config_static_selectorELNS0_4arch9wavefront6targetE0EEEvSR_: ; @_ZN7rocprim17ROCPRIM_400000_NS6detail17trampoline_kernelINS0_14default_configENS1_32segmented_reduce_config_selectorIN3c104HalfEEEZNS1_21segmented_reduce_implIS3_PKS6_PS6_PKiS6_N6hipcub16HIPCUB_304000_NS6detail27convert_result_type_wrapperISA_SB_N2at6native12_GLOBAL__N_19CustomMinEEEEE10hipError_tPvRmT0_T1_jT2_SS_T4_T3_P12ihipStream_tbEUlT_E_NS1_11comp_targetILNS1_3genE5ELNS1_11target_archE942ELNS1_3gpuE9ELNS1_3repE0EEENS1_30default_config_static_selectorELNS0_4arch9wavefront6targetE0EEEvSR_
; %bb.0:
	.section	.rodata,"a",@progbits
	.p2align	6, 0x0
	.amdhsa_kernel _ZN7rocprim17ROCPRIM_400000_NS6detail17trampoline_kernelINS0_14default_configENS1_32segmented_reduce_config_selectorIN3c104HalfEEEZNS1_21segmented_reduce_implIS3_PKS6_PS6_PKiS6_N6hipcub16HIPCUB_304000_NS6detail27convert_result_type_wrapperISA_SB_N2at6native12_GLOBAL__N_19CustomMinEEEEE10hipError_tPvRmT0_T1_jT2_SS_T4_T3_P12ihipStream_tbEUlT_E_NS1_11comp_targetILNS1_3genE5ELNS1_11target_archE942ELNS1_3gpuE9ELNS1_3repE0EEENS1_30default_config_static_selectorELNS0_4arch9wavefront6targetE0EEEvSR_
		.amdhsa_group_segment_fixed_size 0
		.amdhsa_private_segment_fixed_size 0
		.amdhsa_kernarg_size 48
		.amdhsa_user_sgpr_count 2
		.amdhsa_user_sgpr_dispatch_ptr 0
		.amdhsa_user_sgpr_queue_ptr 0
		.amdhsa_user_sgpr_kernarg_segment_ptr 1
		.amdhsa_user_sgpr_dispatch_id 0
		.amdhsa_user_sgpr_kernarg_preload_length 0
		.amdhsa_user_sgpr_kernarg_preload_offset 0
		.amdhsa_user_sgpr_private_segment_size 0
		.amdhsa_wavefront_size32 1
		.amdhsa_uses_dynamic_stack 0
		.amdhsa_enable_private_segment 0
		.amdhsa_system_sgpr_workgroup_id_x 1
		.amdhsa_system_sgpr_workgroup_id_y 0
		.amdhsa_system_sgpr_workgroup_id_z 0
		.amdhsa_system_sgpr_workgroup_info 0
		.amdhsa_system_vgpr_workitem_id 0
		.amdhsa_next_free_vgpr 1
		.amdhsa_next_free_sgpr 1
		.amdhsa_named_barrier_count 0
		.amdhsa_reserve_vcc 0
		.amdhsa_float_round_mode_32 0
		.amdhsa_float_round_mode_16_64 0
		.amdhsa_float_denorm_mode_32 3
		.amdhsa_float_denorm_mode_16_64 3
		.amdhsa_fp16_overflow 0
		.amdhsa_memory_ordered 1
		.amdhsa_forward_progress 1
		.amdhsa_inst_pref_size 0
		.amdhsa_round_robin_scheduling 0
		.amdhsa_exception_fp_ieee_invalid_op 0
		.amdhsa_exception_fp_denorm_src 0
		.amdhsa_exception_fp_ieee_div_zero 0
		.amdhsa_exception_fp_ieee_overflow 0
		.amdhsa_exception_fp_ieee_underflow 0
		.amdhsa_exception_fp_ieee_inexact 0
		.amdhsa_exception_int_div_zero 0
	.end_amdhsa_kernel
	.section	.text._ZN7rocprim17ROCPRIM_400000_NS6detail17trampoline_kernelINS0_14default_configENS1_32segmented_reduce_config_selectorIN3c104HalfEEEZNS1_21segmented_reduce_implIS3_PKS6_PS6_PKiS6_N6hipcub16HIPCUB_304000_NS6detail27convert_result_type_wrapperISA_SB_N2at6native12_GLOBAL__N_19CustomMinEEEEE10hipError_tPvRmT0_T1_jT2_SS_T4_T3_P12ihipStream_tbEUlT_E_NS1_11comp_targetILNS1_3genE5ELNS1_11target_archE942ELNS1_3gpuE9ELNS1_3repE0EEENS1_30default_config_static_selectorELNS0_4arch9wavefront6targetE0EEEvSR_,"axG",@progbits,_ZN7rocprim17ROCPRIM_400000_NS6detail17trampoline_kernelINS0_14default_configENS1_32segmented_reduce_config_selectorIN3c104HalfEEEZNS1_21segmented_reduce_implIS3_PKS6_PS6_PKiS6_N6hipcub16HIPCUB_304000_NS6detail27convert_result_type_wrapperISA_SB_N2at6native12_GLOBAL__N_19CustomMinEEEEE10hipError_tPvRmT0_T1_jT2_SS_T4_T3_P12ihipStream_tbEUlT_E_NS1_11comp_targetILNS1_3genE5ELNS1_11target_archE942ELNS1_3gpuE9ELNS1_3repE0EEENS1_30default_config_static_selectorELNS0_4arch9wavefront6targetE0EEEvSR_,comdat
.Lfunc_end95:
	.size	_ZN7rocprim17ROCPRIM_400000_NS6detail17trampoline_kernelINS0_14default_configENS1_32segmented_reduce_config_selectorIN3c104HalfEEEZNS1_21segmented_reduce_implIS3_PKS6_PS6_PKiS6_N6hipcub16HIPCUB_304000_NS6detail27convert_result_type_wrapperISA_SB_N2at6native12_GLOBAL__N_19CustomMinEEEEE10hipError_tPvRmT0_T1_jT2_SS_T4_T3_P12ihipStream_tbEUlT_E_NS1_11comp_targetILNS1_3genE5ELNS1_11target_archE942ELNS1_3gpuE9ELNS1_3repE0EEENS1_30default_config_static_selectorELNS0_4arch9wavefront6targetE0EEEvSR_, .Lfunc_end95-_ZN7rocprim17ROCPRIM_400000_NS6detail17trampoline_kernelINS0_14default_configENS1_32segmented_reduce_config_selectorIN3c104HalfEEEZNS1_21segmented_reduce_implIS3_PKS6_PS6_PKiS6_N6hipcub16HIPCUB_304000_NS6detail27convert_result_type_wrapperISA_SB_N2at6native12_GLOBAL__N_19CustomMinEEEEE10hipError_tPvRmT0_T1_jT2_SS_T4_T3_P12ihipStream_tbEUlT_E_NS1_11comp_targetILNS1_3genE5ELNS1_11target_archE942ELNS1_3gpuE9ELNS1_3repE0EEENS1_30default_config_static_selectorELNS0_4arch9wavefront6targetE0EEEvSR_
                                        ; -- End function
	.set _ZN7rocprim17ROCPRIM_400000_NS6detail17trampoline_kernelINS0_14default_configENS1_32segmented_reduce_config_selectorIN3c104HalfEEEZNS1_21segmented_reduce_implIS3_PKS6_PS6_PKiS6_N6hipcub16HIPCUB_304000_NS6detail27convert_result_type_wrapperISA_SB_N2at6native12_GLOBAL__N_19CustomMinEEEEE10hipError_tPvRmT0_T1_jT2_SS_T4_T3_P12ihipStream_tbEUlT_E_NS1_11comp_targetILNS1_3genE5ELNS1_11target_archE942ELNS1_3gpuE9ELNS1_3repE0EEENS1_30default_config_static_selectorELNS0_4arch9wavefront6targetE0EEEvSR_.num_vgpr, 0
	.set _ZN7rocprim17ROCPRIM_400000_NS6detail17trampoline_kernelINS0_14default_configENS1_32segmented_reduce_config_selectorIN3c104HalfEEEZNS1_21segmented_reduce_implIS3_PKS6_PS6_PKiS6_N6hipcub16HIPCUB_304000_NS6detail27convert_result_type_wrapperISA_SB_N2at6native12_GLOBAL__N_19CustomMinEEEEE10hipError_tPvRmT0_T1_jT2_SS_T4_T3_P12ihipStream_tbEUlT_E_NS1_11comp_targetILNS1_3genE5ELNS1_11target_archE942ELNS1_3gpuE9ELNS1_3repE0EEENS1_30default_config_static_selectorELNS0_4arch9wavefront6targetE0EEEvSR_.num_agpr, 0
	.set _ZN7rocprim17ROCPRIM_400000_NS6detail17trampoline_kernelINS0_14default_configENS1_32segmented_reduce_config_selectorIN3c104HalfEEEZNS1_21segmented_reduce_implIS3_PKS6_PS6_PKiS6_N6hipcub16HIPCUB_304000_NS6detail27convert_result_type_wrapperISA_SB_N2at6native12_GLOBAL__N_19CustomMinEEEEE10hipError_tPvRmT0_T1_jT2_SS_T4_T3_P12ihipStream_tbEUlT_E_NS1_11comp_targetILNS1_3genE5ELNS1_11target_archE942ELNS1_3gpuE9ELNS1_3repE0EEENS1_30default_config_static_selectorELNS0_4arch9wavefront6targetE0EEEvSR_.numbered_sgpr, 0
	.set _ZN7rocprim17ROCPRIM_400000_NS6detail17trampoline_kernelINS0_14default_configENS1_32segmented_reduce_config_selectorIN3c104HalfEEEZNS1_21segmented_reduce_implIS3_PKS6_PS6_PKiS6_N6hipcub16HIPCUB_304000_NS6detail27convert_result_type_wrapperISA_SB_N2at6native12_GLOBAL__N_19CustomMinEEEEE10hipError_tPvRmT0_T1_jT2_SS_T4_T3_P12ihipStream_tbEUlT_E_NS1_11comp_targetILNS1_3genE5ELNS1_11target_archE942ELNS1_3gpuE9ELNS1_3repE0EEENS1_30default_config_static_selectorELNS0_4arch9wavefront6targetE0EEEvSR_.num_named_barrier, 0
	.set _ZN7rocprim17ROCPRIM_400000_NS6detail17trampoline_kernelINS0_14default_configENS1_32segmented_reduce_config_selectorIN3c104HalfEEEZNS1_21segmented_reduce_implIS3_PKS6_PS6_PKiS6_N6hipcub16HIPCUB_304000_NS6detail27convert_result_type_wrapperISA_SB_N2at6native12_GLOBAL__N_19CustomMinEEEEE10hipError_tPvRmT0_T1_jT2_SS_T4_T3_P12ihipStream_tbEUlT_E_NS1_11comp_targetILNS1_3genE5ELNS1_11target_archE942ELNS1_3gpuE9ELNS1_3repE0EEENS1_30default_config_static_selectorELNS0_4arch9wavefront6targetE0EEEvSR_.private_seg_size, 0
	.set _ZN7rocprim17ROCPRIM_400000_NS6detail17trampoline_kernelINS0_14default_configENS1_32segmented_reduce_config_selectorIN3c104HalfEEEZNS1_21segmented_reduce_implIS3_PKS6_PS6_PKiS6_N6hipcub16HIPCUB_304000_NS6detail27convert_result_type_wrapperISA_SB_N2at6native12_GLOBAL__N_19CustomMinEEEEE10hipError_tPvRmT0_T1_jT2_SS_T4_T3_P12ihipStream_tbEUlT_E_NS1_11comp_targetILNS1_3genE5ELNS1_11target_archE942ELNS1_3gpuE9ELNS1_3repE0EEENS1_30default_config_static_selectorELNS0_4arch9wavefront6targetE0EEEvSR_.uses_vcc, 0
	.set _ZN7rocprim17ROCPRIM_400000_NS6detail17trampoline_kernelINS0_14default_configENS1_32segmented_reduce_config_selectorIN3c104HalfEEEZNS1_21segmented_reduce_implIS3_PKS6_PS6_PKiS6_N6hipcub16HIPCUB_304000_NS6detail27convert_result_type_wrapperISA_SB_N2at6native12_GLOBAL__N_19CustomMinEEEEE10hipError_tPvRmT0_T1_jT2_SS_T4_T3_P12ihipStream_tbEUlT_E_NS1_11comp_targetILNS1_3genE5ELNS1_11target_archE942ELNS1_3gpuE9ELNS1_3repE0EEENS1_30default_config_static_selectorELNS0_4arch9wavefront6targetE0EEEvSR_.uses_flat_scratch, 0
	.set _ZN7rocprim17ROCPRIM_400000_NS6detail17trampoline_kernelINS0_14default_configENS1_32segmented_reduce_config_selectorIN3c104HalfEEEZNS1_21segmented_reduce_implIS3_PKS6_PS6_PKiS6_N6hipcub16HIPCUB_304000_NS6detail27convert_result_type_wrapperISA_SB_N2at6native12_GLOBAL__N_19CustomMinEEEEE10hipError_tPvRmT0_T1_jT2_SS_T4_T3_P12ihipStream_tbEUlT_E_NS1_11comp_targetILNS1_3genE5ELNS1_11target_archE942ELNS1_3gpuE9ELNS1_3repE0EEENS1_30default_config_static_selectorELNS0_4arch9wavefront6targetE0EEEvSR_.has_dyn_sized_stack, 0
	.set _ZN7rocprim17ROCPRIM_400000_NS6detail17trampoline_kernelINS0_14default_configENS1_32segmented_reduce_config_selectorIN3c104HalfEEEZNS1_21segmented_reduce_implIS3_PKS6_PS6_PKiS6_N6hipcub16HIPCUB_304000_NS6detail27convert_result_type_wrapperISA_SB_N2at6native12_GLOBAL__N_19CustomMinEEEEE10hipError_tPvRmT0_T1_jT2_SS_T4_T3_P12ihipStream_tbEUlT_E_NS1_11comp_targetILNS1_3genE5ELNS1_11target_archE942ELNS1_3gpuE9ELNS1_3repE0EEENS1_30default_config_static_selectorELNS0_4arch9wavefront6targetE0EEEvSR_.has_recursion, 0
	.set _ZN7rocprim17ROCPRIM_400000_NS6detail17trampoline_kernelINS0_14default_configENS1_32segmented_reduce_config_selectorIN3c104HalfEEEZNS1_21segmented_reduce_implIS3_PKS6_PS6_PKiS6_N6hipcub16HIPCUB_304000_NS6detail27convert_result_type_wrapperISA_SB_N2at6native12_GLOBAL__N_19CustomMinEEEEE10hipError_tPvRmT0_T1_jT2_SS_T4_T3_P12ihipStream_tbEUlT_E_NS1_11comp_targetILNS1_3genE5ELNS1_11target_archE942ELNS1_3gpuE9ELNS1_3repE0EEENS1_30default_config_static_selectorELNS0_4arch9wavefront6targetE0EEEvSR_.has_indirect_call, 0
	.section	.AMDGPU.csdata,"",@progbits
; Kernel info:
; codeLenInByte = 0
; TotalNumSgprs: 0
; NumVgprs: 0
; ScratchSize: 0
; MemoryBound: 0
; FloatMode: 240
; IeeeMode: 1
; LDSByteSize: 0 bytes/workgroup (compile time only)
; SGPRBlocks: 0
; VGPRBlocks: 0
; NumSGPRsForWavesPerEU: 1
; NumVGPRsForWavesPerEU: 1
; NamedBarCnt: 0
; Occupancy: 16
; WaveLimiterHint : 0
; COMPUTE_PGM_RSRC2:SCRATCH_EN: 0
; COMPUTE_PGM_RSRC2:USER_SGPR: 2
; COMPUTE_PGM_RSRC2:TRAP_HANDLER: 0
; COMPUTE_PGM_RSRC2:TGID_X_EN: 1
; COMPUTE_PGM_RSRC2:TGID_Y_EN: 0
; COMPUTE_PGM_RSRC2:TGID_Z_EN: 0
; COMPUTE_PGM_RSRC2:TIDIG_COMP_CNT: 0
	.section	.text._ZN7rocprim17ROCPRIM_400000_NS6detail17trampoline_kernelINS0_14default_configENS1_32segmented_reduce_config_selectorIN3c104HalfEEEZNS1_21segmented_reduce_implIS3_PKS6_PS6_PKiS6_N6hipcub16HIPCUB_304000_NS6detail27convert_result_type_wrapperISA_SB_N2at6native12_GLOBAL__N_19CustomMinEEEEE10hipError_tPvRmT0_T1_jT2_SS_T4_T3_P12ihipStream_tbEUlT_E_NS1_11comp_targetILNS1_3genE10ELNS1_11target_archE1201ELNS1_3gpuE5ELNS1_3repE0EEENS1_30default_config_static_selectorELNS0_4arch9wavefront6targetE0EEEvSR_,"axG",@progbits,_ZN7rocprim17ROCPRIM_400000_NS6detail17trampoline_kernelINS0_14default_configENS1_32segmented_reduce_config_selectorIN3c104HalfEEEZNS1_21segmented_reduce_implIS3_PKS6_PS6_PKiS6_N6hipcub16HIPCUB_304000_NS6detail27convert_result_type_wrapperISA_SB_N2at6native12_GLOBAL__N_19CustomMinEEEEE10hipError_tPvRmT0_T1_jT2_SS_T4_T3_P12ihipStream_tbEUlT_E_NS1_11comp_targetILNS1_3genE10ELNS1_11target_archE1201ELNS1_3gpuE5ELNS1_3repE0EEENS1_30default_config_static_selectorELNS0_4arch9wavefront6targetE0EEEvSR_,comdat
	.globl	_ZN7rocprim17ROCPRIM_400000_NS6detail17trampoline_kernelINS0_14default_configENS1_32segmented_reduce_config_selectorIN3c104HalfEEEZNS1_21segmented_reduce_implIS3_PKS6_PS6_PKiS6_N6hipcub16HIPCUB_304000_NS6detail27convert_result_type_wrapperISA_SB_N2at6native12_GLOBAL__N_19CustomMinEEEEE10hipError_tPvRmT0_T1_jT2_SS_T4_T3_P12ihipStream_tbEUlT_E_NS1_11comp_targetILNS1_3genE10ELNS1_11target_archE1201ELNS1_3gpuE5ELNS1_3repE0EEENS1_30default_config_static_selectorELNS0_4arch9wavefront6targetE0EEEvSR_ ; -- Begin function _ZN7rocprim17ROCPRIM_400000_NS6detail17trampoline_kernelINS0_14default_configENS1_32segmented_reduce_config_selectorIN3c104HalfEEEZNS1_21segmented_reduce_implIS3_PKS6_PS6_PKiS6_N6hipcub16HIPCUB_304000_NS6detail27convert_result_type_wrapperISA_SB_N2at6native12_GLOBAL__N_19CustomMinEEEEE10hipError_tPvRmT0_T1_jT2_SS_T4_T3_P12ihipStream_tbEUlT_E_NS1_11comp_targetILNS1_3genE10ELNS1_11target_archE1201ELNS1_3gpuE5ELNS1_3repE0EEENS1_30default_config_static_selectorELNS0_4arch9wavefront6targetE0EEEvSR_
	.p2align	8
	.type	_ZN7rocprim17ROCPRIM_400000_NS6detail17trampoline_kernelINS0_14default_configENS1_32segmented_reduce_config_selectorIN3c104HalfEEEZNS1_21segmented_reduce_implIS3_PKS6_PS6_PKiS6_N6hipcub16HIPCUB_304000_NS6detail27convert_result_type_wrapperISA_SB_N2at6native12_GLOBAL__N_19CustomMinEEEEE10hipError_tPvRmT0_T1_jT2_SS_T4_T3_P12ihipStream_tbEUlT_E_NS1_11comp_targetILNS1_3genE10ELNS1_11target_archE1201ELNS1_3gpuE5ELNS1_3repE0EEENS1_30default_config_static_selectorELNS0_4arch9wavefront6targetE0EEEvSR_,@function
_ZN7rocprim17ROCPRIM_400000_NS6detail17trampoline_kernelINS0_14default_configENS1_32segmented_reduce_config_selectorIN3c104HalfEEEZNS1_21segmented_reduce_implIS3_PKS6_PS6_PKiS6_N6hipcub16HIPCUB_304000_NS6detail27convert_result_type_wrapperISA_SB_N2at6native12_GLOBAL__N_19CustomMinEEEEE10hipError_tPvRmT0_T1_jT2_SS_T4_T3_P12ihipStream_tbEUlT_E_NS1_11comp_targetILNS1_3genE10ELNS1_11target_archE1201ELNS1_3gpuE5ELNS1_3repE0EEENS1_30default_config_static_selectorELNS0_4arch9wavefront6targetE0EEEvSR_: ; @_ZN7rocprim17ROCPRIM_400000_NS6detail17trampoline_kernelINS0_14default_configENS1_32segmented_reduce_config_selectorIN3c104HalfEEEZNS1_21segmented_reduce_implIS3_PKS6_PS6_PKiS6_N6hipcub16HIPCUB_304000_NS6detail27convert_result_type_wrapperISA_SB_N2at6native12_GLOBAL__N_19CustomMinEEEEE10hipError_tPvRmT0_T1_jT2_SS_T4_T3_P12ihipStream_tbEUlT_E_NS1_11comp_targetILNS1_3genE10ELNS1_11target_archE1201ELNS1_3gpuE5ELNS1_3repE0EEENS1_30default_config_static_selectorELNS0_4arch9wavefront6targetE0EEEvSR_
; %bb.0:
	.section	.rodata,"a",@progbits
	.p2align	6, 0x0
	.amdhsa_kernel _ZN7rocprim17ROCPRIM_400000_NS6detail17trampoline_kernelINS0_14default_configENS1_32segmented_reduce_config_selectorIN3c104HalfEEEZNS1_21segmented_reduce_implIS3_PKS6_PS6_PKiS6_N6hipcub16HIPCUB_304000_NS6detail27convert_result_type_wrapperISA_SB_N2at6native12_GLOBAL__N_19CustomMinEEEEE10hipError_tPvRmT0_T1_jT2_SS_T4_T3_P12ihipStream_tbEUlT_E_NS1_11comp_targetILNS1_3genE10ELNS1_11target_archE1201ELNS1_3gpuE5ELNS1_3repE0EEENS1_30default_config_static_selectorELNS0_4arch9wavefront6targetE0EEEvSR_
		.amdhsa_group_segment_fixed_size 0
		.amdhsa_private_segment_fixed_size 0
		.amdhsa_kernarg_size 48
		.amdhsa_user_sgpr_count 2
		.amdhsa_user_sgpr_dispatch_ptr 0
		.amdhsa_user_sgpr_queue_ptr 0
		.amdhsa_user_sgpr_kernarg_segment_ptr 1
		.amdhsa_user_sgpr_dispatch_id 0
		.amdhsa_user_sgpr_kernarg_preload_length 0
		.amdhsa_user_sgpr_kernarg_preload_offset 0
		.amdhsa_user_sgpr_private_segment_size 0
		.amdhsa_wavefront_size32 1
		.amdhsa_uses_dynamic_stack 0
		.amdhsa_enable_private_segment 0
		.amdhsa_system_sgpr_workgroup_id_x 1
		.amdhsa_system_sgpr_workgroup_id_y 0
		.amdhsa_system_sgpr_workgroup_id_z 0
		.amdhsa_system_sgpr_workgroup_info 0
		.amdhsa_system_vgpr_workitem_id 0
		.amdhsa_next_free_vgpr 1
		.amdhsa_next_free_sgpr 1
		.amdhsa_named_barrier_count 0
		.amdhsa_reserve_vcc 0
		.amdhsa_float_round_mode_32 0
		.amdhsa_float_round_mode_16_64 0
		.amdhsa_float_denorm_mode_32 3
		.amdhsa_float_denorm_mode_16_64 3
		.amdhsa_fp16_overflow 0
		.amdhsa_memory_ordered 1
		.amdhsa_forward_progress 1
		.amdhsa_inst_pref_size 0
		.amdhsa_round_robin_scheduling 0
		.amdhsa_exception_fp_ieee_invalid_op 0
		.amdhsa_exception_fp_denorm_src 0
		.amdhsa_exception_fp_ieee_div_zero 0
		.amdhsa_exception_fp_ieee_overflow 0
		.amdhsa_exception_fp_ieee_underflow 0
		.amdhsa_exception_fp_ieee_inexact 0
		.amdhsa_exception_int_div_zero 0
	.end_amdhsa_kernel
	.section	.text._ZN7rocprim17ROCPRIM_400000_NS6detail17trampoline_kernelINS0_14default_configENS1_32segmented_reduce_config_selectorIN3c104HalfEEEZNS1_21segmented_reduce_implIS3_PKS6_PS6_PKiS6_N6hipcub16HIPCUB_304000_NS6detail27convert_result_type_wrapperISA_SB_N2at6native12_GLOBAL__N_19CustomMinEEEEE10hipError_tPvRmT0_T1_jT2_SS_T4_T3_P12ihipStream_tbEUlT_E_NS1_11comp_targetILNS1_3genE10ELNS1_11target_archE1201ELNS1_3gpuE5ELNS1_3repE0EEENS1_30default_config_static_selectorELNS0_4arch9wavefront6targetE0EEEvSR_,"axG",@progbits,_ZN7rocprim17ROCPRIM_400000_NS6detail17trampoline_kernelINS0_14default_configENS1_32segmented_reduce_config_selectorIN3c104HalfEEEZNS1_21segmented_reduce_implIS3_PKS6_PS6_PKiS6_N6hipcub16HIPCUB_304000_NS6detail27convert_result_type_wrapperISA_SB_N2at6native12_GLOBAL__N_19CustomMinEEEEE10hipError_tPvRmT0_T1_jT2_SS_T4_T3_P12ihipStream_tbEUlT_E_NS1_11comp_targetILNS1_3genE10ELNS1_11target_archE1201ELNS1_3gpuE5ELNS1_3repE0EEENS1_30default_config_static_selectorELNS0_4arch9wavefront6targetE0EEEvSR_,comdat
.Lfunc_end96:
	.size	_ZN7rocprim17ROCPRIM_400000_NS6detail17trampoline_kernelINS0_14default_configENS1_32segmented_reduce_config_selectorIN3c104HalfEEEZNS1_21segmented_reduce_implIS3_PKS6_PS6_PKiS6_N6hipcub16HIPCUB_304000_NS6detail27convert_result_type_wrapperISA_SB_N2at6native12_GLOBAL__N_19CustomMinEEEEE10hipError_tPvRmT0_T1_jT2_SS_T4_T3_P12ihipStream_tbEUlT_E_NS1_11comp_targetILNS1_3genE10ELNS1_11target_archE1201ELNS1_3gpuE5ELNS1_3repE0EEENS1_30default_config_static_selectorELNS0_4arch9wavefront6targetE0EEEvSR_, .Lfunc_end96-_ZN7rocprim17ROCPRIM_400000_NS6detail17trampoline_kernelINS0_14default_configENS1_32segmented_reduce_config_selectorIN3c104HalfEEEZNS1_21segmented_reduce_implIS3_PKS6_PS6_PKiS6_N6hipcub16HIPCUB_304000_NS6detail27convert_result_type_wrapperISA_SB_N2at6native12_GLOBAL__N_19CustomMinEEEEE10hipError_tPvRmT0_T1_jT2_SS_T4_T3_P12ihipStream_tbEUlT_E_NS1_11comp_targetILNS1_3genE10ELNS1_11target_archE1201ELNS1_3gpuE5ELNS1_3repE0EEENS1_30default_config_static_selectorELNS0_4arch9wavefront6targetE0EEEvSR_
                                        ; -- End function
	.set _ZN7rocprim17ROCPRIM_400000_NS6detail17trampoline_kernelINS0_14default_configENS1_32segmented_reduce_config_selectorIN3c104HalfEEEZNS1_21segmented_reduce_implIS3_PKS6_PS6_PKiS6_N6hipcub16HIPCUB_304000_NS6detail27convert_result_type_wrapperISA_SB_N2at6native12_GLOBAL__N_19CustomMinEEEEE10hipError_tPvRmT0_T1_jT2_SS_T4_T3_P12ihipStream_tbEUlT_E_NS1_11comp_targetILNS1_3genE10ELNS1_11target_archE1201ELNS1_3gpuE5ELNS1_3repE0EEENS1_30default_config_static_selectorELNS0_4arch9wavefront6targetE0EEEvSR_.num_vgpr, 0
	.set _ZN7rocprim17ROCPRIM_400000_NS6detail17trampoline_kernelINS0_14default_configENS1_32segmented_reduce_config_selectorIN3c104HalfEEEZNS1_21segmented_reduce_implIS3_PKS6_PS6_PKiS6_N6hipcub16HIPCUB_304000_NS6detail27convert_result_type_wrapperISA_SB_N2at6native12_GLOBAL__N_19CustomMinEEEEE10hipError_tPvRmT0_T1_jT2_SS_T4_T3_P12ihipStream_tbEUlT_E_NS1_11comp_targetILNS1_3genE10ELNS1_11target_archE1201ELNS1_3gpuE5ELNS1_3repE0EEENS1_30default_config_static_selectorELNS0_4arch9wavefront6targetE0EEEvSR_.num_agpr, 0
	.set _ZN7rocprim17ROCPRIM_400000_NS6detail17trampoline_kernelINS0_14default_configENS1_32segmented_reduce_config_selectorIN3c104HalfEEEZNS1_21segmented_reduce_implIS3_PKS6_PS6_PKiS6_N6hipcub16HIPCUB_304000_NS6detail27convert_result_type_wrapperISA_SB_N2at6native12_GLOBAL__N_19CustomMinEEEEE10hipError_tPvRmT0_T1_jT2_SS_T4_T3_P12ihipStream_tbEUlT_E_NS1_11comp_targetILNS1_3genE10ELNS1_11target_archE1201ELNS1_3gpuE5ELNS1_3repE0EEENS1_30default_config_static_selectorELNS0_4arch9wavefront6targetE0EEEvSR_.numbered_sgpr, 0
	.set _ZN7rocprim17ROCPRIM_400000_NS6detail17trampoline_kernelINS0_14default_configENS1_32segmented_reduce_config_selectorIN3c104HalfEEEZNS1_21segmented_reduce_implIS3_PKS6_PS6_PKiS6_N6hipcub16HIPCUB_304000_NS6detail27convert_result_type_wrapperISA_SB_N2at6native12_GLOBAL__N_19CustomMinEEEEE10hipError_tPvRmT0_T1_jT2_SS_T4_T3_P12ihipStream_tbEUlT_E_NS1_11comp_targetILNS1_3genE10ELNS1_11target_archE1201ELNS1_3gpuE5ELNS1_3repE0EEENS1_30default_config_static_selectorELNS0_4arch9wavefront6targetE0EEEvSR_.num_named_barrier, 0
	.set _ZN7rocprim17ROCPRIM_400000_NS6detail17trampoline_kernelINS0_14default_configENS1_32segmented_reduce_config_selectorIN3c104HalfEEEZNS1_21segmented_reduce_implIS3_PKS6_PS6_PKiS6_N6hipcub16HIPCUB_304000_NS6detail27convert_result_type_wrapperISA_SB_N2at6native12_GLOBAL__N_19CustomMinEEEEE10hipError_tPvRmT0_T1_jT2_SS_T4_T3_P12ihipStream_tbEUlT_E_NS1_11comp_targetILNS1_3genE10ELNS1_11target_archE1201ELNS1_3gpuE5ELNS1_3repE0EEENS1_30default_config_static_selectorELNS0_4arch9wavefront6targetE0EEEvSR_.private_seg_size, 0
	.set _ZN7rocprim17ROCPRIM_400000_NS6detail17trampoline_kernelINS0_14default_configENS1_32segmented_reduce_config_selectorIN3c104HalfEEEZNS1_21segmented_reduce_implIS3_PKS6_PS6_PKiS6_N6hipcub16HIPCUB_304000_NS6detail27convert_result_type_wrapperISA_SB_N2at6native12_GLOBAL__N_19CustomMinEEEEE10hipError_tPvRmT0_T1_jT2_SS_T4_T3_P12ihipStream_tbEUlT_E_NS1_11comp_targetILNS1_3genE10ELNS1_11target_archE1201ELNS1_3gpuE5ELNS1_3repE0EEENS1_30default_config_static_selectorELNS0_4arch9wavefront6targetE0EEEvSR_.uses_vcc, 0
	.set _ZN7rocprim17ROCPRIM_400000_NS6detail17trampoline_kernelINS0_14default_configENS1_32segmented_reduce_config_selectorIN3c104HalfEEEZNS1_21segmented_reduce_implIS3_PKS6_PS6_PKiS6_N6hipcub16HIPCUB_304000_NS6detail27convert_result_type_wrapperISA_SB_N2at6native12_GLOBAL__N_19CustomMinEEEEE10hipError_tPvRmT0_T1_jT2_SS_T4_T3_P12ihipStream_tbEUlT_E_NS1_11comp_targetILNS1_3genE10ELNS1_11target_archE1201ELNS1_3gpuE5ELNS1_3repE0EEENS1_30default_config_static_selectorELNS0_4arch9wavefront6targetE0EEEvSR_.uses_flat_scratch, 0
	.set _ZN7rocprim17ROCPRIM_400000_NS6detail17trampoline_kernelINS0_14default_configENS1_32segmented_reduce_config_selectorIN3c104HalfEEEZNS1_21segmented_reduce_implIS3_PKS6_PS6_PKiS6_N6hipcub16HIPCUB_304000_NS6detail27convert_result_type_wrapperISA_SB_N2at6native12_GLOBAL__N_19CustomMinEEEEE10hipError_tPvRmT0_T1_jT2_SS_T4_T3_P12ihipStream_tbEUlT_E_NS1_11comp_targetILNS1_3genE10ELNS1_11target_archE1201ELNS1_3gpuE5ELNS1_3repE0EEENS1_30default_config_static_selectorELNS0_4arch9wavefront6targetE0EEEvSR_.has_dyn_sized_stack, 0
	.set _ZN7rocprim17ROCPRIM_400000_NS6detail17trampoline_kernelINS0_14default_configENS1_32segmented_reduce_config_selectorIN3c104HalfEEEZNS1_21segmented_reduce_implIS3_PKS6_PS6_PKiS6_N6hipcub16HIPCUB_304000_NS6detail27convert_result_type_wrapperISA_SB_N2at6native12_GLOBAL__N_19CustomMinEEEEE10hipError_tPvRmT0_T1_jT2_SS_T4_T3_P12ihipStream_tbEUlT_E_NS1_11comp_targetILNS1_3genE10ELNS1_11target_archE1201ELNS1_3gpuE5ELNS1_3repE0EEENS1_30default_config_static_selectorELNS0_4arch9wavefront6targetE0EEEvSR_.has_recursion, 0
	.set _ZN7rocprim17ROCPRIM_400000_NS6detail17trampoline_kernelINS0_14default_configENS1_32segmented_reduce_config_selectorIN3c104HalfEEEZNS1_21segmented_reduce_implIS3_PKS6_PS6_PKiS6_N6hipcub16HIPCUB_304000_NS6detail27convert_result_type_wrapperISA_SB_N2at6native12_GLOBAL__N_19CustomMinEEEEE10hipError_tPvRmT0_T1_jT2_SS_T4_T3_P12ihipStream_tbEUlT_E_NS1_11comp_targetILNS1_3genE10ELNS1_11target_archE1201ELNS1_3gpuE5ELNS1_3repE0EEENS1_30default_config_static_selectorELNS0_4arch9wavefront6targetE0EEEvSR_.has_indirect_call, 0
	.section	.AMDGPU.csdata,"",@progbits
; Kernel info:
; codeLenInByte = 0
; TotalNumSgprs: 0
; NumVgprs: 0
; ScratchSize: 0
; MemoryBound: 0
; FloatMode: 240
; IeeeMode: 1
; LDSByteSize: 0 bytes/workgroup (compile time only)
; SGPRBlocks: 0
; VGPRBlocks: 0
; NumSGPRsForWavesPerEU: 1
; NumVGPRsForWavesPerEU: 1
; NamedBarCnt: 0
; Occupancy: 16
; WaveLimiterHint : 0
; COMPUTE_PGM_RSRC2:SCRATCH_EN: 0
; COMPUTE_PGM_RSRC2:USER_SGPR: 2
; COMPUTE_PGM_RSRC2:TRAP_HANDLER: 0
; COMPUTE_PGM_RSRC2:TGID_X_EN: 1
; COMPUTE_PGM_RSRC2:TGID_Y_EN: 0
; COMPUTE_PGM_RSRC2:TGID_Z_EN: 0
; COMPUTE_PGM_RSRC2:TIDIG_COMP_CNT: 0
	.section	.text._ZN7rocprim17ROCPRIM_400000_NS6detail17trampoline_kernelINS0_14default_configENS1_32segmented_reduce_config_selectorIN3c104HalfEEEZNS1_21segmented_reduce_implIS3_PKS6_PS6_PKiS6_N6hipcub16HIPCUB_304000_NS6detail27convert_result_type_wrapperISA_SB_N2at6native12_GLOBAL__N_19CustomMinEEEEE10hipError_tPvRmT0_T1_jT2_SS_T4_T3_P12ihipStream_tbEUlT_E_NS1_11comp_targetILNS1_3genE4ELNS1_11target_archE910ELNS1_3gpuE8ELNS1_3repE0EEENS1_30default_config_static_selectorELNS0_4arch9wavefront6targetE0EEEvSR_,"axG",@progbits,_ZN7rocprim17ROCPRIM_400000_NS6detail17trampoline_kernelINS0_14default_configENS1_32segmented_reduce_config_selectorIN3c104HalfEEEZNS1_21segmented_reduce_implIS3_PKS6_PS6_PKiS6_N6hipcub16HIPCUB_304000_NS6detail27convert_result_type_wrapperISA_SB_N2at6native12_GLOBAL__N_19CustomMinEEEEE10hipError_tPvRmT0_T1_jT2_SS_T4_T3_P12ihipStream_tbEUlT_E_NS1_11comp_targetILNS1_3genE4ELNS1_11target_archE910ELNS1_3gpuE8ELNS1_3repE0EEENS1_30default_config_static_selectorELNS0_4arch9wavefront6targetE0EEEvSR_,comdat
	.globl	_ZN7rocprim17ROCPRIM_400000_NS6detail17trampoline_kernelINS0_14default_configENS1_32segmented_reduce_config_selectorIN3c104HalfEEEZNS1_21segmented_reduce_implIS3_PKS6_PS6_PKiS6_N6hipcub16HIPCUB_304000_NS6detail27convert_result_type_wrapperISA_SB_N2at6native12_GLOBAL__N_19CustomMinEEEEE10hipError_tPvRmT0_T1_jT2_SS_T4_T3_P12ihipStream_tbEUlT_E_NS1_11comp_targetILNS1_3genE4ELNS1_11target_archE910ELNS1_3gpuE8ELNS1_3repE0EEENS1_30default_config_static_selectorELNS0_4arch9wavefront6targetE0EEEvSR_ ; -- Begin function _ZN7rocprim17ROCPRIM_400000_NS6detail17trampoline_kernelINS0_14default_configENS1_32segmented_reduce_config_selectorIN3c104HalfEEEZNS1_21segmented_reduce_implIS3_PKS6_PS6_PKiS6_N6hipcub16HIPCUB_304000_NS6detail27convert_result_type_wrapperISA_SB_N2at6native12_GLOBAL__N_19CustomMinEEEEE10hipError_tPvRmT0_T1_jT2_SS_T4_T3_P12ihipStream_tbEUlT_E_NS1_11comp_targetILNS1_3genE4ELNS1_11target_archE910ELNS1_3gpuE8ELNS1_3repE0EEENS1_30default_config_static_selectorELNS0_4arch9wavefront6targetE0EEEvSR_
	.p2align	8
	.type	_ZN7rocprim17ROCPRIM_400000_NS6detail17trampoline_kernelINS0_14default_configENS1_32segmented_reduce_config_selectorIN3c104HalfEEEZNS1_21segmented_reduce_implIS3_PKS6_PS6_PKiS6_N6hipcub16HIPCUB_304000_NS6detail27convert_result_type_wrapperISA_SB_N2at6native12_GLOBAL__N_19CustomMinEEEEE10hipError_tPvRmT0_T1_jT2_SS_T4_T3_P12ihipStream_tbEUlT_E_NS1_11comp_targetILNS1_3genE4ELNS1_11target_archE910ELNS1_3gpuE8ELNS1_3repE0EEENS1_30default_config_static_selectorELNS0_4arch9wavefront6targetE0EEEvSR_,@function
_ZN7rocprim17ROCPRIM_400000_NS6detail17trampoline_kernelINS0_14default_configENS1_32segmented_reduce_config_selectorIN3c104HalfEEEZNS1_21segmented_reduce_implIS3_PKS6_PS6_PKiS6_N6hipcub16HIPCUB_304000_NS6detail27convert_result_type_wrapperISA_SB_N2at6native12_GLOBAL__N_19CustomMinEEEEE10hipError_tPvRmT0_T1_jT2_SS_T4_T3_P12ihipStream_tbEUlT_E_NS1_11comp_targetILNS1_3genE4ELNS1_11target_archE910ELNS1_3gpuE8ELNS1_3repE0EEENS1_30default_config_static_selectorELNS0_4arch9wavefront6targetE0EEEvSR_: ; @_ZN7rocprim17ROCPRIM_400000_NS6detail17trampoline_kernelINS0_14default_configENS1_32segmented_reduce_config_selectorIN3c104HalfEEEZNS1_21segmented_reduce_implIS3_PKS6_PS6_PKiS6_N6hipcub16HIPCUB_304000_NS6detail27convert_result_type_wrapperISA_SB_N2at6native12_GLOBAL__N_19CustomMinEEEEE10hipError_tPvRmT0_T1_jT2_SS_T4_T3_P12ihipStream_tbEUlT_E_NS1_11comp_targetILNS1_3genE4ELNS1_11target_archE910ELNS1_3gpuE8ELNS1_3repE0EEENS1_30default_config_static_selectorELNS0_4arch9wavefront6targetE0EEEvSR_
; %bb.0:
	.section	.rodata,"a",@progbits
	.p2align	6, 0x0
	.amdhsa_kernel _ZN7rocprim17ROCPRIM_400000_NS6detail17trampoline_kernelINS0_14default_configENS1_32segmented_reduce_config_selectorIN3c104HalfEEEZNS1_21segmented_reduce_implIS3_PKS6_PS6_PKiS6_N6hipcub16HIPCUB_304000_NS6detail27convert_result_type_wrapperISA_SB_N2at6native12_GLOBAL__N_19CustomMinEEEEE10hipError_tPvRmT0_T1_jT2_SS_T4_T3_P12ihipStream_tbEUlT_E_NS1_11comp_targetILNS1_3genE4ELNS1_11target_archE910ELNS1_3gpuE8ELNS1_3repE0EEENS1_30default_config_static_selectorELNS0_4arch9wavefront6targetE0EEEvSR_
		.amdhsa_group_segment_fixed_size 0
		.amdhsa_private_segment_fixed_size 0
		.amdhsa_kernarg_size 48
		.amdhsa_user_sgpr_count 2
		.amdhsa_user_sgpr_dispatch_ptr 0
		.amdhsa_user_sgpr_queue_ptr 0
		.amdhsa_user_sgpr_kernarg_segment_ptr 1
		.amdhsa_user_sgpr_dispatch_id 0
		.amdhsa_user_sgpr_kernarg_preload_length 0
		.amdhsa_user_sgpr_kernarg_preload_offset 0
		.amdhsa_user_sgpr_private_segment_size 0
		.amdhsa_wavefront_size32 1
		.amdhsa_uses_dynamic_stack 0
		.amdhsa_enable_private_segment 0
		.amdhsa_system_sgpr_workgroup_id_x 1
		.amdhsa_system_sgpr_workgroup_id_y 0
		.amdhsa_system_sgpr_workgroup_id_z 0
		.amdhsa_system_sgpr_workgroup_info 0
		.amdhsa_system_vgpr_workitem_id 0
		.amdhsa_next_free_vgpr 1
		.amdhsa_next_free_sgpr 1
		.amdhsa_named_barrier_count 0
		.amdhsa_reserve_vcc 0
		.amdhsa_float_round_mode_32 0
		.amdhsa_float_round_mode_16_64 0
		.amdhsa_float_denorm_mode_32 3
		.amdhsa_float_denorm_mode_16_64 3
		.amdhsa_fp16_overflow 0
		.amdhsa_memory_ordered 1
		.amdhsa_forward_progress 1
		.amdhsa_inst_pref_size 0
		.amdhsa_round_robin_scheduling 0
		.amdhsa_exception_fp_ieee_invalid_op 0
		.amdhsa_exception_fp_denorm_src 0
		.amdhsa_exception_fp_ieee_div_zero 0
		.amdhsa_exception_fp_ieee_overflow 0
		.amdhsa_exception_fp_ieee_underflow 0
		.amdhsa_exception_fp_ieee_inexact 0
		.amdhsa_exception_int_div_zero 0
	.end_amdhsa_kernel
	.section	.text._ZN7rocprim17ROCPRIM_400000_NS6detail17trampoline_kernelINS0_14default_configENS1_32segmented_reduce_config_selectorIN3c104HalfEEEZNS1_21segmented_reduce_implIS3_PKS6_PS6_PKiS6_N6hipcub16HIPCUB_304000_NS6detail27convert_result_type_wrapperISA_SB_N2at6native12_GLOBAL__N_19CustomMinEEEEE10hipError_tPvRmT0_T1_jT2_SS_T4_T3_P12ihipStream_tbEUlT_E_NS1_11comp_targetILNS1_3genE4ELNS1_11target_archE910ELNS1_3gpuE8ELNS1_3repE0EEENS1_30default_config_static_selectorELNS0_4arch9wavefront6targetE0EEEvSR_,"axG",@progbits,_ZN7rocprim17ROCPRIM_400000_NS6detail17trampoline_kernelINS0_14default_configENS1_32segmented_reduce_config_selectorIN3c104HalfEEEZNS1_21segmented_reduce_implIS3_PKS6_PS6_PKiS6_N6hipcub16HIPCUB_304000_NS6detail27convert_result_type_wrapperISA_SB_N2at6native12_GLOBAL__N_19CustomMinEEEEE10hipError_tPvRmT0_T1_jT2_SS_T4_T3_P12ihipStream_tbEUlT_E_NS1_11comp_targetILNS1_3genE4ELNS1_11target_archE910ELNS1_3gpuE8ELNS1_3repE0EEENS1_30default_config_static_selectorELNS0_4arch9wavefront6targetE0EEEvSR_,comdat
.Lfunc_end97:
	.size	_ZN7rocprim17ROCPRIM_400000_NS6detail17trampoline_kernelINS0_14default_configENS1_32segmented_reduce_config_selectorIN3c104HalfEEEZNS1_21segmented_reduce_implIS3_PKS6_PS6_PKiS6_N6hipcub16HIPCUB_304000_NS6detail27convert_result_type_wrapperISA_SB_N2at6native12_GLOBAL__N_19CustomMinEEEEE10hipError_tPvRmT0_T1_jT2_SS_T4_T3_P12ihipStream_tbEUlT_E_NS1_11comp_targetILNS1_3genE4ELNS1_11target_archE910ELNS1_3gpuE8ELNS1_3repE0EEENS1_30default_config_static_selectorELNS0_4arch9wavefront6targetE0EEEvSR_, .Lfunc_end97-_ZN7rocprim17ROCPRIM_400000_NS6detail17trampoline_kernelINS0_14default_configENS1_32segmented_reduce_config_selectorIN3c104HalfEEEZNS1_21segmented_reduce_implIS3_PKS6_PS6_PKiS6_N6hipcub16HIPCUB_304000_NS6detail27convert_result_type_wrapperISA_SB_N2at6native12_GLOBAL__N_19CustomMinEEEEE10hipError_tPvRmT0_T1_jT2_SS_T4_T3_P12ihipStream_tbEUlT_E_NS1_11comp_targetILNS1_3genE4ELNS1_11target_archE910ELNS1_3gpuE8ELNS1_3repE0EEENS1_30default_config_static_selectorELNS0_4arch9wavefront6targetE0EEEvSR_
                                        ; -- End function
	.set _ZN7rocprim17ROCPRIM_400000_NS6detail17trampoline_kernelINS0_14default_configENS1_32segmented_reduce_config_selectorIN3c104HalfEEEZNS1_21segmented_reduce_implIS3_PKS6_PS6_PKiS6_N6hipcub16HIPCUB_304000_NS6detail27convert_result_type_wrapperISA_SB_N2at6native12_GLOBAL__N_19CustomMinEEEEE10hipError_tPvRmT0_T1_jT2_SS_T4_T3_P12ihipStream_tbEUlT_E_NS1_11comp_targetILNS1_3genE4ELNS1_11target_archE910ELNS1_3gpuE8ELNS1_3repE0EEENS1_30default_config_static_selectorELNS0_4arch9wavefront6targetE0EEEvSR_.num_vgpr, 0
	.set _ZN7rocprim17ROCPRIM_400000_NS6detail17trampoline_kernelINS0_14default_configENS1_32segmented_reduce_config_selectorIN3c104HalfEEEZNS1_21segmented_reduce_implIS3_PKS6_PS6_PKiS6_N6hipcub16HIPCUB_304000_NS6detail27convert_result_type_wrapperISA_SB_N2at6native12_GLOBAL__N_19CustomMinEEEEE10hipError_tPvRmT0_T1_jT2_SS_T4_T3_P12ihipStream_tbEUlT_E_NS1_11comp_targetILNS1_3genE4ELNS1_11target_archE910ELNS1_3gpuE8ELNS1_3repE0EEENS1_30default_config_static_selectorELNS0_4arch9wavefront6targetE0EEEvSR_.num_agpr, 0
	.set _ZN7rocprim17ROCPRIM_400000_NS6detail17trampoline_kernelINS0_14default_configENS1_32segmented_reduce_config_selectorIN3c104HalfEEEZNS1_21segmented_reduce_implIS3_PKS6_PS6_PKiS6_N6hipcub16HIPCUB_304000_NS6detail27convert_result_type_wrapperISA_SB_N2at6native12_GLOBAL__N_19CustomMinEEEEE10hipError_tPvRmT0_T1_jT2_SS_T4_T3_P12ihipStream_tbEUlT_E_NS1_11comp_targetILNS1_3genE4ELNS1_11target_archE910ELNS1_3gpuE8ELNS1_3repE0EEENS1_30default_config_static_selectorELNS0_4arch9wavefront6targetE0EEEvSR_.numbered_sgpr, 0
	.set _ZN7rocprim17ROCPRIM_400000_NS6detail17trampoline_kernelINS0_14default_configENS1_32segmented_reduce_config_selectorIN3c104HalfEEEZNS1_21segmented_reduce_implIS3_PKS6_PS6_PKiS6_N6hipcub16HIPCUB_304000_NS6detail27convert_result_type_wrapperISA_SB_N2at6native12_GLOBAL__N_19CustomMinEEEEE10hipError_tPvRmT0_T1_jT2_SS_T4_T3_P12ihipStream_tbEUlT_E_NS1_11comp_targetILNS1_3genE4ELNS1_11target_archE910ELNS1_3gpuE8ELNS1_3repE0EEENS1_30default_config_static_selectorELNS0_4arch9wavefront6targetE0EEEvSR_.num_named_barrier, 0
	.set _ZN7rocprim17ROCPRIM_400000_NS6detail17trampoline_kernelINS0_14default_configENS1_32segmented_reduce_config_selectorIN3c104HalfEEEZNS1_21segmented_reduce_implIS3_PKS6_PS6_PKiS6_N6hipcub16HIPCUB_304000_NS6detail27convert_result_type_wrapperISA_SB_N2at6native12_GLOBAL__N_19CustomMinEEEEE10hipError_tPvRmT0_T1_jT2_SS_T4_T3_P12ihipStream_tbEUlT_E_NS1_11comp_targetILNS1_3genE4ELNS1_11target_archE910ELNS1_3gpuE8ELNS1_3repE0EEENS1_30default_config_static_selectorELNS0_4arch9wavefront6targetE0EEEvSR_.private_seg_size, 0
	.set _ZN7rocprim17ROCPRIM_400000_NS6detail17trampoline_kernelINS0_14default_configENS1_32segmented_reduce_config_selectorIN3c104HalfEEEZNS1_21segmented_reduce_implIS3_PKS6_PS6_PKiS6_N6hipcub16HIPCUB_304000_NS6detail27convert_result_type_wrapperISA_SB_N2at6native12_GLOBAL__N_19CustomMinEEEEE10hipError_tPvRmT0_T1_jT2_SS_T4_T3_P12ihipStream_tbEUlT_E_NS1_11comp_targetILNS1_3genE4ELNS1_11target_archE910ELNS1_3gpuE8ELNS1_3repE0EEENS1_30default_config_static_selectorELNS0_4arch9wavefront6targetE0EEEvSR_.uses_vcc, 0
	.set _ZN7rocprim17ROCPRIM_400000_NS6detail17trampoline_kernelINS0_14default_configENS1_32segmented_reduce_config_selectorIN3c104HalfEEEZNS1_21segmented_reduce_implIS3_PKS6_PS6_PKiS6_N6hipcub16HIPCUB_304000_NS6detail27convert_result_type_wrapperISA_SB_N2at6native12_GLOBAL__N_19CustomMinEEEEE10hipError_tPvRmT0_T1_jT2_SS_T4_T3_P12ihipStream_tbEUlT_E_NS1_11comp_targetILNS1_3genE4ELNS1_11target_archE910ELNS1_3gpuE8ELNS1_3repE0EEENS1_30default_config_static_selectorELNS0_4arch9wavefront6targetE0EEEvSR_.uses_flat_scratch, 0
	.set _ZN7rocprim17ROCPRIM_400000_NS6detail17trampoline_kernelINS0_14default_configENS1_32segmented_reduce_config_selectorIN3c104HalfEEEZNS1_21segmented_reduce_implIS3_PKS6_PS6_PKiS6_N6hipcub16HIPCUB_304000_NS6detail27convert_result_type_wrapperISA_SB_N2at6native12_GLOBAL__N_19CustomMinEEEEE10hipError_tPvRmT0_T1_jT2_SS_T4_T3_P12ihipStream_tbEUlT_E_NS1_11comp_targetILNS1_3genE4ELNS1_11target_archE910ELNS1_3gpuE8ELNS1_3repE0EEENS1_30default_config_static_selectorELNS0_4arch9wavefront6targetE0EEEvSR_.has_dyn_sized_stack, 0
	.set _ZN7rocprim17ROCPRIM_400000_NS6detail17trampoline_kernelINS0_14default_configENS1_32segmented_reduce_config_selectorIN3c104HalfEEEZNS1_21segmented_reduce_implIS3_PKS6_PS6_PKiS6_N6hipcub16HIPCUB_304000_NS6detail27convert_result_type_wrapperISA_SB_N2at6native12_GLOBAL__N_19CustomMinEEEEE10hipError_tPvRmT0_T1_jT2_SS_T4_T3_P12ihipStream_tbEUlT_E_NS1_11comp_targetILNS1_3genE4ELNS1_11target_archE910ELNS1_3gpuE8ELNS1_3repE0EEENS1_30default_config_static_selectorELNS0_4arch9wavefront6targetE0EEEvSR_.has_recursion, 0
	.set _ZN7rocprim17ROCPRIM_400000_NS6detail17trampoline_kernelINS0_14default_configENS1_32segmented_reduce_config_selectorIN3c104HalfEEEZNS1_21segmented_reduce_implIS3_PKS6_PS6_PKiS6_N6hipcub16HIPCUB_304000_NS6detail27convert_result_type_wrapperISA_SB_N2at6native12_GLOBAL__N_19CustomMinEEEEE10hipError_tPvRmT0_T1_jT2_SS_T4_T3_P12ihipStream_tbEUlT_E_NS1_11comp_targetILNS1_3genE4ELNS1_11target_archE910ELNS1_3gpuE8ELNS1_3repE0EEENS1_30default_config_static_selectorELNS0_4arch9wavefront6targetE0EEEvSR_.has_indirect_call, 0
	.section	.AMDGPU.csdata,"",@progbits
; Kernel info:
; codeLenInByte = 0
; TotalNumSgprs: 0
; NumVgprs: 0
; ScratchSize: 0
; MemoryBound: 0
; FloatMode: 240
; IeeeMode: 1
; LDSByteSize: 0 bytes/workgroup (compile time only)
; SGPRBlocks: 0
; VGPRBlocks: 0
; NumSGPRsForWavesPerEU: 1
; NumVGPRsForWavesPerEU: 1
; NamedBarCnt: 0
; Occupancy: 16
; WaveLimiterHint : 0
; COMPUTE_PGM_RSRC2:SCRATCH_EN: 0
; COMPUTE_PGM_RSRC2:USER_SGPR: 2
; COMPUTE_PGM_RSRC2:TRAP_HANDLER: 0
; COMPUTE_PGM_RSRC2:TGID_X_EN: 1
; COMPUTE_PGM_RSRC2:TGID_Y_EN: 0
; COMPUTE_PGM_RSRC2:TGID_Z_EN: 0
; COMPUTE_PGM_RSRC2:TIDIG_COMP_CNT: 0
	.section	.text._ZN7rocprim17ROCPRIM_400000_NS6detail17trampoline_kernelINS0_14default_configENS1_32segmented_reduce_config_selectorIN3c104HalfEEEZNS1_21segmented_reduce_implIS3_PKS6_PS6_PKiS6_N6hipcub16HIPCUB_304000_NS6detail27convert_result_type_wrapperISA_SB_N2at6native12_GLOBAL__N_19CustomMinEEEEE10hipError_tPvRmT0_T1_jT2_SS_T4_T3_P12ihipStream_tbEUlT_E_NS1_11comp_targetILNS1_3genE3ELNS1_11target_archE908ELNS1_3gpuE7ELNS1_3repE0EEENS1_30default_config_static_selectorELNS0_4arch9wavefront6targetE0EEEvSR_,"axG",@progbits,_ZN7rocprim17ROCPRIM_400000_NS6detail17trampoline_kernelINS0_14default_configENS1_32segmented_reduce_config_selectorIN3c104HalfEEEZNS1_21segmented_reduce_implIS3_PKS6_PS6_PKiS6_N6hipcub16HIPCUB_304000_NS6detail27convert_result_type_wrapperISA_SB_N2at6native12_GLOBAL__N_19CustomMinEEEEE10hipError_tPvRmT0_T1_jT2_SS_T4_T3_P12ihipStream_tbEUlT_E_NS1_11comp_targetILNS1_3genE3ELNS1_11target_archE908ELNS1_3gpuE7ELNS1_3repE0EEENS1_30default_config_static_selectorELNS0_4arch9wavefront6targetE0EEEvSR_,comdat
	.globl	_ZN7rocprim17ROCPRIM_400000_NS6detail17trampoline_kernelINS0_14default_configENS1_32segmented_reduce_config_selectorIN3c104HalfEEEZNS1_21segmented_reduce_implIS3_PKS6_PS6_PKiS6_N6hipcub16HIPCUB_304000_NS6detail27convert_result_type_wrapperISA_SB_N2at6native12_GLOBAL__N_19CustomMinEEEEE10hipError_tPvRmT0_T1_jT2_SS_T4_T3_P12ihipStream_tbEUlT_E_NS1_11comp_targetILNS1_3genE3ELNS1_11target_archE908ELNS1_3gpuE7ELNS1_3repE0EEENS1_30default_config_static_selectorELNS0_4arch9wavefront6targetE0EEEvSR_ ; -- Begin function _ZN7rocprim17ROCPRIM_400000_NS6detail17trampoline_kernelINS0_14default_configENS1_32segmented_reduce_config_selectorIN3c104HalfEEEZNS1_21segmented_reduce_implIS3_PKS6_PS6_PKiS6_N6hipcub16HIPCUB_304000_NS6detail27convert_result_type_wrapperISA_SB_N2at6native12_GLOBAL__N_19CustomMinEEEEE10hipError_tPvRmT0_T1_jT2_SS_T4_T3_P12ihipStream_tbEUlT_E_NS1_11comp_targetILNS1_3genE3ELNS1_11target_archE908ELNS1_3gpuE7ELNS1_3repE0EEENS1_30default_config_static_selectorELNS0_4arch9wavefront6targetE0EEEvSR_
	.p2align	8
	.type	_ZN7rocprim17ROCPRIM_400000_NS6detail17trampoline_kernelINS0_14default_configENS1_32segmented_reduce_config_selectorIN3c104HalfEEEZNS1_21segmented_reduce_implIS3_PKS6_PS6_PKiS6_N6hipcub16HIPCUB_304000_NS6detail27convert_result_type_wrapperISA_SB_N2at6native12_GLOBAL__N_19CustomMinEEEEE10hipError_tPvRmT0_T1_jT2_SS_T4_T3_P12ihipStream_tbEUlT_E_NS1_11comp_targetILNS1_3genE3ELNS1_11target_archE908ELNS1_3gpuE7ELNS1_3repE0EEENS1_30default_config_static_selectorELNS0_4arch9wavefront6targetE0EEEvSR_,@function
_ZN7rocprim17ROCPRIM_400000_NS6detail17trampoline_kernelINS0_14default_configENS1_32segmented_reduce_config_selectorIN3c104HalfEEEZNS1_21segmented_reduce_implIS3_PKS6_PS6_PKiS6_N6hipcub16HIPCUB_304000_NS6detail27convert_result_type_wrapperISA_SB_N2at6native12_GLOBAL__N_19CustomMinEEEEE10hipError_tPvRmT0_T1_jT2_SS_T4_T3_P12ihipStream_tbEUlT_E_NS1_11comp_targetILNS1_3genE3ELNS1_11target_archE908ELNS1_3gpuE7ELNS1_3repE0EEENS1_30default_config_static_selectorELNS0_4arch9wavefront6targetE0EEEvSR_: ; @_ZN7rocprim17ROCPRIM_400000_NS6detail17trampoline_kernelINS0_14default_configENS1_32segmented_reduce_config_selectorIN3c104HalfEEEZNS1_21segmented_reduce_implIS3_PKS6_PS6_PKiS6_N6hipcub16HIPCUB_304000_NS6detail27convert_result_type_wrapperISA_SB_N2at6native12_GLOBAL__N_19CustomMinEEEEE10hipError_tPvRmT0_T1_jT2_SS_T4_T3_P12ihipStream_tbEUlT_E_NS1_11comp_targetILNS1_3genE3ELNS1_11target_archE908ELNS1_3gpuE7ELNS1_3repE0EEENS1_30default_config_static_selectorELNS0_4arch9wavefront6targetE0EEEvSR_
; %bb.0:
	.section	.rodata,"a",@progbits
	.p2align	6, 0x0
	.amdhsa_kernel _ZN7rocprim17ROCPRIM_400000_NS6detail17trampoline_kernelINS0_14default_configENS1_32segmented_reduce_config_selectorIN3c104HalfEEEZNS1_21segmented_reduce_implIS3_PKS6_PS6_PKiS6_N6hipcub16HIPCUB_304000_NS6detail27convert_result_type_wrapperISA_SB_N2at6native12_GLOBAL__N_19CustomMinEEEEE10hipError_tPvRmT0_T1_jT2_SS_T4_T3_P12ihipStream_tbEUlT_E_NS1_11comp_targetILNS1_3genE3ELNS1_11target_archE908ELNS1_3gpuE7ELNS1_3repE0EEENS1_30default_config_static_selectorELNS0_4arch9wavefront6targetE0EEEvSR_
		.amdhsa_group_segment_fixed_size 0
		.amdhsa_private_segment_fixed_size 0
		.amdhsa_kernarg_size 48
		.amdhsa_user_sgpr_count 2
		.amdhsa_user_sgpr_dispatch_ptr 0
		.amdhsa_user_sgpr_queue_ptr 0
		.amdhsa_user_sgpr_kernarg_segment_ptr 1
		.amdhsa_user_sgpr_dispatch_id 0
		.amdhsa_user_sgpr_kernarg_preload_length 0
		.amdhsa_user_sgpr_kernarg_preload_offset 0
		.amdhsa_user_sgpr_private_segment_size 0
		.amdhsa_wavefront_size32 1
		.amdhsa_uses_dynamic_stack 0
		.amdhsa_enable_private_segment 0
		.amdhsa_system_sgpr_workgroup_id_x 1
		.amdhsa_system_sgpr_workgroup_id_y 0
		.amdhsa_system_sgpr_workgroup_id_z 0
		.amdhsa_system_sgpr_workgroup_info 0
		.amdhsa_system_vgpr_workitem_id 0
		.amdhsa_next_free_vgpr 1
		.amdhsa_next_free_sgpr 1
		.amdhsa_named_barrier_count 0
		.amdhsa_reserve_vcc 0
		.amdhsa_float_round_mode_32 0
		.amdhsa_float_round_mode_16_64 0
		.amdhsa_float_denorm_mode_32 3
		.amdhsa_float_denorm_mode_16_64 3
		.amdhsa_fp16_overflow 0
		.amdhsa_memory_ordered 1
		.amdhsa_forward_progress 1
		.amdhsa_inst_pref_size 0
		.amdhsa_round_robin_scheduling 0
		.amdhsa_exception_fp_ieee_invalid_op 0
		.amdhsa_exception_fp_denorm_src 0
		.amdhsa_exception_fp_ieee_div_zero 0
		.amdhsa_exception_fp_ieee_overflow 0
		.amdhsa_exception_fp_ieee_underflow 0
		.amdhsa_exception_fp_ieee_inexact 0
		.amdhsa_exception_int_div_zero 0
	.end_amdhsa_kernel
	.section	.text._ZN7rocprim17ROCPRIM_400000_NS6detail17trampoline_kernelINS0_14default_configENS1_32segmented_reduce_config_selectorIN3c104HalfEEEZNS1_21segmented_reduce_implIS3_PKS6_PS6_PKiS6_N6hipcub16HIPCUB_304000_NS6detail27convert_result_type_wrapperISA_SB_N2at6native12_GLOBAL__N_19CustomMinEEEEE10hipError_tPvRmT0_T1_jT2_SS_T4_T3_P12ihipStream_tbEUlT_E_NS1_11comp_targetILNS1_3genE3ELNS1_11target_archE908ELNS1_3gpuE7ELNS1_3repE0EEENS1_30default_config_static_selectorELNS0_4arch9wavefront6targetE0EEEvSR_,"axG",@progbits,_ZN7rocprim17ROCPRIM_400000_NS6detail17trampoline_kernelINS0_14default_configENS1_32segmented_reduce_config_selectorIN3c104HalfEEEZNS1_21segmented_reduce_implIS3_PKS6_PS6_PKiS6_N6hipcub16HIPCUB_304000_NS6detail27convert_result_type_wrapperISA_SB_N2at6native12_GLOBAL__N_19CustomMinEEEEE10hipError_tPvRmT0_T1_jT2_SS_T4_T3_P12ihipStream_tbEUlT_E_NS1_11comp_targetILNS1_3genE3ELNS1_11target_archE908ELNS1_3gpuE7ELNS1_3repE0EEENS1_30default_config_static_selectorELNS0_4arch9wavefront6targetE0EEEvSR_,comdat
.Lfunc_end98:
	.size	_ZN7rocprim17ROCPRIM_400000_NS6detail17trampoline_kernelINS0_14default_configENS1_32segmented_reduce_config_selectorIN3c104HalfEEEZNS1_21segmented_reduce_implIS3_PKS6_PS6_PKiS6_N6hipcub16HIPCUB_304000_NS6detail27convert_result_type_wrapperISA_SB_N2at6native12_GLOBAL__N_19CustomMinEEEEE10hipError_tPvRmT0_T1_jT2_SS_T4_T3_P12ihipStream_tbEUlT_E_NS1_11comp_targetILNS1_3genE3ELNS1_11target_archE908ELNS1_3gpuE7ELNS1_3repE0EEENS1_30default_config_static_selectorELNS0_4arch9wavefront6targetE0EEEvSR_, .Lfunc_end98-_ZN7rocprim17ROCPRIM_400000_NS6detail17trampoline_kernelINS0_14default_configENS1_32segmented_reduce_config_selectorIN3c104HalfEEEZNS1_21segmented_reduce_implIS3_PKS6_PS6_PKiS6_N6hipcub16HIPCUB_304000_NS6detail27convert_result_type_wrapperISA_SB_N2at6native12_GLOBAL__N_19CustomMinEEEEE10hipError_tPvRmT0_T1_jT2_SS_T4_T3_P12ihipStream_tbEUlT_E_NS1_11comp_targetILNS1_3genE3ELNS1_11target_archE908ELNS1_3gpuE7ELNS1_3repE0EEENS1_30default_config_static_selectorELNS0_4arch9wavefront6targetE0EEEvSR_
                                        ; -- End function
	.set _ZN7rocprim17ROCPRIM_400000_NS6detail17trampoline_kernelINS0_14default_configENS1_32segmented_reduce_config_selectorIN3c104HalfEEEZNS1_21segmented_reduce_implIS3_PKS6_PS6_PKiS6_N6hipcub16HIPCUB_304000_NS6detail27convert_result_type_wrapperISA_SB_N2at6native12_GLOBAL__N_19CustomMinEEEEE10hipError_tPvRmT0_T1_jT2_SS_T4_T3_P12ihipStream_tbEUlT_E_NS1_11comp_targetILNS1_3genE3ELNS1_11target_archE908ELNS1_3gpuE7ELNS1_3repE0EEENS1_30default_config_static_selectorELNS0_4arch9wavefront6targetE0EEEvSR_.num_vgpr, 0
	.set _ZN7rocprim17ROCPRIM_400000_NS6detail17trampoline_kernelINS0_14default_configENS1_32segmented_reduce_config_selectorIN3c104HalfEEEZNS1_21segmented_reduce_implIS3_PKS6_PS6_PKiS6_N6hipcub16HIPCUB_304000_NS6detail27convert_result_type_wrapperISA_SB_N2at6native12_GLOBAL__N_19CustomMinEEEEE10hipError_tPvRmT0_T1_jT2_SS_T4_T3_P12ihipStream_tbEUlT_E_NS1_11comp_targetILNS1_3genE3ELNS1_11target_archE908ELNS1_3gpuE7ELNS1_3repE0EEENS1_30default_config_static_selectorELNS0_4arch9wavefront6targetE0EEEvSR_.num_agpr, 0
	.set _ZN7rocprim17ROCPRIM_400000_NS6detail17trampoline_kernelINS0_14default_configENS1_32segmented_reduce_config_selectorIN3c104HalfEEEZNS1_21segmented_reduce_implIS3_PKS6_PS6_PKiS6_N6hipcub16HIPCUB_304000_NS6detail27convert_result_type_wrapperISA_SB_N2at6native12_GLOBAL__N_19CustomMinEEEEE10hipError_tPvRmT0_T1_jT2_SS_T4_T3_P12ihipStream_tbEUlT_E_NS1_11comp_targetILNS1_3genE3ELNS1_11target_archE908ELNS1_3gpuE7ELNS1_3repE0EEENS1_30default_config_static_selectorELNS0_4arch9wavefront6targetE0EEEvSR_.numbered_sgpr, 0
	.set _ZN7rocprim17ROCPRIM_400000_NS6detail17trampoline_kernelINS0_14default_configENS1_32segmented_reduce_config_selectorIN3c104HalfEEEZNS1_21segmented_reduce_implIS3_PKS6_PS6_PKiS6_N6hipcub16HIPCUB_304000_NS6detail27convert_result_type_wrapperISA_SB_N2at6native12_GLOBAL__N_19CustomMinEEEEE10hipError_tPvRmT0_T1_jT2_SS_T4_T3_P12ihipStream_tbEUlT_E_NS1_11comp_targetILNS1_3genE3ELNS1_11target_archE908ELNS1_3gpuE7ELNS1_3repE0EEENS1_30default_config_static_selectorELNS0_4arch9wavefront6targetE0EEEvSR_.num_named_barrier, 0
	.set _ZN7rocprim17ROCPRIM_400000_NS6detail17trampoline_kernelINS0_14default_configENS1_32segmented_reduce_config_selectorIN3c104HalfEEEZNS1_21segmented_reduce_implIS3_PKS6_PS6_PKiS6_N6hipcub16HIPCUB_304000_NS6detail27convert_result_type_wrapperISA_SB_N2at6native12_GLOBAL__N_19CustomMinEEEEE10hipError_tPvRmT0_T1_jT2_SS_T4_T3_P12ihipStream_tbEUlT_E_NS1_11comp_targetILNS1_3genE3ELNS1_11target_archE908ELNS1_3gpuE7ELNS1_3repE0EEENS1_30default_config_static_selectorELNS0_4arch9wavefront6targetE0EEEvSR_.private_seg_size, 0
	.set _ZN7rocprim17ROCPRIM_400000_NS6detail17trampoline_kernelINS0_14default_configENS1_32segmented_reduce_config_selectorIN3c104HalfEEEZNS1_21segmented_reduce_implIS3_PKS6_PS6_PKiS6_N6hipcub16HIPCUB_304000_NS6detail27convert_result_type_wrapperISA_SB_N2at6native12_GLOBAL__N_19CustomMinEEEEE10hipError_tPvRmT0_T1_jT2_SS_T4_T3_P12ihipStream_tbEUlT_E_NS1_11comp_targetILNS1_3genE3ELNS1_11target_archE908ELNS1_3gpuE7ELNS1_3repE0EEENS1_30default_config_static_selectorELNS0_4arch9wavefront6targetE0EEEvSR_.uses_vcc, 0
	.set _ZN7rocprim17ROCPRIM_400000_NS6detail17trampoline_kernelINS0_14default_configENS1_32segmented_reduce_config_selectorIN3c104HalfEEEZNS1_21segmented_reduce_implIS3_PKS6_PS6_PKiS6_N6hipcub16HIPCUB_304000_NS6detail27convert_result_type_wrapperISA_SB_N2at6native12_GLOBAL__N_19CustomMinEEEEE10hipError_tPvRmT0_T1_jT2_SS_T4_T3_P12ihipStream_tbEUlT_E_NS1_11comp_targetILNS1_3genE3ELNS1_11target_archE908ELNS1_3gpuE7ELNS1_3repE0EEENS1_30default_config_static_selectorELNS0_4arch9wavefront6targetE0EEEvSR_.uses_flat_scratch, 0
	.set _ZN7rocprim17ROCPRIM_400000_NS6detail17trampoline_kernelINS0_14default_configENS1_32segmented_reduce_config_selectorIN3c104HalfEEEZNS1_21segmented_reduce_implIS3_PKS6_PS6_PKiS6_N6hipcub16HIPCUB_304000_NS6detail27convert_result_type_wrapperISA_SB_N2at6native12_GLOBAL__N_19CustomMinEEEEE10hipError_tPvRmT0_T1_jT2_SS_T4_T3_P12ihipStream_tbEUlT_E_NS1_11comp_targetILNS1_3genE3ELNS1_11target_archE908ELNS1_3gpuE7ELNS1_3repE0EEENS1_30default_config_static_selectorELNS0_4arch9wavefront6targetE0EEEvSR_.has_dyn_sized_stack, 0
	.set _ZN7rocprim17ROCPRIM_400000_NS6detail17trampoline_kernelINS0_14default_configENS1_32segmented_reduce_config_selectorIN3c104HalfEEEZNS1_21segmented_reduce_implIS3_PKS6_PS6_PKiS6_N6hipcub16HIPCUB_304000_NS6detail27convert_result_type_wrapperISA_SB_N2at6native12_GLOBAL__N_19CustomMinEEEEE10hipError_tPvRmT0_T1_jT2_SS_T4_T3_P12ihipStream_tbEUlT_E_NS1_11comp_targetILNS1_3genE3ELNS1_11target_archE908ELNS1_3gpuE7ELNS1_3repE0EEENS1_30default_config_static_selectorELNS0_4arch9wavefront6targetE0EEEvSR_.has_recursion, 0
	.set _ZN7rocprim17ROCPRIM_400000_NS6detail17trampoline_kernelINS0_14default_configENS1_32segmented_reduce_config_selectorIN3c104HalfEEEZNS1_21segmented_reduce_implIS3_PKS6_PS6_PKiS6_N6hipcub16HIPCUB_304000_NS6detail27convert_result_type_wrapperISA_SB_N2at6native12_GLOBAL__N_19CustomMinEEEEE10hipError_tPvRmT0_T1_jT2_SS_T4_T3_P12ihipStream_tbEUlT_E_NS1_11comp_targetILNS1_3genE3ELNS1_11target_archE908ELNS1_3gpuE7ELNS1_3repE0EEENS1_30default_config_static_selectorELNS0_4arch9wavefront6targetE0EEEvSR_.has_indirect_call, 0
	.section	.AMDGPU.csdata,"",@progbits
; Kernel info:
; codeLenInByte = 0
; TotalNumSgprs: 0
; NumVgprs: 0
; ScratchSize: 0
; MemoryBound: 0
; FloatMode: 240
; IeeeMode: 1
; LDSByteSize: 0 bytes/workgroup (compile time only)
; SGPRBlocks: 0
; VGPRBlocks: 0
; NumSGPRsForWavesPerEU: 1
; NumVGPRsForWavesPerEU: 1
; NamedBarCnt: 0
; Occupancy: 16
; WaveLimiterHint : 0
; COMPUTE_PGM_RSRC2:SCRATCH_EN: 0
; COMPUTE_PGM_RSRC2:USER_SGPR: 2
; COMPUTE_PGM_RSRC2:TRAP_HANDLER: 0
; COMPUTE_PGM_RSRC2:TGID_X_EN: 1
; COMPUTE_PGM_RSRC2:TGID_Y_EN: 0
; COMPUTE_PGM_RSRC2:TGID_Z_EN: 0
; COMPUTE_PGM_RSRC2:TIDIG_COMP_CNT: 0
	.section	.text._ZN7rocprim17ROCPRIM_400000_NS6detail17trampoline_kernelINS0_14default_configENS1_32segmented_reduce_config_selectorIN3c104HalfEEEZNS1_21segmented_reduce_implIS3_PKS6_PS6_PKiS6_N6hipcub16HIPCUB_304000_NS6detail27convert_result_type_wrapperISA_SB_N2at6native12_GLOBAL__N_19CustomMinEEEEE10hipError_tPvRmT0_T1_jT2_SS_T4_T3_P12ihipStream_tbEUlT_E_NS1_11comp_targetILNS1_3genE2ELNS1_11target_archE906ELNS1_3gpuE6ELNS1_3repE0EEENS1_30default_config_static_selectorELNS0_4arch9wavefront6targetE0EEEvSR_,"axG",@progbits,_ZN7rocprim17ROCPRIM_400000_NS6detail17trampoline_kernelINS0_14default_configENS1_32segmented_reduce_config_selectorIN3c104HalfEEEZNS1_21segmented_reduce_implIS3_PKS6_PS6_PKiS6_N6hipcub16HIPCUB_304000_NS6detail27convert_result_type_wrapperISA_SB_N2at6native12_GLOBAL__N_19CustomMinEEEEE10hipError_tPvRmT0_T1_jT2_SS_T4_T3_P12ihipStream_tbEUlT_E_NS1_11comp_targetILNS1_3genE2ELNS1_11target_archE906ELNS1_3gpuE6ELNS1_3repE0EEENS1_30default_config_static_selectorELNS0_4arch9wavefront6targetE0EEEvSR_,comdat
	.globl	_ZN7rocprim17ROCPRIM_400000_NS6detail17trampoline_kernelINS0_14default_configENS1_32segmented_reduce_config_selectorIN3c104HalfEEEZNS1_21segmented_reduce_implIS3_PKS6_PS6_PKiS6_N6hipcub16HIPCUB_304000_NS6detail27convert_result_type_wrapperISA_SB_N2at6native12_GLOBAL__N_19CustomMinEEEEE10hipError_tPvRmT0_T1_jT2_SS_T4_T3_P12ihipStream_tbEUlT_E_NS1_11comp_targetILNS1_3genE2ELNS1_11target_archE906ELNS1_3gpuE6ELNS1_3repE0EEENS1_30default_config_static_selectorELNS0_4arch9wavefront6targetE0EEEvSR_ ; -- Begin function _ZN7rocprim17ROCPRIM_400000_NS6detail17trampoline_kernelINS0_14default_configENS1_32segmented_reduce_config_selectorIN3c104HalfEEEZNS1_21segmented_reduce_implIS3_PKS6_PS6_PKiS6_N6hipcub16HIPCUB_304000_NS6detail27convert_result_type_wrapperISA_SB_N2at6native12_GLOBAL__N_19CustomMinEEEEE10hipError_tPvRmT0_T1_jT2_SS_T4_T3_P12ihipStream_tbEUlT_E_NS1_11comp_targetILNS1_3genE2ELNS1_11target_archE906ELNS1_3gpuE6ELNS1_3repE0EEENS1_30default_config_static_selectorELNS0_4arch9wavefront6targetE0EEEvSR_
	.p2align	8
	.type	_ZN7rocprim17ROCPRIM_400000_NS6detail17trampoline_kernelINS0_14default_configENS1_32segmented_reduce_config_selectorIN3c104HalfEEEZNS1_21segmented_reduce_implIS3_PKS6_PS6_PKiS6_N6hipcub16HIPCUB_304000_NS6detail27convert_result_type_wrapperISA_SB_N2at6native12_GLOBAL__N_19CustomMinEEEEE10hipError_tPvRmT0_T1_jT2_SS_T4_T3_P12ihipStream_tbEUlT_E_NS1_11comp_targetILNS1_3genE2ELNS1_11target_archE906ELNS1_3gpuE6ELNS1_3repE0EEENS1_30default_config_static_selectorELNS0_4arch9wavefront6targetE0EEEvSR_,@function
_ZN7rocprim17ROCPRIM_400000_NS6detail17trampoline_kernelINS0_14default_configENS1_32segmented_reduce_config_selectorIN3c104HalfEEEZNS1_21segmented_reduce_implIS3_PKS6_PS6_PKiS6_N6hipcub16HIPCUB_304000_NS6detail27convert_result_type_wrapperISA_SB_N2at6native12_GLOBAL__N_19CustomMinEEEEE10hipError_tPvRmT0_T1_jT2_SS_T4_T3_P12ihipStream_tbEUlT_E_NS1_11comp_targetILNS1_3genE2ELNS1_11target_archE906ELNS1_3gpuE6ELNS1_3repE0EEENS1_30default_config_static_selectorELNS0_4arch9wavefront6targetE0EEEvSR_: ; @_ZN7rocprim17ROCPRIM_400000_NS6detail17trampoline_kernelINS0_14default_configENS1_32segmented_reduce_config_selectorIN3c104HalfEEEZNS1_21segmented_reduce_implIS3_PKS6_PS6_PKiS6_N6hipcub16HIPCUB_304000_NS6detail27convert_result_type_wrapperISA_SB_N2at6native12_GLOBAL__N_19CustomMinEEEEE10hipError_tPvRmT0_T1_jT2_SS_T4_T3_P12ihipStream_tbEUlT_E_NS1_11comp_targetILNS1_3genE2ELNS1_11target_archE906ELNS1_3gpuE6ELNS1_3repE0EEENS1_30default_config_static_selectorELNS0_4arch9wavefront6targetE0EEEvSR_
; %bb.0:
	.section	.rodata,"a",@progbits
	.p2align	6, 0x0
	.amdhsa_kernel _ZN7rocprim17ROCPRIM_400000_NS6detail17trampoline_kernelINS0_14default_configENS1_32segmented_reduce_config_selectorIN3c104HalfEEEZNS1_21segmented_reduce_implIS3_PKS6_PS6_PKiS6_N6hipcub16HIPCUB_304000_NS6detail27convert_result_type_wrapperISA_SB_N2at6native12_GLOBAL__N_19CustomMinEEEEE10hipError_tPvRmT0_T1_jT2_SS_T4_T3_P12ihipStream_tbEUlT_E_NS1_11comp_targetILNS1_3genE2ELNS1_11target_archE906ELNS1_3gpuE6ELNS1_3repE0EEENS1_30default_config_static_selectorELNS0_4arch9wavefront6targetE0EEEvSR_
		.amdhsa_group_segment_fixed_size 0
		.amdhsa_private_segment_fixed_size 0
		.amdhsa_kernarg_size 48
		.amdhsa_user_sgpr_count 2
		.amdhsa_user_sgpr_dispatch_ptr 0
		.amdhsa_user_sgpr_queue_ptr 0
		.amdhsa_user_sgpr_kernarg_segment_ptr 1
		.amdhsa_user_sgpr_dispatch_id 0
		.amdhsa_user_sgpr_kernarg_preload_length 0
		.amdhsa_user_sgpr_kernarg_preload_offset 0
		.amdhsa_user_sgpr_private_segment_size 0
		.amdhsa_wavefront_size32 1
		.amdhsa_uses_dynamic_stack 0
		.amdhsa_enable_private_segment 0
		.amdhsa_system_sgpr_workgroup_id_x 1
		.amdhsa_system_sgpr_workgroup_id_y 0
		.amdhsa_system_sgpr_workgroup_id_z 0
		.amdhsa_system_sgpr_workgroup_info 0
		.amdhsa_system_vgpr_workitem_id 0
		.amdhsa_next_free_vgpr 1
		.amdhsa_next_free_sgpr 1
		.amdhsa_named_barrier_count 0
		.amdhsa_reserve_vcc 0
		.amdhsa_float_round_mode_32 0
		.amdhsa_float_round_mode_16_64 0
		.amdhsa_float_denorm_mode_32 3
		.amdhsa_float_denorm_mode_16_64 3
		.amdhsa_fp16_overflow 0
		.amdhsa_memory_ordered 1
		.amdhsa_forward_progress 1
		.amdhsa_inst_pref_size 0
		.amdhsa_round_robin_scheduling 0
		.amdhsa_exception_fp_ieee_invalid_op 0
		.amdhsa_exception_fp_denorm_src 0
		.amdhsa_exception_fp_ieee_div_zero 0
		.amdhsa_exception_fp_ieee_overflow 0
		.amdhsa_exception_fp_ieee_underflow 0
		.amdhsa_exception_fp_ieee_inexact 0
		.amdhsa_exception_int_div_zero 0
	.end_amdhsa_kernel
	.section	.text._ZN7rocprim17ROCPRIM_400000_NS6detail17trampoline_kernelINS0_14default_configENS1_32segmented_reduce_config_selectorIN3c104HalfEEEZNS1_21segmented_reduce_implIS3_PKS6_PS6_PKiS6_N6hipcub16HIPCUB_304000_NS6detail27convert_result_type_wrapperISA_SB_N2at6native12_GLOBAL__N_19CustomMinEEEEE10hipError_tPvRmT0_T1_jT2_SS_T4_T3_P12ihipStream_tbEUlT_E_NS1_11comp_targetILNS1_3genE2ELNS1_11target_archE906ELNS1_3gpuE6ELNS1_3repE0EEENS1_30default_config_static_selectorELNS0_4arch9wavefront6targetE0EEEvSR_,"axG",@progbits,_ZN7rocprim17ROCPRIM_400000_NS6detail17trampoline_kernelINS0_14default_configENS1_32segmented_reduce_config_selectorIN3c104HalfEEEZNS1_21segmented_reduce_implIS3_PKS6_PS6_PKiS6_N6hipcub16HIPCUB_304000_NS6detail27convert_result_type_wrapperISA_SB_N2at6native12_GLOBAL__N_19CustomMinEEEEE10hipError_tPvRmT0_T1_jT2_SS_T4_T3_P12ihipStream_tbEUlT_E_NS1_11comp_targetILNS1_3genE2ELNS1_11target_archE906ELNS1_3gpuE6ELNS1_3repE0EEENS1_30default_config_static_selectorELNS0_4arch9wavefront6targetE0EEEvSR_,comdat
.Lfunc_end99:
	.size	_ZN7rocprim17ROCPRIM_400000_NS6detail17trampoline_kernelINS0_14default_configENS1_32segmented_reduce_config_selectorIN3c104HalfEEEZNS1_21segmented_reduce_implIS3_PKS6_PS6_PKiS6_N6hipcub16HIPCUB_304000_NS6detail27convert_result_type_wrapperISA_SB_N2at6native12_GLOBAL__N_19CustomMinEEEEE10hipError_tPvRmT0_T1_jT2_SS_T4_T3_P12ihipStream_tbEUlT_E_NS1_11comp_targetILNS1_3genE2ELNS1_11target_archE906ELNS1_3gpuE6ELNS1_3repE0EEENS1_30default_config_static_selectorELNS0_4arch9wavefront6targetE0EEEvSR_, .Lfunc_end99-_ZN7rocprim17ROCPRIM_400000_NS6detail17trampoline_kernelINS0_14default_configENS1_32segmented_reduce_config_selectorIN3c104HalfEEEZNS1_21segmented_reduce_implIS3_PKS6_PS6_PKiS6_N6hipcub16HIPCUB_304000_NS6detail27convert_result_type_wrapperISA_SB_N2at6native12_GLOBAL__N_19CustomMinEEEEE10hipError_tPvRmT0_T1_jT2_SS_T4_T3_P12ihipStream_tbEUlT_E_NS1_11comp_targetILNS1_3genE2ELNS1_11target_archE906ELNS1_3gpuE6ELNS1_3repE0EEENS1_30default_config_static_selectorELNS0_4arch9wavefront6targetE0EEEvSR_
                                        ; -- End function
	.set _ZN7rocprim17ROCPRIM_400000_NS6detail17trampoline_kernelINS0_14default_configENS1_32segmented_reduce_config_selectorIN3c104HalfEEEZNS1_21segmented_reduce_implIS3_PKS6_PS6_PKiS6_N6hipcub16HIPCUB_304000_NS6detail27convert_result_type_wrapperISA_SB_N2at6native12_GLOBAL__N_19CustomMinEEEEE10hipError_tPvRmT0_T1_jT2_SS_T4_T3_P12ihipStream_tbEUlT_E_NS1_11comp_targetILNS1_3genE2ELNS1_11target_archE906ELNS1_3gpuE6ELNS1_3repE0EEENS1_30default_config_static_selectorELNS0_4arch9wavefront6targetE0EEEvSR_.num_vgpr, 0
	.set _ZN7rocprim17ROCPRIM_400000_NS6detail17trampoline_kernelINS0_14default_configENS1_32segmented_reduce_config_selectorIN3c104HalfEEEZNS1_21segmented_reduce_implIS3_PKS6_PS6_PKiS6_N6hipcub16HIPCUB_304000_NS6detail27convert_result_type_wrapperISA_SB_N2at6native12_GLOBAL__N_19CustomMinEEEEE10hipError_tPvRmT0_T1_jT2_SS_T4_T3_P12ihipStream_tbEUlT_E_NS1_11comp_targetILNS1_3genE2ELNS1_11target_archE906ELNS1_3gpuE6ELNS1_3repE0EEENS1_30default_config_static_selectorELNS0_4arch9wavefront6targetE0EEEvSR_.num_agpr, 0
	.set _ZN7rocprim17ROCPRIM_400000_NS6detail17trampoline_kernelINS0_14default_configENS1_32segmented_reduce_config_selectorIN3c104HalfEEEZNS1_21segmented_reduce_implIS3_PKS6_PS6_PKiS6_N6hipcub16HIPCUB_304000_NS6detail27convert_result_type_wrapperISA_SB_N2at6native12_GLOBAL__N_19CustomMinEEEEE10hipError_tPvRmT0_T1_jT2_SS_T4_T3_P12ihipStream_tbEUlT_E_NS1_11comp_targetILNS1_3genE2ELNS1_11target_archE906ELNS1_3gpuE6ELNS1_3repE0EEENS1_30default_config_static_selectorELNS0_4arch9wavefront6targetE0EEEvSR_.numbered_sgpr, 0
	.set _ZN7rocprim17ROCPRIM_400000_NS6detail17trampoline_kernelINS0_14default_configENS1_32segmented_reduce_config_selectorIN3c104HalfEEEZNS1_21segmented_reduce_implIS3_PKS6_PS6_PKiS6_N6hipcub16HIPCUB_304000_NS6detail27convert_result_type_wrapperISA_SB_N2at6native12_GLOBAL__N_19CustomMinEEEEE10hipError_tPvRmT0_T1_jT2_SS_T4_T3_P12ihipStream_tbEUlT_E_NS1_11comp_targetILNS1_3genE2ELNS1_11target_archE906ELNS1_3gpuE6ELNS1_3repE0EEENS1_30default_config_static_selectorELNS0_4arch9wavefront6targetE0EEEvSR_.num_named_barrier, 0
	.set _ZN7rocprim17ROCPRIM_400000_NS6detail17trampoline_kernelINS0_14default_configENS1_32segmented_reduce_config_selectorIN3c104HalfEEEZNS1_21segmented_reduce_implIS3_PKS6_PS6_PKiS6_N6hipcub16HIPCUB_304000_NS6detail27convert_result_type_wrapperISA_SB_N2at6native12_GLOBAL__N_19CustomMinEEEEE10hipError_tPvRmT0_T1_jT2_SS_T4_T3_P12ihipStream_tbEUlT_E_NS1_11comp_targetILNS1_3genE2ELNS1_11target_archE906ELNS1_3gpuE6ELNS1_3repE0EEENS1_30default_config_static_selectorELNS0_4arch9wavefront6targetE0EEEvSR_.private_seg_size, 0
	.set _ZN7rocprim17ROCPRIM_400000_NS6detail17trampoline_kernelINS0_14default_configENS1_32segmented_reduce_config_selectorIN3c104HalfEEEZNS1_21segmented_reduce_implIS3_PKS6_PS6_PKiS6_N6hipcub16HIPCUB_304000_NS6detail27convert_result_type_wrapperISA_SB_N2at6native12_GLOBAL__N_19CustomMinEEEEE10hipError_tPvRmT0_T1_jT2_SS_T4_T3_P12ihipStream_tbEUlT_E_NS1_11comp_targetILNS1_3genE2ELNS1_11target_archE906ELNS1_3gpuE6ELNS1_3repE0EEENS1_30default_config_static_selectorELNS0_4arch9wavefront6targetE0EEEvSR_.uses_vcc, 0
	.set _ZN7rocprim17ROCPRIM_400000_NS6detail17trampoline_kernelINS0_14default_configENS1_32segmented_reduce_config_selectorIN3c104HalfEEEZNS1_21segmented_reduce_implIS3_PKS6_PS6_PKiS6_N6hipcub16HIPCUB_304000_NS6detail27convert_result_type_wrapperISA_SB_N2at6native12_GLOBAL__N_19CustomMinEEEEE10hipError_tPvRmT0_T1_jT2_SS_T4_T3_P12ihipStream_tbEUlT_E_NS1_11comp_targetILNS1_3genE2ELNS1_11target_archE906ELNS1_3gpuE6ELNS1_3repE0EEENS1_30default_config_static_selectorELNS0_4arch9wavefront6targetE0EEEvSR_.uses_flat_scratch, 0
	.set _ZN7rocprim17ROCPRIM_400000_NS6detail17trampoline_kernelINS0_14default_configENS1_32segmented_reduce_config_selectorIN3c104HalfEEEZNS1_21segmented_reduce_implIS3_PKS6_PS6_PKiS6_N6hipcub16HIPCUB_304000_NS6detail27convert_result_type_wrapperISA_SB_N2at6native12_GLOBAL__N_19CustomMinEEEEE10hipError_tPvRmT0_T1_jT2_SS_T4_T3_P12ihipStream_tbEUlT_E_NS1_11comp_targetILNS1_3genE2ELNS1_11target_archE906ELNS1_3gpuE6ELNS1_3repE0EEENS1_30default_config_static_selectorELNS0_4arch9wavefront6targetE0EEEvSR_.has_dyn_sized_stack, 0
	.set _ZN7rocprim17ROCPRIM_400000_NS6detail17trampoline_kernelINS0_14default_configENS1_32segmented_reduce_config_selectorIN3c104HalfEEEZNS1_21segmented_reduce_implIS3_PKS6_PS6_PKiS6_N6hipcub16HIPCUB_304000_NS6detail27convert_result_type_wrapperISA_SB_N2at6native12_GLOBAL__N_19CustomMinEEEEE10hipError_tPvRmT0_T1_jT2_SS_T4_T3_P12ihipStream_tbEUlT_E_NS1_11comp_targetILNS1_3genE2ELNS1_11target_archE906ELNS1_3gpuE6ELNS1_3repE0EEENS1_30default_config_static_selectorELNS0_4arch9wavefront6targetE0EEEvSR_.has_recursion, 0
	.set _ZN7rocprim17ROCPRIM_400000_NS6detail17trampoline_kernelINS0_14default_configENS1_32segmented_reduce_config_selectorIN3c104HalfEEEZNS1_21segmented_reduce_implIS3_PKS6_PS6_PKiS6_N6hipcub16HIPCUB_304000_NS6detail27convert_result_type_wrapperISA_SB_N2at6native12_GLOBAL__N_19CustomMinEEEEE10hipError_tPvRmT0_T1_jT2_SS_T4_T3_P12ihipStream_tbEUlT_E_NS1_11comp_targetILNS1_3genE2ELNS1_11target_archE906ELNS1_3gpuE6ELNS1_3repE0EEENS1_30default_config_static_selectorELNS0_4arch9wavefront6targetE0EEEvSR_.has_indirect_call, 0
	.section	.AMDGPU.csdata,"",@progbits
; Kernel info:
; codeLenInByte = 0
; TotalNumSgprs: 0
; NumVgprs: 0
; ScratchSize: 0
; MemoryBound: 0
; FloatMode: 240
; IeeeMode: 1
; LDSByteSize: 0 bytes/workgroup (compile time only)
; SGPRBlocks: 0
; VGPRBlocks: 0
; NumSGPRsForWavesPerEU: 1
; NumVGPRsForWavesPerEU: 1
; NamedBarCnt: 0
; Occupancy: 16
; WaveLimiterHint : 0
; COMPUTE_PGM_RSRC2:SCRATCH_EN: 0
; COMPUTE_PGM_RSRC2:USER_SGPR: 2
; COMPUTE_PGM_RSRC2:TRAP_HANDLER: 0
; COMPUTE_PGM_RSRC2:TGID_X_EN: 1
; COMPUTE_PGM_RSRC2:TGID_Y_EN: 0
; COMPUTE_PGM_RSRC2:TGID_Z_EN: 0
; COMPUTE_PGM_RSRC2:TIDIG_COMP_CNT: 0
	.section	.text._ZN7rocprim17ROCPRIM_400000_NS6detail17trampoline_kernelINS0_14default_configENS1_32segmented_reduce_config_selectorIN3c104HalfEEEZNS1_21segmented_reduce_implIS3_PKS6_PS6_PKiS6_N6hipcub16HIPCUB_304000_NS6detail27convert_result_type_wrapperISA_SB_N2at6native12_GLOBAL__N_19CustomMinEEEEE10hipError_tPvRmT0_T1_jT2_SS_T4_T3_P12ihipStream_tbEUlT_E_NS1_11comp_targetILNS1_3genE9ELNS1_11target_archE1100ELNS1_3gpuE3ELNS1_3repE0EEENS1_30default_config_static_selectorELNS0_4arch9wavefront6targetE0EEEvSR_,"axG",@progbits,_ZN7rocprim17ROCPRIM_400000_NS6detail17trampoline_kernelINS0_14default_configENS1_32segmented_reduce_config_selectorIN3c104HalfEEEZNS1_21segmented_reduce_implIS3_PKS6_PS6_PKiS6_N6hipcub16HIPCUB_304000_NS6detail27convert_result_type_wrapperISA_SB_N2at6native12_GLOBAL__N_19CustomMinEEEEE10hipError_tPvRmT0_T1_jT2_SS_T4_T3_P12ihipStream_tbEUlT_E_NS1_11comp_targetILNS1_3genE9ELNS1_11target_archE1100ELNS1_3gpuE3ELNS1_3repE0EEENS1_30default_config_static_selectorELNS0_4arch9wavefront6targetE0EEEvSR_,comdat
	.globl	_ZN7rocprim17ROCPRIM_400000_NS6detail17trampoline_kernelINS0_14default_configENS1_32segmented_reduce_config_selectorIN3c104HalfEEEZNS1_21segmented_reduce_implIS3_PKS6_PS6_PKiS6_N6hipcub16HIPCUB_304000_NS6detail27convert_result_type_wrapperISA_SB_N2at6native12_GLOBAL__N_19CustomMinEEEEE10hipError_tPvRmT0_T1_jT2_SS_T4_T3_P12ihipStream_tbEUlT_E_NS1_11comp_targetILNS1_3genE9ELNS1_11target_archE1100ELNS1_3gpuE3ELNS1_3repE0EEENS1_30default_config_static_selectorELNS0_4arch9wavefront6targetE0EEEvSR_ ; -- Begin function _ZN7rocprim17ROCPRIM_400000_NS6detail17trampoline_kernelINS0_14default_configENS1_32segmented_reduce_config_selectorIN3c104HalfEEEZNS1_21segmented_reduce_implIS3_PKS6_PS6_PKiS6_N6hipcub16HIPCUB_304000_NS6detail27convert_result_type_wrapperISA_SB_N2at6native12_GLOBAL__N_19CustomMinEEEEE10hipError_tPvRmT0_T1_jT2_SS_T4_T3_P12ihipStream_tbEUlT_E_NS1_11comp_targetILNS1_3genE9ELNS1_11target_archE1100ELNS1_3gpuE3ELNS1_3repE0EEENS1_30default_config_static_selectorELNS0_4arch9wavefront6targetE0EEEvSR_
	.p2align	8
	.type	_ZN7rocprim17ROCPRIM_400000_NS6detail17trampoline_kernelINS0_14default_configENS1_32segmented_reduce_config_selectorIN3c104HalfEEEZNS1_21segmented_reduce_implIS3_PKS6_PS6_PKiS6_N6hipcub16HIPCUB_304000_NS6detail27convert_result_type_wrapperISA_SB_N2at6native12_GLOBAL__N_19CustomMinEEEEE10hipError_tPvRmT0_T1_jT2_SS_T4_T3_P12ihipStream_tbEUlT_E_NS1_11comp_targetILNS1_3genE9ELNS1_11target_archE1100ELNS1_3gpuE3ELNS1_3repE0EEENS1_30default_config_static_selectorELNS0_4arch9wavefront6targetE0EEEvSR_,@function
_ZN7rocprim17ROCPRIM_400000_NS6detail17trampoline_kernelINS0_14default_configENS1_32segmented_reduce_config_selectorIN3c104HalfEEEZNS1_21segmented_reduce_implIS3_PKS6_PS6_PKiS6_N6hipcub16HIPCUB_304000_NS6detail27convert_result_type_wrapperISA_SB_N2at6native12_GLOBAL__N_19CustomMinEEEEE10hipError_tPvRmT0_T1_jT2_SS_T4_T3_P12ihipStream_tbEUlT_E_NS1_11comp_targetILNS1_3genE9ELNS1_11target_archE1100ELNS1_3gpuE3ELNS1_3repE0EEENS1_30default_config_static_selectorELNS0_4arch9wavefront6targetE0EEEvSR_: ; @_ZN7rocprim17ROCPRIM_400000_NS6detail17trampoline_kernelINS0_14default_configENS1_32segmented_reduce_config_selectorIN3c104HalfEEEZNS1_21segmented_reduce_implIS3_PKS6_PS6_PKiS6_N6hipcub16HIPCUB_304000_NS6detail27convert_result_type_wrapperISA_SB_N2at6native12_GLOBAL__N_19CustomMinEEEEE10hipError_tPvRmT0_T1_jT2_SS_T4_T3_P12ihipStream_tbEUlT_E_NS1_11comp_targetILNS1_3genE9ELNS1_11target_archE1100ELNS1_3gpuE3ELNS1_3repE0EEENS1_30default_config_static_selectorELNS0_4arch9wavefront6targetE0EEEvSR_
; %bb.0:
	.section	.rodata,"a",@progbits
	.p2align	6, 0x0
	.amdhsa_kernel _ZN7rocprim17ROCPRIM_400000_NS6detail17trampoline_kernelINS0_14default_configENS1_32segmented_reduce_config_selectorIN3c104HalfEEEZNS1_21segmented_reduce_implIS3_PKS6_PS6_PKiS6_N6hipcub16HIPCUB_304000_NS6detail27convert_result_type_wrapperISA_SB_N2at6native12_GLOBAL__N_19CustomMinEEEEE10hipError_tPvRmT0_T1_jT2_SS_T4_T3_P12ihipStream_tbEUlT_E_NS1_11comp_targetILNS1_3genE9ELNS1_11target_archE1100ELNS1_3gpuE3ELNS1_3repE0EEENS1_30default_config_static_selectorELNS0_4arch9wavefront6targetE0EEEvSR_
		.amdhsa_group_segment_fixed_size 0
		.amdhsa_private_segment_fixed_size 0
		.amdhsa_kernarg_size 48
		.amdhsa_user_sgpr_count 2
		.amdhsa_user_sgpr_dispatch_ptr 0
		.amdhsa_user_sgpr_queue_ptr 0
		.amdhsa_user_sgpr_kernarg_segment_ptr 1
		.amdhsa_user_sgpr_dispatch_id 0
		.amdhsa_user_sgpr_kernarg_preload_length 0
		.amdhsa_user_sgpr_kernarg_preload_offset 0
		.amdhsa_user_sgpr_private_segment_size 0
		.amdhsa_wavefront_size32 1
		.amdhsa_uses_dynamic_stack 0
		.amdhsa_enable_private_segment 0
		.amdhsa_system_sgpr_workgroup_id_x 1
		.amdhsa_system_sgpr_workgroup_id_y 0
		.amdhsa_system_sgpr_workgroup_id_z 0
		.amdhsa_system_sgpr_workgroup_info 0
		.amdhsa_system_vgpr_workitem_id 0
		.amdhsa_next_free_vgpr 1
		.amdhsa_next_free_sgpr 1
		.amdhsa_named_barrier_count 0
		.amdhsa_reserve_vcc 0
		.amdhsa_float_round_mode_32 0
		.amdhsa_float_round_mode_16_64 0
		.amdhsa_float_denorm_mode_32 3
		.amdhsa_float_denorm_mode_16_64 3
		.amdhsa_fp16_overflow 0
		.amdhsa_memory_ordered 1
		.amdhsa_forward_progress 1
		.amdhsa_inst_pref_size 0
		.amdhsa_round_robin_scheduling 0
		.amdhsa_exception_fp_ieee_invalid_op 0
		.amdhsa_exception_fp_denorm_src 0
		.amdhsa_exception_fp_ieee_div_zero 0
		.amdhsa_exception_fp_ieee_overflow 0
		.amdhsa_exception_fp_ieee_underflow 0
		.amdhsa_exception_fp_ieee_inexact 0
		.amdhsa_exception_int_div_zero 0
	.end_amdhsa_kernel
	.section	.text._ZN7rocprim17ROCPRIM_400000_NS6detail17trampoline_kernelINS0_14default_configENS1_32segmented_reduce_config_selectorIN3c104HalfEEEZNS1_21segmented_reduce_implIS3_PKS6_PS6_PKiS6_N6hipcub16HIPCUB_304000_NS6detail27convert_result_type_wrapperISA_SB_N2at6native12_GLOBAL__N_19CustomMinEEEEE10hipError_tPvRmT0_T1_jT2_SS_T4_T3_P12ihipStream_tbEUlT_E_NS1_11comp_targetILNS1_3genE9ELNS1_11target_archE1100ELNS1_3gpuE3ELNS1_3repE0EEENS1_30default_config_static_selectorELNS0_4arch9wavefront6targetE0EEEvSR_,"axG",@progbits,_ZN7rocprim17ROCPRIM_400000_NS6detail17trampoline_kernelINS0_14default_configENS1_32segmented_reduce_config_selectorIN3c104HalfEEEZNS1_21segmented_reduce_implIS3_PKS6_PS6_PKiS6_N6hipcub16HIPCUB_304000_NS6detail27convert_result_type_wrapperISA_SB_N2at6native12_GLOBAL__N_19CustomMinEEEEE10hipError_tPvRmT0_T1_jT2_SS_T4_T3_P12ihipStream_tbEUlT_E_NS1_11comp_targetILNS1_3genE9ELNS1_11target_archE1100ELNS1_3gpuE3ELNS1_3repE0EEENS1_30default_config_static_selectorELNS0_4arch9wavefront6targetE0EEEvSR_,comdat
.Lfunc_end100:
	.size	_ZN7rocprim17ROCPRIM_400000_NS6detail17trampoline_kernelINS0_14default_configENS1_32segmented_reduce_config_selectorIN3c104HalfEEEZNS1_21segmented_reduce_implIS3_PKS6_PS6_PKiS6_N6hipcub16HIPCUB_304000_NS6detail27convert_result_type_wrapperISA_SB_N2at6native12_GLOBAL__N_19CustomMinEEEEE10hipError_tPvRmT0_T1_jT2_SS_T4_T3_P12ihipStream_tbEUlT_E_NS1_11comp_targetILNS1_3genE9ELNS1_11target_archE1100ELNS1_3gpuE3ELNS1_3repE0EEENS1_30default_config_static_selectorELNS0_4arch9wavefront6targetE0EEEvSR_, .Lfunc_end100-_ZN7rocprim17ROCPRIM_400000_NS6detail17trampoline_kernelINS0_14default_configENS1_32segmented_reduce_config_selectorIN3c104HalfEEEZNS1_21segmented_reduce_implIS3_PKS6_PS6_PKiS6_N6hipcub16HIPCUB_304000_NS6detail27convert_result_type_wrapperISA_SB_N2at6native12_GLOBAL__N_19CustomMinEEEEE10hipError_tPvRmT0_T1_jT2_SS_T4_T3_P12ihipStream_tbEUlT_E_NS1_11comp_targetILNS1_3genE9ELNS1_11target_archE1100ELNS1_3gpuE3ELNS1_3repE0EEENS1_30default_config_static_selectorELNS0_4arch9wavefront6targetE0EEEvSR_
                                        ; -- End function
	.set _ZN7rocprim17ROCPRIM_400000_NS6detail17trampoline_kernelINS0_14default_configENS1_32segmented_reduce_config_selectorIN3c104HalfEEEZNS1_21segmented_reduce_implIS3_PKS6_PS6_PKiS6_N6hipcub16HIPCUB_304000_NS6detail27convert_result_type_wrapperISA_SB_N2at6native12_GLOBAL__N_19CustomMinEEEEE10hipError_tPvRmT0_T1_jT2_SS_T4_T3_P12ihipStream_tbEUlT_E_NS1_11comp_targetILNS1_3genE9ELNS1_11target_archE1100ELNS1_3gpuE3ELNS1_3repE0EEENS1_30default_config_static_selectorELNS0_4arch9wavefront6targetE0EEEvSR_.num_vgpr, 0
	.set _ZN7rocprim17ROCPRIM_400000_NS6detail17trampoline_kernelINS0_14default_configENS1_32segmented_reduce_config_selectorIN3c104HalfEEEZNS1_21segmented_reduce_implIS3_PKS6_PS6_PKiS6_N6hipcub16HIPCUB_304000_NS6detail27convert_result_type_wrapperISA_SB_N2at6native12_GLOBAL__N_19CustomMinEEEEE10hipError_tPvRmT0_T1_jT2_SS_T4_T3_P12ihipStream_tbEUlT_E_NS1_11comp_targetILNS1_3genE9ELNS1_11target_archE1100ELNS1_3gpuE3ELNS1_3repE0EEENS1_30default_config_static_selectorELNS0_4arch9wavefront6targetE0EEEvSR_.num_agpr, 0
	.set _ZN7rocprim17ROCPRIM_400000_NS6detail17trampoline_kernelINS0_14default_configENS1_32segmented_reduce_config_selectorIN3c104HalfEEEZNS1_21segmented_reduce_implIS3_PKS6_PS6_PKiS6_N6hipcub16HIPCUB_304000_NS6detail27convert_result_type_wrapperISA_SB_N2at6native12_GLOBAL__N_19CustomMinEEEEE10hipError_tPvRmT0_T1_jT2_SS_T4_T3_P12ihipStream_tbEUlT_E_NS1_11comp_targetILNS1_3genE9ELNS1_11target_archE1100ELNS1_3gpuE3ELNS1_3repE0EEENS1_30default_config_static_selectorELNS0_4arch9wavefront6targetE0EEEvSR_.numbered_sgpr, 0
	.set _ZN7rocprim17ROCPRIM_400000_NS6detail17trampoline_kernelINS0_14default_configENS1_32segmented_reduce_config_selectorIN3c104HalfEEEZNS1_21segmented_reduce_implIS3_PKS6_PS6_PKiS6_N6hipcub16HIPCUB_304000_NS6detail27convert_result_type_wrapperISA_SB_N2at6native12_GLOBAL__N_19CustomMinEEEEE10hipError_tPvRmT0_T1_jT2_SS_T4_T3_P12ihipStream_tbEUlT_E_NS1_11comp_targetILNS1_3genE9ELNS1_11target_archE1100ELNS1_3gpuE3ELNS1_3repE0EEENS1_30default_config_static_selectorELNS0_4arch9wavefront6targetE0EEEvSR_.num_named_barrier, 0
	.set _ZN7rocprim17ROCPRIM_400000_NS6detail17trampoline_kernelINS0_14default_configENS1_32segmented_reduce_config_selectorIN3c104HalfEEEZNS1_21segmented_reduce_implIS3_PKS6_PS6_PKiS6_N6hipcub16HIPCUB_304000_NS6detail27convert_result_type_wrapperISA_SB_N2at6native12_GLOBAL__N_19CustomMinEEEEE10hipError_tPvRmT0_T1_jT2_SS_T4_T3_P12ihipStream_tbEUlT_E_NS1_11comp_targetILNS1_3genE9ELNS1_11target_archE1100ELNS1_3gpuE3ELNS1_3repE0EEENS1_30default_config_static_selectorELNS0_4arch9wavefront6targetE0EEEvSR_.private_seg_size, 0
	.set _ZN7rocprim17ROCPRIM_400000_NS6detail17trampoline_kernelINS0_14default_configENS1_32segmented_reduce_config_selectorIN3c104HalfEEEZNS1_21segmented_reduce_implIS3_PKS6_PS6_PKiS6_N6hipcub16HIPCUB_304000_NS6detail27convert_result_type_wrapperISA_SB_N2at6native12_GLOBAL__N_19CustomMinEEEEE10hipError_tPvRmT0_T1_jT2_SS_T4_T3_P12ihipStream_tbEUlT_E_NS1_11comp_targetILNS1_3genE9ELNS1_11target_archE1100ELNS1_3gpuE3ELNS1_3repE0EEENS1_30default_config_static_selectorELNS0_4arch9wavefront6targetE0EEEvSR_.uses_vcc, 0
	.set _ZN7rocprim17ROCPRIM_400000_NS6detail17trampoline_kernelINS0_14default_configENS1_32segmented_reduce_config_selectorIN3c104HalfEEEZNS1_21segmented_reduce_implIS3_PKS6_PS6_PKiS6_N6hipcub16HIPCUB_304000_NS6detail27convert_result_type_wrapperISA_SB_N2at6native12_GLOBAL__N_19CustomMinEEEEE10hipError_tPvRmT0_T1_jT2_SS_T4_T3_P12ihipStream_tbEUlT_E_NS1_11comp_targetILNS1_3genE9ELNS1_11target_archE1100ELNS1_3gpuE3ELNS1_3repE0EEENS1_30default_config_static_selectorELNS0_4arch9wavefront6targetE0EEEvSR_.uses_flat_scratch, 0
	.set _ZN7rocprim17ROCPRIM_400000_NS6detail17trampoline_kernelINS0_14default_configENS1_32segmented_reduce_config_selectorIN3c104HalfEEEZNS1_21segmented_reduce_implIS3_PKS6_PS6_PKiS6_N6hipcub16HIPCUB_304000_NS6detail27convert_result_type_wrapperISA_SB_N2at6native12_GLOBAL__N_19CustomMinEEEEE10hipError_tPvRmT0_T1_jT2_SS_T4_T3_P12ihipStream_tbEUlT_E_NS1_11comp_targetILNS1_3genE9ELNS1_11target_archE1100ELNS1_3gpuE3ELNS1_3repE0EEENS1_30default_config_static_selectorELNS0_4arch9wavefront6targetE0EEEvSR_.has_dyn_sized_stack, 0
	.set _ZN7rocprim17ROCPRIM_400000_NS6detail17trampoline_kernelINS0_14default_configENS1_32segmented_reduce_config_selectorIN3c104HalfEEEZNS1_21segmented_reduce_implIS3_PKS6_PS6_PKiS6_N6hipcub16HIPCUB_304000_NS6detail27convert_result_type_wrapperISA_SB_N2at6native12_GLOBAL__N_19CustomMinEEEEE10hipError_tPvRmT0_T1_jT2_SS_T4_T3_P12ihipStream_tbEUlT_E_NS1_11comp_targetILNS1_3genE9ELNS1_11target_archE1100ELNS1_3gpuE3ELNS1_3repE0EEENS1_30default_config_static_selectorELNS0_4arch9wavefront6targetE0EEEvSR_.has_recursion, 0
	.set _ZN7rocprim17ROCPRIM_400000_NS6detail17trampoline_kernelINS0_14default_configENS1_32segmented_reduce_config_selectorIN3c104HalfEEEZNS1_21segmented_reduce_implIS3_PKS6_PS6_PKiS6_N6hipcub16HIPCUB_304000_NS6detail27convert_result_type_wrapperISA_SB_N2at6native12_GLOBAL__N_19CustomMinEEEEE10hipError_tPvRmT0_T1_jT2_SS_T4_T3_P12ihipStream_tbEUlT_E_NS1_11comp_targetILNS1_3genE9ELNS1_11target_archE1100ELNS1_3gpuE3ELNS1_3repE0EEENS1_30default_config_static_selectorELNS0_4arch9wavefront6targetE0EEEvSR_.has_indirect_call, 0
	.section	.AMDGPU.csdata,"",@progbits
; Kernel info:
; codeLenInByte = 0
; TotalNumSgprs: 0
; NumVgprs: 0
; ScratchSize: 0
; MemoryBound: 0
; FloatMode: 240
; IeeeMode: 1
; LDSByteSize: 0 bytes/workgroup (compile time only)
; SGPRBlocks: 0
; VGPRBlocks: 0
; NumSGPRsForWavesPerEU: 1
; NumVGPRsForWavesPerEU: 1
; NamedBarCnt: 0
; Occupancy: 16
; WaveLimiterHint : 0
; COMPUTE_PGM_RSRC2:SCRATCH_EN: 0
; COMPUTE_PGM_RSRC2:USER_SGPR: 2
; COMPUTE_PGM_RSRC2:TRAP_HANDLER: 0
; COMPUTE_PGM_RSRC2:TGID_X_EN: 1
; COMPUTE_PGM_RSRC2:TGID_Y_EN: 0
; COMPUTE_PGM_RSRC2:TGID_Z_EN: 0
; COMPUTE_PGM_RSRC2:TIDIG_COMP_CNT: 0
	.section	.text._ZN7rocprim17ROCPRIM_400000_NS6detail17trampoline_kernelINS0_14default_configENS1_32segmented_reduce_config_selectorIN3c104HalfEEEZNS1_21segmented_reduce_implIS3_PKS6_PS6_PKiS6_N6hipcub16HIPCUB_304000_NS6detail27convert_result_type_wrapperISA_SB_N2at6native12_GLOBAL__N_19CustomMinEEEEE10hipError_tPvRmT0_T1_jT2_SS_T4_T3_P12ihipStream_tbEUlT_E_NS1_11comp_targetILNS1_3genE8ELNS1_11target_archE1030ELNS1_3gpuE2ELNS1_3repE0EEENS1_30default_config_static_selectorELNS0_4arch9wavefront6targetE0EEEvSR_,"axG",@progbits,_ZN7rocprim17ROCPRIM_400000_NS6detail17trampoline_kernelINS0_14default_configENS1_32segmented_reduce_config_selectorIN3c104HalfEEEZNS1_21segmented_reduce_implIS3_PKS6_PS6_PKiS6_N6hipcub16HIPCUB_304000_NS6detail27convert_result_type_wrapperISA_SB_N2at6native12_GLOBAL__N_19CustomMinEEEEE10hipError_tPvRmT0_T1_jT2_SS_T4_T3_P12ihipStream_tbEUlT_E_NS1_11comp_targetILNS1_3genE8ELNS1_11target_archE1030ELNS1_3gpuE2ELNS1_3repE0EEENS1_30default_config_static_selectorELNS0_4arch9wavefront6targetE0EEEvSR_,comdat
	.globl	_ZN7rocprim17ROCPRIM_400000_NS6detail17trampoline_kernelINS0_14default_configENS1_32segmented_reduce_config_selectorIN3c104HalfEEEZNS1_21segmented_reduce_implIS3_PKS6_PS6_PKiS6_N6hipcub16HIPCUB_304000_NS6detail27convert_result_type_wrapperISA_SB_N2at6native12_GLOBAL__N_19CustomMinEEEEE10hipError_tPvRmT0_T1_jT2_SS_T4_T3_P12ihipStream_tbEUlT_E_NS1_11comp_targetILNS1_3genE8ELNS1_11target_archE1030ELNS1_3gpuE2ELNS1_3repE0EEENS1_30default_config_static_selectorELNS0_4arch9wavefront6targetE0EEEvSR_ ; -- Begin function _ZN7rocprim17ROCPRIM_400000_NS6detail17trampoline_kernelINS0_14default_configENS1_32segmented_reduce_config_selectorIN3c104HalfEEEZNS1_21segmented_reduce_implIS3_PKS6_PS6_PKiS6_N6hipcub16HIPCUB_304000_NS6detail27convert_result_type_wrapperISA_SB_N2at6native12_GLOBAL__N_19CustomMinEEEEE10hipError_tPvRmT0_T1_jT2_SS_T4_T3_P12ihipStream_tbEUlT_E_NS1_11comp_targetILNS1_3genE8ELNS1_11target_archE1030ELNS1_3gpuE2ELNS1_3repE0EEENS1_30default_config_static_selectorELNS0_4arch9wavefront6targetE0EEEvSR_
	.p2align	8
	.type	_ZN7rocprim17ROCPRIM_400000_NS6detail17trampoline_kernelINS0_14default_configENS1_32segmented_reduce_config_selectorIN3c104HalfEEEZNS1_21segmented_reduce_implIS3_PKS6_PS6_PKiS6_N6hipcub16HIPCUB_304000_NS6detail27convert_result_type_wrapperISA_SB_N2at6native12_GLOBAL__N_19CustomMinEEEEE10hipError_tPvRmT0_T1_jT2_SS_T4_T3_P12ihipStream_tbEUlT_E_NS1_11comp_targetILNS1_3genE8ELNS1_11target_archE1030ELNS1_3gpuE2ELNS1_3repE0EEENS1_30default_config_static_selectorELNS0_4arch9wavefront6targetE0EEEvSR_,@function
_ZN7rocprim17ROCPRIM_400000_NS6detail17trampoline_kernelINS0_14default_configENS1_32segmented_reduce_config_selectorIN3c104HalfEEEZNS1_21segmented_reduce_implIS3_PKS6_PS6_PKiS6_N6hipcub16HIPCUB_304000_NS6detail27convert_result_type_wrapperISA_SB_N2at6native12_GLOBAL__N_19CustomMinEEEEE10hipError_tPvRmT0_T1_jT2_SS_T4_T3_P12ihipStream_tbEUlT_E_NS1_11comp_targetILNS1_3genE8ELNS1_11target_archE1030ELNS1_3gpuE2ELNS1_3repE0EEENS1_30default_config_static_selectorELNS0_4arch9wavefront6targetE0EEEvSR_: ; @_ZN7rocprim17ROCPRIM_400000_NS6detail17trampoline_kernelINS0_14default_configENS1_32segmented_reduce_config_selectorIN3c104HalfEEEZNS1_21segmented_reduce_implIS3_PKS6_PS6_PKiS6_N6hipcub16HIPCUB_304000_NS6detail27convert_result_type_wrapperISA_SB_N2at6native12_GLOBAL__N_19CustomMinEEEEE10hipError_tPvRmT0_T1_jT2_SS_T4_T3_P12ihipStream_tbEUlT_E_NS1_11comp_targetILNS1_3genE8ELNS1_11target_archE1030ELNS1_3gpuE2ELNS1_3repE0EEENS1_30default_config_static_selectorELNS0_4arch9wavefront6targetE0EEEvSR_
; %bb.0:
	.section	.rodata,"a",@progbits
	.p2align	6, 0x0
	.amdhsa_kernel _ZN7rocprim17ROCPRIM_400000_NS6detail17trampoline_kernelINS0_14default_configENS1_32segmented_reduce_config_selectorIN3c104HalfEEEZNS1_21segmented_reduce_implIS3_PKS6_PS6_PKiS6_N6hipcub16HIPCUB_304000_NS6detail27convert_result_type_wrapperISA_SB_N2at6native12_GLOBAL__N_19CustomMinEEEEE10hipError_tPvRmT0_T1_jT2_SS_T4_T3_P12ihipStream_tbEUlT_E_NS1_11comp_targetILNS1_3genE8ELNS1_11target_archE1030ELNS1_3gpuE2ELNS1_3repE0EEENS1_30default_config_static_selectorELNS0_4arch9wavefront6targetE0EEEvSR_
		.amdhsa_group_segment_fixed_size 0
		.amdhsa_private_segment_fixed_size 0
		.amdhsa_kernarg_size 48
		.amdhsa_user_sgpr_count 2
		.amdhsa_user_sgpr_dispatch_ptr 0
		.amdhsa_user_sgpr_queue_ptr 0
		.amdhsa_user_sgpr_kernarg_segment_ptr 1
		.amdhsa_user_sgpr_dispatch_id 0
		.amdhsa_user_sgpr_kernarg_preload_length 0
		.amdhsa_user_sgpr_kernarg_preload_offset 0
		.amdhsa_user_sgpr_private_segment_size 0
		.amdhsa_wavefront_size32 1
		.amdhsa_uses_dynamic_stack 0
		.amdhsa_enable_private_segment 0
		.amdhsa_system_sgpr_workgroup_id_x 1
		.amdhsa_system_sgpr_workgroup_id_y 0
		.amdhsa_system_sgpr_workgroup_id_z 0
		.amdhsa_system_sgpr_workgroup_info 0
		.amdhsa_system_vgpr_workitem_id 0
		.amdhsa_next_free_vgpr 1
		.amdhsa_next_free_sgpr 1
		.amdhsa_named_barrier_count 0
		.amdhsa_reserve_vcc 0
		.amdhsa_float_round_mode_32 0
		.amdhsa_float_round_mode_16_64 0
		.amdhsa_float_denorm_mode_32 3
		.amdhsa_float_denorm_mode_16_64 3
		.amdhsa_fp16_overflow 0
		.amdhsa_memory_ordered 1
		.amdhsa_forward_progress 1
		.amdhsa_inst_pref_size 0
		.amdhsa_round_robin_scheduling 0
		.amdhsa_exception_fp_ieee_invalid_op 0
		.amdhsa_exception_fp_denorm_src 0
		.amdhsa_exception_fp_ieee_div_zero 0
		.amdhsa_exception_fp_ieee_overflow 0
		.amdhsa_exception_fp_ieee_underflow 0
		.amdhsa_exception_fp_ieee_inexact 0
		.amdhsa_exception_int_div_zero 0
	.end_amdhsa_kernel
	.section	.text._ZN7rocprim17ROCPRIM_400000_NS6detail17trampoline_kernelINS0_14default_configENS1_32segmented_reduce_config_selectorIN3c104HalfEEEZNS1_21segmented_reduce_implIS3_PKS6_PS6_PKiS6_N6hipcub16HIPCUB_304000_NS6detail27convert_result_type_wrapperISA_SB_N2at6native12_GLOBAL__N_19CustomMinEEEEE10hipError_tPvRmT0_T1_jT2_SS_T4_T3_P12ihipStream_tbEUlT_E_NS1_11comp_targetILNS1_3genE8ELNS1_11target_archE1030ELNS1_3gpuE2ELNS1_3repE0EEENS1_30default_config_static_selectorELNS0_4arch9wavefront6targetE0EEEvSR_,"axG",@progbits,_ZN7rocprim17ROCPRIM_400000_NS6detail17trampoline_kernelINS0_14default_configENS1_32segmented_reduce_config_selectorIN3c104HalfEEEZNS1_21segmented_reduce_implIS3_PKS6_PS6_PKiS6_N6hipcub16HIPCUB_304000_NS6detail27convert_result_type_wrapperISA_SB_N2at6native12_GLOBAL__N_19CustomMinEEEEE10hipError_tPvRmT0_T1_jT2_SS_T4_T3_P12ihipStream_tbEUlT_E_NS1_11comp_targetILNS1_3genE8ELNS1_11target_archE1030ELNS1_3gpuE2ELNS1_3repE0EEENS1_30default_config_static_selectorELNS0_4arch9wavefront6targetE0EEEvSR_,comdat
.Lfunc_end101:
	.size	_ZN7rocprim17ROCPRIM_400000_NS6detail17trampoline_kernelINS0_14default_configENS1_32segmented_reduce_config_selectorIN3c104HalfEEEZNS1_21segmented_reduce_implIS3_PKS6_PS6_PKiS6_N6hipcub16HIPCUB_304000_NS6detail27convert_result_type_wrapperISA_SB_N2at6native12_GLOBAL__N_19CustomMinEEEEE10hipError_tPvRmT0_T1_jT2_SS_T4_T3_P12ihipStream_tbEUlT_E_NS1_11comp_targetILNS1_3genE8ELNS1_11target_archE1030ELNS1_3gpuE2ELNS1_3repE0EEENS1_30default_config_static_selectorELNS0_4arch9wavefront6targetE0EEEvSR_, .Lfunc_end101-_ZN7rocprim17ROCPRIM_400000_NS6detail17trampoline_kernelINS0_14default_configENS1_32segmented_reduce_config_selectorIN3c104HalfEEEZNS1_21segmented_reduce_implIS3_PKS6_PS6_PKiS6_N6hipcub16HIPCUB_304000_NS6detail27convert_result_type_wrapperISA_SB_N2at6native12_GLOBAL__N_19CustomMinEEEEE10hipError_tPvRmT0_T1_jT2_SS_T4_T3_P12ihipStream_tbEUlT_E_NS1_11comp_targetILNS1_3genE8ELNS1_11target_archE1030ELNS1_3gpuE2ELNS1_3repE0EEENS1_30default_config_static_selectorELNS0_4arch9wavefront6targetE0EEEvSR_
                                        ; -- End function
	.set _ZN7rocprim17ROCPRIM_400000_NS6detail17trampoline_kernelINS0_14default_configENS1_32segmented_reduce_config_selectorIN3c104HalfEEEZNS1_21segmented_reduce_implIS3_PKS6_PS6_PKiS6_N6hipcub16HIPCUB_304000_NS6detail27convert_result_type_wrapperISA_SB_N2at6native12_GLOBAL__N_19CustomMinEEEEE10hipError_tPvRmT0_T1_jT2_SS_T4_T3_P12ihipStream_tbEUlT_E_NS1_11comp_targetILNS1_3genE8ELNS1_11target_archE1030ELNS1_3gpuE2ELNS1_3repE0EEENS1_30default_config_static_selectorELNS0_4arch9wavefront6targetE0EEEvSR_.num_vgpr, 0
	.set _ZN7rocprim17ROCPRIM_400000_NS6detail17trampoline_kernelINS0_14default_configENS1_32segmented_reduce_config_selectorIN3c104HalfEEEZNS1_21segmented_reduce_implIS3_PKS6_PS6_PKiS6_N6hipcub16HIPCUB_304000_NS6detail27convert_result_type_wrapperISA_SB_N2at6native12_GLOBAL__N_19CustomMinEEEEE10hipError_tPvRmT0_T1_jT2_SS_T4_T3_P12ihipStream_tbEUlT_E_NS1_11comp_targetILNS1_3genE8ELNS1_11target_archE1030ELNS1_3gpuE2ELNS1_3repE0EEENS1_30default_config_static_selectorELNS0_4arch9wavefront6targetE0EEEvSR_.num_agpr, 0
	.set _ZN7rocprim17ROCPRIM_400000_NS6detail17trampoline_kernelINS0_14default_configENS1_32segmented_reduce_config_selectorIN3c104HalfEEEZNS1_21segmented_reduce_implIS3_PKS6_PS6_PKiS6_N6hipcub16HIPCUB_304000_NS6detail27convert_result_type_wrapperISA_SB_N2at6native12_GLOBAL__N_19CustomMinEEEEE10hipError_tPvRmT0_T1_jT2_SS_T4_T3_P12ihipStream_tbEUlT_E_NS1_11comp_targetILNS1_3genE8ELNS1_11target_archE1030ELNS1_3gpuE2ELNS1_3repE0EEENS1_30default_config_static_selectorELNS0_4arch9wavefront6targetE0EEEvSR_.numbered_sgpr, 0
	.set _ZN7rocprim17ROCPRIM_400000_NS6detail17trampoline_kernelINS0_14default_configENS1_32segmented_reduce_config_selectorIN3c104HalfEEEZNS1_21segmented_reduce_implIS3_PKS6_PS6_PKiS6_N6hipcub16HIPCUB_304000_NS6detail27convert_result_type_wrapperISA_SB_N2at6native12_GLOBAL__N_19CustomMinEEEEE10hipError_tPvRmT0_T1_jT2_SS_T4_T3_P12ihipStream_tbEUlT_E_NS1_11comp_targetILNS1_3genE8ELNS1_11target_archE1030ELNS1_3gpuE2ELNS1_3repE0EEENS1_30default_config_static_selectorELNS0_4arch9wavefront6targetE0EEEvSR_.num_named_barrier, 0
	.set _ZN7rocprim17ROCPRIM_400000_NS6detail17trampoline_kernelINS0_14default_configENS1_32segmented_reduce_config_selectorIN3c104HalfEEEZNS1_21segmented_reduce_implIS3_PKS6_PS6_PKiS6_N6hipcub16HIPCUB_304000_NS6detail27convert_result_type_wrapperISA_SB_N2at6native12_GLOBAL__N_19CustomMinEEEEE10hipError_tPvRmT0_T1_jT2_SS_T4_T3_P12ihipStream_tbEUlT_E_NS1_11comp_targetILNS1_3genE8ELNS1_11target_archE1030ELNS1_3gpuE2ELNS1_3repE0EEENS1_30default_config_static_selectorELNS0_4arch9wavefront6targetE0EEEvSR_.private_seg_size, 0
	.set _ZN7rocprim17ROCPRIM_400000_NS6detail17trampoline_kernelINS0_14default_configENS1_32segmented_reduce_config_selectorIN3c104HalfEEEZNS1_21segmented_reduce_implIS3_PKS6_PS6_PKiS6_N6hipcub16HIPCUB_304000_NS6detail27convert_result_type_wrapperISA_SB_N2at6native12_GLOBAL__N_19CustomMinEEEEE10hipError_tPvRmT0_T1_jT2_SS_T4_T3_P12ihipStream_tbEUlT_E_NS1_11comp_targetILNS1_3genE8ELNS1_11target_archE1030ELNS1_3gpuE2ELNS1_3repE0EEENS1_30default_config_static_selectorELNS0_4arch9wavefront6targetE0EEEvSR_.uses_vcc, 0
	.set _ZN7rocprim17ROCPRIM_400000_NS6detail17trampoline_kernelINS0_14default_configENS1_32segmented_reduce_config_selectorIN3c104HalfEEEZNS1_21segmented_reduce_implIS3_PKS6_PS6_PKiS6_N6hipcub16HIPCUB_304000_NS6detail27convert_result_type_wrapperISA_SB_N2at6native12_GLOBAL__N_19CustomMinEEEEE10hipError_tPvRmT0_T1_jT2_SS_T4_T3_P12ihipStream_tbEUlT_E_NS1_11comp_targetILNS1_3genE8ELNS1_11target_archE1030ELNS1_3gpuE2ELNS1_3repE0EEENS1_30default_config_static_selectorELNS0_4arch9wavefront6targetE0EEEvSR_.uses_flat_scratch, 0
	.set _ZN7rocprim17ROCPRIM_400000_NS6detail17trampoline_kernelINS0_14default_configENS1_32segmented_reduce_config_selectorIN3c104HalfEEEZNS1_21segmented_reduce_implIS3_PKS6_PS6_PKiS6_N6hipcub16HIPCUB_304000_NS6detail27convert_result_type_wrapperISA_SB_N2at6native12_GLOBAL__N_19CustomMinEEEEE10hipError_tPvRmT0_T1_jT2_SS_T4_T3_P12ihipStream_tbEUlT_E_NS1_11comp_targetILNS1_3genE8ELNS1_11target_archE1030ELNS1_3gpuE2ELNS1_3repE0EEENS1_30default_config_static_selectorELNS0_4arch9wavefront6targetE0EEEvSR_.has_dyn_sized_stack, 0
	.set _ZN7rocprim17ROCPRIM_400000_NS6detail17trampoline_kernelINS0_14default_configENS1_32segmented_reduce_config_selectorIN3c104HalfEEEZNS1_21segmented_reduce_implIS3_PKS6_PS6_PKiS6_N6hipcub16HIPCUB_304000_NS6detail27convert_result_type_wrapperISA_SB_N2at6native12_GLOBAL__N_19CustomMinEEEEE10hipError_tPvRmT0_T1_jT2_SS_T4_T3_P12ihipStream_tbEUlT_E_NS1_11comp_targetILNS1_3genE8ELNS1_11target_archE1030ELNS1_3gpuE2ELNS1_3repE0EEENS1_30default_config_static_selectorELNS0_4arch9wavefront6targetE0EEEvSR_.has_recursion, 0
	.set _ZN7rocprim17ROCPRIM_400000_NS6detail17trampoline_kernelINS0_14default_configENS1_32segmented_reduce_config_selectorIN3c104HalfEEEZNS1_21segmented_reduce_implIS3_PKS6_PS6_PKiS6_N6hipcub16HIPCUB_304000_NS6detail27convert_result_type_wrapperISA_SB_N2at6native12_GLOBAL__N_19CustomMinEEEEE10hipError_tPvRmT0_T1_jT2_SS_T4_T3_P12ihipStream_tbEUlT_E_NS1_11comp_targetILNS1_3genE8ELNS1_11target_archE1030ELNS1_3gpuE2ELNS1_3repE0EEENS1_30default_config_static_selectorELNS0_4arch9wavefront6targetE0EEEvSR_.has_indirect_call, 0
	.section	.AMDGPU.csdata,"",@progbits
; Kernel info:
; codeLenInByte = 0
; TotalNumSgprs: 0
; NumVgprs: 0
; ScratchSize: 0
; MemoryBound: 0
; FloatMode: 240
; IeeeMode: 1
; LDSByteSize: 0 bytes/workgroup (compile time only)
; SGPRBlocks: 0
; VGPRBlocks: 0
; NumSGPRsForWavesPerEU: 1
; NumVGPRsForWavesPerEU: 1
; NamedBarCnt: 0
; Occupancy: 16
; WaveLimiterHint : 0
; COMPUTE_PGM_RSRC2:SCRATCH_EN: 0
; COMPUTE_PGM_RSRC2:USER_SGPR: 2
; COMPUTE_PGM_RSRC2:TRAP_HANDLER: 0
; COMPUTE_PGM_RSRC2:TGID_X_EN: 1
; COMPUTE_PGM_RSRC2:TGID_Y_EN: 0
; COMPUTE_PGM_RSRC2:TGID_Z_EN: 0
; COMPUTE_PGM_RSRC2:TIDIG_COMP_CNT: 0
	.section	.text._ZN7rocprim17ROCPRIM_400000_NS6detail17trampoline_kernelINS0_14default_configENS1_32segmented_reduce_config_selectorIN3c104HalfEEEZNS1_21segmented_reduce_implIS3_PKS6_PS6_PKiS6_N6hipcub16HIPCUB_304000_NS6detail27convert_result_type_wrapperISA_SB_N2at6native12_GLOBAL__N_110CustomProdEEEEE10hipError_tPvRmT0_T1_jT2_SS_T4_T3_P12ihipStream_tbEUlT_E_NS1_11comp_targetILNS1_3genE0ELNS1_11target_archE4294967295ELNS1_3gpuE0ELNS1_3repE0EEENS1_30default_config_static_selectorELNS0_4arch9wavefront6targetE0EEEvSR_,"axG",@progbits,_ZN7rocprim17ROCPRIM_400000_NS6detail17trampoline_kernelINS0_14default_configENS1_32segmented_reduce_config_selectorIN3c104HalfEEEZNS1_21segmented_reduce_implIS3_PKS6_PS6_PKiS6_N6hipcub16HIPCUB_304000_NS6detail27convert_result_type_wrapperISA_SB_N2at6native12_GLOBAL__N_110CustomProdEEEEE10hipError_tPvRmT0_T1_jT2_SS_T4_T3_P12ihipStream_tbEUlT_E_NS1_11comp_targetILNS1_3genE0ELNS1_11target_archE4294967295ELNS1_3gpuE0ELNS1_3repE0EEENS1_30default_config_static_selectorELNS0_4arch9wavefront6targetE0EEEvSR_,comdat
	.globl	_ZN7rocprim17ROCPRIM_400000_NS6detail17trampoline_kernelINS0_14default_configENS1_32segmented_reduce_config_selectorIN3c104HalfEEEZNS1_21segmented_reduce_implIS3_PKS6_PS6_PKiS6_N6hipcub16HIPCUB_304000_NS6detail27convert_result_type_wrapperISA_SB_N2at6native12_GLOBAL__N_110CustomProdEEEEE10hipError_tPvRmT0_T1_jT2_SS_T4_T3_P12ihipStream_tbEUlT_E_NS1_11comp_targetILNS1_3genE0ELNS1_11target_archE4294967295ELNS1_3gpuE0ELNS1_3repE0EEENS1_30default_config_static_selectorELNS0_4arch9wavefront6targetE0EEEvSR_ ; -- Begin function _ZN7rocprim17ROCPRIM_400000_NS6detail17trampoline_kernelINS0_14default_configENS1_32segmented_reduce_config_selectorIN3c104HalfEEEZNS1_21segmented_reduce_implIS3_PKS6_PS6_PKiS6_N6hipcub16HIPCUB_304000_NS6detail27convert_result_type_wrapperISA_SB_N2at6native12_GLOBAL__N_110CustomProdEEEEE10hipError_tPvRmT0_T1_jT2_SS_T4_T3_P12ihipStream_tbEUlT_E_NS1_11comp_targetILNS1_3genE0ELNS1_11target_archE4294967295ELNS1_3gpuE0ELNS1_3repE0EEENS1_30default_config_static_selectorELNS0_4arch9wavefront6targetE0EEEvSR_
	.p2align	8
	.type	_ZN7rocprim17ROCPRIM_400000_NS6detail17trampoline_kernelINS0_14default_configENS1_32segmented_reduce_config_selectorIN3c104HalfEEEZNS1_21segmented_reduce_implIS3_PKS6_PS6_PKiS6_N6hipcub16HIPCUB_304000_NS6detail27convert_result_type_wrapperISA_SB_N2at6native12_GLOBAL__N_110CustomProdEEEEE10hipError_tPvRmT0_T1_jT2_SS_T4_T3_P12ihipStream_tbEUlT_E_NS1_11comp_targetILNS1_3genE0ELNS1_11target_archE4294967295ELNS1_3gpuE0ELNS1_3repE0EEENS1_30default_config_static_selectorELNS0_4arch9wavefront6targetE0EEEvSR_,@function
_ZN7rocprim17ROCPRIM_400000_NS6detail17trampoline_kernelINS0_14default_configENS1_32segmented_reduce_config_selectorIN3c104HalfEEEZNS1_21segmented_reduce_implIS3_PKS6_PS6_PKiS6_N6hipcub16HIPCUB_304000_NS6detail27convert_result_type_wrapperISA_SB_N2at6native12_GLOBAL__N_110CustomProdEEEEE10hipError_tPvRmT0_T1_jT2_SS_T4_T3_P12ihipStream_tbEUlT_E_NS1_11comp_targetILNS1_3genE0ELNS1_11target_archE4294967295ELNS1_3gpuE0ELNS1_3repE0EEENS1_30default_config_static_selectorELNS0_4arch9wavefront6targetE0EEEvSR_: ; @_ZN7rocprim17ROCPRIM_400000_NS6detail17trampoline_kernelINS0_14default_configENS1_32segmented_reduce_config_selectorIN3c104HalfEEEZNS1_21segmented_reduce_implIS3_PKS6_PS6_PKiS6_N6hipcub16HIPCUB_304000_NS6detail27convert_result_type_wrapperISA_SB_N2at6native12_GLOBAL__N_110CustomProdEEEEE10hipError_tPvRmT0_T1_jT2_SS_T4_T3_P12ihipStream_tbEUlT_E_NS1_11comp_targetILNS1_3genE0ELNS1_11target_archE4294967295ELNS1_3gpuE0ELNS1_3repE0EEENS1_30default_config_static_selectorELNS0_4arch9wavefront6targetE0EEEvSR_
; %bb.0:
	v_mov_b32_e32 v1, 0
	s_clause 0x1
	s_load_b256 s[16:23], s[0:1], 0x0
	s_load_b64 s[2:3], s[0:1], 0x20
	s_bfe_u32 s6, ttmp6, 0x4000c
	s_and_b32 s7, ttmp6, 15
	s_add_co_i32 s6, s6, 1
	global_load_u16 v1, v1, s[0:1] offset:42
	s_mul_i32 s6, ttmp9, s6
	s_getreg_b32 s8, hwreg(HW_REG_IB_STS2, 6, 4)
	s_add_co_i32 s9, s7, s6
	v_cmp_eq_u32_e32 vcc_lo, 0, v0
	s_wait_kmcnt 0x0
	s_lshl_b64 s[0:1], s[20:21], 1
	s_lshl_b64 s[4:5], s[20:21], 2
	s_cmp_eq_u32 s8, 0
	s_add_nc_u64 s[6:7], s[22:23], s[4:5]
	s_cselect_b32 s20, ttmp9, s9
	s_add_nc_u64 s[2:3], s[2:3], s[4:5]
	s_load_b32 s22, s[6:7], s20 offset:0x0 scale_offset
	s_load_b32 s15, s[2:3], s20 offset:0x0 scale_offset
	s_add_nc_u64 s[18:19], s[18:19], s[0:1]
	s_mov_b32 s21, 0
	s_mov_b32 s0, -1
	s_wait_kmcnt 0x0
	s_cmp_gt_i32 s15, s22
	s_cbranch_scc1 .LBB102_4
; %bb.1:
	s_and_saveexec_b32 s0, vcc_lo
	s_cbranch_execz .LBB102_3
; %bb.2:
	v_mov_b32_e32 v2, 0
	s_lshl_b64 s[2:3], s[20:21], 1
	s_delay_alu instid0(SALU_CYCLE_1)
	s_add_nc_u64 s[2:3], s[18:19], s[2:3]
	s_wait_loadcnt 0x0
	global_store_b16 v2, v1, s[2:3]
.LBB102_3:
	s_wait_xcnt 0x0
	s_or_b32 exec_lo, exec_lo, s0
	s_mov_b32 s0, 0
.LBB102_4:
	s_delay_alu instid0(SALU_CYCLE_1)
	s_and_not1_b32 vcc_lo, exec_lo, s0
	s_cbranch_vccnz .LBB102_69
; %bb.5:
	s_add_co_i32 s0, s22, 0x1000
	s_delay_alu instid0(SALU_CYCLE_1)
	s_cmp_le_i32 s0, s15
	s_cbranch_scc0 .LBB102_46
; %bb.6:
	s_ashr_i32 s23, s22, 31
	v_mov_b32_e32 v3, 0
	s_lshl_b64 s[2:3], s[22:23], 1
	s_add_co_i32 s1, s22, 0x2000
	s_add_nc_u64 s[2:3], s[16:17], s[2:3]
	s_cmp_ge_i32 s1, s15
	s_clause 0xf
	global_load_u16 v4, v0, s[2:3] scale_offset
	global_load_u16 v5, v0, s[2:3] offset:512 scale_offset
	global_load_u16 v6, v0, s[2:3] offset:1024 scale_offset
	;; [unrolled: 1-line block ×15, first 2 shown]
	s_wait_loadcnt 0xe
	v_mul_f16_e32 v2, v4, v5
	s_wait_loadcnt 0xd
	s_delay_alu instid0(VALU_DEP_1) | instskip(SKIP_1) | instid1(VALU_DEP_1)
	v_mul_f16_e32 v2, v2, v6
	s_wait_loadcnt 0xc
	v_mul_f16_e32 v2, v2, v7
	s_wait_loadcnt 0xb
	s_delay_alu instid0(VALU_DEP_1) | instskip(SKIP_1) | instid1(VALU_DEP_1)
	v_mul_f16_e32 v2, v2, v8
	;; [unrolled: 5-line block ×7, first 2 shown]
	s_wait_loadcnt 0x0
	v_mul_f16_e32 v20, v2, v19
	s_cbranch_scc1 .LBB102_9
; %bb.7:
	v_lshlrev_b32_e32 v2, 1, v0
	s_delay_alu instid0(VALU_DEP_1)
	v_add_nc_u64_e32 v[2:3], s[16:17], v[2:3]
.LBB102_8:                              ; =>This Inner Loop Header: Depth=1
	s_ashr_i32 s1, s0, 31
	s_wait_xcnt 0x0
	s_delay_alu instid0(VALU_DEP_1)
	v_lshl_add_u64 v[22:23], s[0:1], 1, v[2:3]
	s_add_co_i32 s1, s0, 0x2000
	s_addk_co_i32 s0, 0x1000
	s_cmp_lt_i32 s1, s15
	s_clause 0xf
	global_load_u16 v4, v[22:23], off
	global_load_u16 v5, v[22:23], off offset:512
	global_load_u16 v6, v[22:23], off offset:1024
	;; [unrolled: 1-line block ×15, first 2 shown]
	s_wait_loadcnt 0xf
	v_mul_f16_e32 v20, v20, v4
	s_wait_loadcnt 0xe
	s_delay_alu instid0(VALU_DEP_1) | instskip(SKIP_1) | instid1(VALU_DEP_1)
	v_mul_f16_e32 v20, v20, v5
	s_wait_loadcnt 0xd
	v_mul_f16_e32 v20, v20, v6
	s_wait_loadcnt 0xc
	s_delay_alu instid0(VALU_DEP_1) | instskip(SKIP_1) | instid1(VALU_DEP_1)
	v_mul_f16_e32 v20, v20, v7
	;; [unrolled: 5-line block ×7, first 2 shown]
	s_wait_loadcnt 0x1
	v_mul_f16_e32 v20, v20, v18
	s_wait_loadcnt 0x0
	s_delay_alu instid0(VALU_DEP_1)
	v_mul_f16_e32 v20, v20, v19
	s_cbranch_scc1 .LBB102_8
.LBB102_9:
	s_sub_co_i32 s14, s15, s0
	s_ashr_i32 s1, s0, 31
	v_cmp_gt_u32_e32 vcc_lo, s14, v0
	s_lshl_b64 s[0:1], s[0:1], 1
	s_delay_alu instid0(SALU_CYCLE_1)
	s_add_nc_u64 s[24:25], s[16:17], s[0:1]
	s_wait_xcnt 0x0
	s_and_saveexec_b32 s0, vcc_lo
	s_cbranch_execz .LBB102_11
; %bb.10:
	global_load_u16 v4, v0, s[24:25] scale_offset
.LBB102_11:
	s_wait_xcnt 0x0
	s_or_b32 exec_lo, exec_lo, s0
	v_or_b32_e32 v2, 0x100, v0
	s_delay_alu instid0(VALU_DEP_1)
	v_cmp_gt_u32_e64 s0, s14, v2
	s_and_saveexec_b32 s1, s0
	s_cbranch_execz .LBB102_13
; %bb.12:
	global_load_u16 v5, v0, s[24:25] offset:512 scale_offset
.LBB102_13:
	s_wait_xcnt 0x0
	s_or_b32 exec_lo, exec_lo, s1
	v_or_b32_e32 v2, 0x200, v0
	s_delay_alu instid0(VALU_DEP_1)
	v_cmp_gt_u32_e64 s1, s14, v2
	s_and_saveexec_b32 s2, s1
	s_cbranch_execz .LBB102_15
; %bb.14:
	global_load_u16 v6, v0, s[24:25] offset:1024 scale_offset
.LBB102_15:
	;; [unrolled: 10-line block ×15, first 2 shown]
	s_wait_xcnt 0x0
	s_or_b32 exec_lo, exec_lo, s23
	s_wait_loadcnt 0x0
	v_mul_f16_e32 v2, v20, v4
	s_delay_alu instid0(VALU_DEP_1) | instskip(NEXT) | instid1(VALU_DEP_1)
	v_cndmask_b32_e32 v2, v20, v2, vcc_lo
	v_mul_f16_e32 v3, v2, v5
	s_delay_alu instid0(VALU_DEP_1) | instskip(SKIP_1) | instid1(VALU_DEP_1)
	v_cndmask_b32_e64 v2, v2, v3, s0
	s_mov_b32 s0, exec_lo
	v_mul_f16_e32 v3, v2, v6
	s_delay_alu instid0(VALU_DEP_1) | instskip(NEXT) | instid1(VALU_DEP_1)
	v_cndmask_b32_e64 v2, v2, v3, s1
	v_mul_f16_e32 v3, v2, v7
	s_delay_alu instid0(VALU_DEP_1) | instskip(NEXT) | instid1(VALU_DEP_1)
	v_cndmask_b32_e64 v2, v2, v3, s2
	;; [unrolled: 3-line block ×14, first 2 shown]
	v_and_b32_e32 v3, 0xffff, v2
	s_delay_alu instid0(VALU_DEP_1) | instskip(NEXT) | instid1(VALU_DEP_1)
	v_mov_b32_dpp v3, v3 quad_perm:[1,0,3,2] row_mask:0xf bank_mask:0xf
	v_mul_f16_e32 v2, v2, v3
	s_delay_alu instid0(VALU_DEP_1) | instskip(NEXT) | instid1(VALU_DEP_1)
	v_and_b32_e32 v3, 0xffff, v2
	v_mov_b32_dpp v3, v3 quad_perm:[2,3,0,1] row_mask:0xf bank_mask:0xf
	s_delay_alu instid0(VALU_DEP_1) | instskip(NEXT) | instid1(VALU_DEP_1)
	v_mul_f16_e32 v2, v2, v3
	v_and_b32_e32 v3, 0xffff, v2
	s_delay_alu instid0(VALU_DEP_1) | instskip(NEXT) | instid1(VALU_DEP_1)
	v_mov_b32_dpp v3, v3 row_ror:4 row_mask:0xf bank_mask:0xf
	v_mul_f16_e32 v2, v2, v3
	s_delay_alu instid0(VALU_DEP_1) | instskip(NEXT) | instid1(VALU_DEP_1)
	v_and_b32_e32 v3, 0xffff, v2
	v_mov_b32_dpp v3, v3 row_ror:8 row_mask:0xf bank_mask:0xf
	s_delay_alu instid0(VALU_DEP_1) | instskip(NEXT) | instid1(VALU_DEP_1)
	v_mul_f16_e32 v2, v2, v3
	v_and_b32_e32 v3, 0xffff, v2
	ds_swizzle_b32 v3, v3 offset:swizzle(BROADCAST,32,15)
	s_wait_dscnt 0x0
	v_mul_f16_e32 v2, v2, v3
	v_mov_b32_e32 v3, 0
	s_delay_alu instid0(VALU_DEP_2) | instskip(SKIP_2) | instid1(VALU_DEP_1)
	v_and_b32_e32 v2, 0xffff, v2
	ds_bpermute_b32 v5, v3, v2 offset:124
	v_mbcnt_lo_u32_b32 v2, -1, 0
	v_cmpx_eq_u32_e32 0, v2
	s_cbranch_execz .LBB102_43
; %bb.42:
	v_lshrrev_b32_e32 v3, 4, v0
	s_delay_alu instid0(VALU_DEP_1)
	v_and_b32_e32 v3, 14, v3
	s_wait_dscnt 0x0
	ds_store_b16 v3, v5
.LBB102_43:
	s_or_b32 exec_lo, exec_lo, s0
	s_delay_alu instid0(SALU_CYCLE_1)
	s_mov_b32 s0, exec_lo
	s_wait_storecnt_dscnt 0x0
	s_barrier_signal -1
	s_barrier_wait -1
	v_cmpx_gt_u32_e32 32, v0
	s_cbranch_execz .LBB102_45
; %bb.44:
	v_and_b32_e32 v3, 7, v2
	s_delay_alu instid0(VALU_DEP_1) | instskip(SKIP_1) | instid1(VALU_DEP_1)
	v_cmp_ne_u32_e32 vcc_lo, 7, v3
	v_add_co_ci_u32_e64 v5, null, 0, v2, vcc_lo
	v_lshlrev_b32_e32 v5, 2, v5
	v_cmp_gt_u32_e32 vcc_lo, 6, v3
	v_lshlrev_b32_e32 v4, 1, v3
	v_cndmask_b32_e64 v3, 0, 2, vcc_lo
	s_delay_alu instid0(VALU_DEP_1)
	v_add_lshl_u32 v3, v3, v2, 2
	v_lshlrev_b32_e32 v2, 2, v2
	ds_load_u16 v4, v4
	v_or_b32_e32 v2, 16, v2
	s_wait_dscnt 0x0
	v_and_b32_e32 v6, 0xffff, v4
	ds_bpermute_b32 v5, v5, v6
	s_wait_dscnt 0x0
	v_mul_f16_e32 v4, v4, v5
	s_delay_alu instid0(VALU_DEP_1) | instskip(SKIP_3) | instid1(VALU_DEP_1)
	v_and_b32_e32 v5, 0xffff, v4
	ds_bpermute_b32 v3, v3, v5
	s_wait_dscnt 0x0
	v_mul_f16_e32 v3, v4, v3
	v_and_b32_e32 v4, 0xffff, v3
	ds_bpermute_b32 v2, v2, v4
	s_wait_dscnt 0x0
	v_mul_f16_e32 v5, v3, v2
.LBB102_45:
	s_or_b32 exec_lo, exec_lo, s0
	s_branch .LBB102_67
.LBB102_46:
                                        ; implicit-def: $vgpr5
	s_cbranch_execz .LBB102_67
; %bb.47:
	s_sub_co_i32 s3, s15, s22
	s_mov_b32 s0, exec_lo
                                        ; implicit-def: $vgpr3
	v_cmpx_gt_u32_e64 s3, v0
	s_cbranch_execz .LBB102_53
; %bb.48:
	v_add_nc_u32_e32 v2, s22, v0
	s_mov_b32 s1, exec_lo
	global_load_u16 v3, v2, s[16:17] scale_offset
	s_wait_xcnt 0x0
	v_add_nc_u32_e32 v2, 0x100, v2
	s_delay_alu instid0(VALU_DEP_1)
	v_cmpx_gt_i32_e64 s15, v2
	s_cbranch_execz .LBB102_52
; %bb.49:
	s_mov_b32 s2, 0
.LBB102_50:                             ; =>This Inner Loop Header: Depth=1
	global_load_u16 v4, v2, s[16:17] scale_offset
	s_wait_xcnt 0x0
	v_add_nc_u32_e32 v2, 0x100, v2
	s_delay_alu instid0(VALU_DEP_1)
	v_cmp_le_i32_e32 vcc_lo, s15, v2
	s_or_b32 s2, vcc_lo, s2
	s_wait_loadcnt 0x0
	v_mul_f16_e32 v3, v3, v4
	s_and_not1_b32 exec_lo, exec_lo, s2
	s_cbranch_execnz .LBB102_50
; %bb.51:
	s_or_b32 exec_lo, exec_lo, s2
.LBB102_52:
	s_delay_alu instid0(SALU_CYCLE_1)
	s_or_b32 exec_lo, exec_lo, s1
.LBB102_53:
	s_delay_alu instid0(SALU_CYCLE_1)
	s_or_b32 exec_lo, exec_lo, s0
	v_mbcnt_lo_u32_b32 v2, -1, 0
	s_wait_loadcnt 0x0
	v_and_b32_e32 v4, 0xffff, v3
	s_cmp_lt_u32 s3, 0x100
	s_cbranch_scc0 .LBB102_61
; %bb.54:
	v_cmp_ne_u32_e32 vcc_lo, 31, v2
	v_and_b32_e32 v6, 0xe0, v0
	v_cmp_gt_u32_e64 s0, 24, v2
	v_add_nc_u32_e32 v11, 2, v2
	v_add_co_ci_u32_e64 v5, null, 0, v2, vcc_lo
	v_cmp_gt_u32_e32 vcc_lo, 30, v2
	v_sub_nc_u32_e64 v8, s3, v6 clamp
	s_delay_alu instid0(VALU_DEP_3)
	v_lshlrev_b32_e32 v5, 2, v5
	v_cndmask_b32_e64 v9, 0, 2, vcc_lo
	v_cmp_gt_u32_e32 vcc_lo, 28, v2
	ds_bpermute_b32 v5, v5, v4
	v_add_lshl_u32 v9, v9, v2, 2
	s_wait_dscnt 0x0
	v_mul_f16_e32 v7, v3, v5
	v_add_nc_u32_e32 v5, 1, v2
	s_delay_alu instid0(VALU_DEP_2) | instskip(NEXT) | instid1(VALU_DEP_2)
	v_and_b32_e32 v6, 0xffff, v7
	v_cmp_lt_u32_e64 s2, v5, v8
	s_delay_alu instid0(VALU_DEP_1)
	v_dual_cndmask_b32 v10, v3, v7, s2 :: v_dual_cndmask_b32 v5, v4, v6, s2
	ds_bpermute_b32 v6, v9, v5
	s_wait_dscnt 0x0
	v_mul_f16_e32 v9, v10, v6
	v_cndmask_b32_e64 v6, 0, 4, vcc_lo
	v_cmp_lt_u32_e32 vcc_lo, v11, v8
	s_delay_alu instid0(VALU_DEP_3) | instskip(NEXT) | instid1(VALU_DEP_3)
	v_and_b32_e32 v12, 0xffff, v9
	v_add_lshl_u32 v6, v6, v2, 2
	s_delay_alu instid0(VALU_DEP_2)
	v_dual_cndmask_b32 v11, v10, v9, vcc_lo :: v_dual_cndmask_b32 v5, v5, v12, vcc_lo
	v_add_nc_u32_e32 v12, 4, v2
	ds_bpermute_b32 v6, v6, v5
	s_wait_dscnt 0x0
	v_mul_f16_e32 v10, v11, v6
	v_cndmask_b32_e64 v6, 0, 8, s0
	v_cmp_lt_u32_e64 s0, v12, v8
	s_delay_alu instid0(VALU_DEP_3) | instskip(NEXT) | instid1(VALU_DEP_3)
	v_and_b32_e32 v13, 0xffff, v10
	v_add_lshl_u32 v6, v6, v2, 2
	s_delay_alu instid0(VALU_DEP_2)
	v_dual_cndmask_b32 v12, v11, v10, s0 :: v_dual_cndmask_b32 v5, v5, v13, s0
	v_add_nc_u32_e32 v13, 8, v2
	ds_bpermute_b32 v6, v6, v5
	s_wait_dscnt 0x0
	v_mul_f16_e32 v11, v12, v6
	v_lshlrev_b32_e32 v6, 2, v2
	v_cmp_lt_u32_e64 s1, v13, v8
	s_delay_alu instid0(VALU_DEP_3) | instskip(NEXT) | instid1(VALU_DEP_3)
	v_and_b32_e32 v14, 0xffff, v11
	v_or_b32_e32 v13, 64, v6
	s_delay_alu instid0(VALU_DEP_2)
	v_cndmask_b32_e64 v5, v5, v14, s1
	ds_bpermute_b32 v13, v13, v5
	v_mov_b32_e32 v5, v3
	s_and_saveexec_b32 s4, s2
	s_cbranch_execz .LBB102_56
; %bb.55:
	v_dual_cndmask_b32 v5, v7, v9, vcc_lo :: v_dual_cndmask_b32 v7, v12, v11, s1
	s_delay_alu instid0(VALU_DEP_1) | instskip(SKIP_2) | instid1(VALU_DEP_3)
	v_cndmask_b32_e64 v5, v5, v10, s0
	v_add_nc_u32_e32 v9, 16, v2
	s_wait_dscnt 0x0
	v_mul_f16_e32 v7, v7, v13
	s_delay_alu instid0(VALU_DEP_3) | instskip(NEXT) | instid1(VALU_DEP_3)
	v_cndmask_b32_e64 v5, v5, v11, s1
	v_cmp_lt_u32_e32 vcc_lo, v9, v8
	s_delay_alu instid0(VALU_DEP_2)
	v_cndmask_b32_e32 v5, v5, v7, vcc_lo
.LBB102_56:
	s_or_b32 exec_lo, exec_lo, s4
	s_delay_alu instid0(SALU_CYCLE_1)
	s_mov_b32 s0, exec_lo
	v_cmpx_eq_u32_e32 0, v2
; %bb.57:
	v_lshrrev_b32_e32 v7, 4, v0
	s_delay_alu instid0(VALU_DEP_1)
	v_and_b32_e32 v7, 14, v7
	ds_store_b16 v7, v5
; %bb.58:
	s_or_b32 exec_lo, exec_lo, s0
	s_delay_alu instid0(SALU_CYCLE_1)
	s_mov_b32 s1, exec_lo
	s_wait_storecnt_dscnt 0x0
	s_barrier_signal -1
	s_barrier_wait -1
	v_cmpx_gt_u32_e32 8, v0
	s_cbranch_execz .LBB102_60
; %bb.59:
	v_dual_lshlrev_b32 v5, 1, v2 :: v_dual_bitop2_b32 v7, 7, v2 bitop3:0x40
	s_add_co_i32 s3, s3, 31
	v_or_b32_e32 v6, 16, v6
	s_lshr_b32 s2, s3, 5
	ds_load_u16 v5, v5
	v_cmp_ne_u32_e32 vcc_lo, 7, v7
	v_add_nc_u32_e32 v11, 1, v7
	v_add_co_ci_u32_e64 v8, null, 0, v2, vcc_lo
	v_cmp_gt_u32_e32 vcc_lo, 6, v7
	s_delay_alu instid0(VALU_DEP_2) | instskip(SKIP_2) | instid1(VALU_DEP_2)
	v_lshlrev_b32_e32 v8, 2, v8
	v_cndmask_b32_e64 v10, 0, 2, vcc_lo
	v_cmp_gt_u32_e32 vcc_lo, s2, v11
	v_add_lshl_u32 v10, v10, v2, 2
	s_wait_dscnt 0x0
	v_and_b32_e32 v9, 0xffff, v5
	ds_bpermute_b32 v8, v8, v9
	s_wait_dscnt 0x0
	v_mul_f16_e32 v8, v5, v8
	s_delay_alu instid0(VALU_DEP_1) | instskip(SKIP_1) | instid1(VALU_DEP_2)
	v_and_b32_e32 v12, 0xffff, v8
	v_cndmask_b32_e32 v11, v5, v8, vcc_lo
	v_cndmask_b32_e32 v9, v9, v12, vcc_lo
	ds_bpermute_b32 v10, v10, v9
	s_wait_dscnt 0x0
	v_mul_f16_e32 v10, v11, v10
	v_add_nc_u32_e32 v11, 2, v7
	s_delay_alu instid0(VALU_DEP_2) | instskip(NEXT) | instid1(VALU_DEP_2)
	v_and_b32_e32 v12, 0xffff, v10
	v_cmp_gt_u32_e64 s0, s2, v11
	s_delay_alu instid0(VALU_DEP_1) | instskip(SKIP_4) | instid1(VALU_DEP_1)
	v_dual_cndmask_b32 v9, v9, v12, s0 :: v_dual_cndmask_b32 v8, v8, v10, s0
	ds_bpermute_b32 v6, v6, v9
	s_wait_dscnt 0x0
	v_mul_f16_e32 v6, v8, v6
	v_add_nc_u32_e32 v7, 4, v7
	v_cmp_gt_u32_e64 s0, s2, v7
	s_delay_alu instid0(VALU_DEP_1) | instskip(NEXT) | instid1(VALU_DEP_1)
	v_cndmask_b32_e64 v6, v8, v6, s0
	v_cndmask_b32_e32 v5, v5, v6, vcc_lo
.LBB102_60:
	s_or_b32 exec_lo, exec_lo, s1
	s_branch .LBB102_67
.LBB102_61:
                                        ; implicit-def: $vgpr5
	s_cbranch_execz .LBB102_67
; %bb.62:
	s_delay_alu instid0(VALU_DEP_1) | instskip(SKIP_1) | instid1(VALU_DEP_1)
	v_mov_b32_dpp v4, v4 quad_perm:[1,0,3,2] row_mask:0xf bank_mask:0xf
	s_mov_b32 s0, exec_lo
	v_mul_f16_e32 v3, v3, v4
	s_delay_alu instid0(VALU_DEP_1) | instskip(NEXT) | instid1(VALU_DEP_1)
	v_and_b32_e32 v4, 0xffff, v3
	v_mov_b32_dpp v4, v4 quad_perm:[2,3,0,1] row_mask:0xf bank_mask:0xf
	s_delay_alu instid0(VALU_DEP_1) | instskip(NEXT) | instid1(VALU_DEP_1)
	v_mul_f16_e32 v3, v3, v4
	v_and_b32_e32 v4, 0xffff, v3
	s_delay_alu instid0(VALU_DEP_1) | instskip(NEXT) | instid1(VALU_DEP_1)
	v_mov_b32_dpp v4, v4 row_ror:4 row_mask:0xf bank_mask:0xf
	v_mul_f16_e32 v3, v3, v4
	s_delay_alu instid0(VALU_DEP_1) | instskip(NEXT) | instid1(VALU_DEP_1)
	v_and_b32_e32 v4, 0xffff, v3
	v_mov_b32_dpp v4, v4 row_ror:8 row_mask:0xf bank_mask:0xf
	s_delay_alu instid0(VALU_DEP_1) | instskip(NEXT) | instid1(VALU_DEP_1)
	v_mul_f16_e32 v3, v3, v4
	v_and_b32_e32 v4, 0xffff, v3
	ds_swizzle_b32 v4, v4 offset:swizzle(BROADCAST,32,15)
	s_wait_dscnt 0x0
	v_mul_f16_e32 v3, v3, v4
	v_mov_b32_e32 v4, 0
	s_delay_alu instid0(VALU_DEP_2)
	v_and_b32_e32 v3, 0xffff, v3
	ds_bpermute_b32 v5, v4, v3 offset:124
	v_cmpx_eq_u32_e32 0, v2
	s_cbranch_execz .LBB102_64
; %bb.63:
	v_lshrrev_b32_e32 v3, 4, v0
	s_delay_alu instid0(VALU_DEP_1)
	v_and_b32_e32 v3, 14, v3
	s_wait_dscnt 0x0
	ds_store_b16 v3, v5
.LBB102_64:
	s_or_b32 exec_lo, exec_lo, s0
	s_delay_alu instid0(SALU_CYCLE_1)
	s_mov_b32 s0, exec_lo
	s_wait_storecnt_dscnt 0x0
	s_barrier_signal -1
	s_barrier_wait -1
	v_cmpx_gt_u32_e32 32, v0
	s_cbranch_execz .LBB102_66
; %bb.65:
	v_and_b32_e32 v3, 7, v2
	s_delay_alu instid0(VALU_DEP_1) | instskip(SKIP_1) | instid1(VALU_DEP_1)
	v_cmp_ne_u32_e32 vcc_lo, 7, v3
	v_add_co_ci_u32_e64 v5, null, 0, v2, vcc_lo
	v_lshlrev_b32_e32 v5, 2, v5
	v_cmp_gt_u32_e32 vcc_lo, 6, v3
	v_lshlrev_b32_e32 v4, 1, v3
	v_cndmask_b32_e64 v3, 0, 2, vcc_lo
	s_delay_alu instid0(VALU_DEP_1)
	v_add_lshl_u32 v3, v3, v2, 2
	v_lshlrev_b32_e32 v2, 2, v2
	ds_load_u16 v4, v4
	v_or_b32_e32 v2, 16, v2
	s_wait_dscnt 0x0
	v_and_b32_e32 v6, 0xffff, v4
	ds_bpermute_b32 v5, v5, v6
	s_wait_dscnt 0x0
	v_mul_f16_e32 v4, v4, v5
	s_delay_alu instid0(VALU_DEP_1) | instskip(SKIP_3) | instid1(VALU_DEP_1)
	v_and_b32_e32 v5, 0xffff, v4
	ds_bpermute_b32 v3, v3, v5
	s_wait_dscnt 0x0
	v_mul_f16_e32 v3, v4, v3
	v_and_b32_e32 v4, 0xffff, v3
	ds_bpermute_b32 v2, v2, v4
	s_wait_dscnt 0x0
	v_mul_f16_e32 v5, v3, v2
.LBB102_66:
	s_or_b32 exec_lo, exec_lo, s0
.LBB102_67:
	s_delay_alu instid0(SALU_CYCLE_1)
	s_mov_b32 s0, exec_lo
	v_cmpx_eq_u32_e32 0, v0
	s_cbranch_execz .LBB102_69
; %bb.68:
	v_mov_b32_e32 v0, 0
	s_wait_loadcnt 0x0
	v_mul_f16_e32 v1, v1, v5
	s_lshl_b64 s[0:1], s[20:21], 1
	s_delay_alu instid0(SALU_CYCLE_1)
	s_add_nc_u64 s[0:1], s[18:19], s[0:1]
	global_store_b16 v0, v1, s[0:1]
.LBB102_69:
	s_endpgm
	.section	.rodata,"a",@progbits
	.p2align	6, 0x0
	.amdhsa_kernel _ZN7rocprim17ROCPRIM_400000_NS6detail17trampoline_kernelINS0_14default_configENS1_32segmented_reduce_config_selectorIN3c104HalfEEEZNS1_21segmented_reduce_implIS3_PKS6_PS6_PKiS6_N6hipcub16HIPCUB_304000_NS6detail27convert_result_type_wrapperISA_SB_N2at6native12_GLOBAL__N_110CustomProdEEEEE10hipError_tPvRmT0_T1_jT2_SS_T4_T3_P12ihipStream_tbEUlT_E_NS1_11comp_targetILNS1_3genE0ELNS1_11target_archE4294967295ELNS1_3gpuE0ELNS1_3repE0EEENS1_30default_config_static_selectorELNS0_4arch9wavefront6targetE0EEEvSR_
		.amdhsa_group_segment_fixed_size 16
		.amdhsa_private_segment_fixed_size 0
		.amdhsa_kernarg_size 48
		.amdhsa_user_sgpr_count 2
		.amdhsa_user_sgpr_dispatch_ptr 0
		.amdhsa_user_sgpr_queue_ptr 0
		.amdhsa_user_sgpr_kernarg_segment_ptr 1
		.amdhsa_user_sgpr_dispatch_id 0
		.amdhsa_user_sgpr_kernarg_preload_length 0
		.amdhsa_user_sgpr_kernarg_preload_offset 0
		.amdhsa_user_sgpr_private_segment_size 0
		.amdhsa_wavefront_size32 1
		.amdhsa_uses_dynamic_stack 0
		.amdhsa_enable_private_segment 0
		.amdhsa_system_sgpr_workgroup_id_x 1
		.amdhsa_system_sgpr_workgroup_id_y 0
		.amdhsa_system_sgpr_workgroup_id_z 0
		.amdhsa_system_sgpr_workgroup_info 0
		.amdhsa_system_vgpr_workitem_id 0
		.amdhsa_next_free_vgpr 24
		.amdhsa_next_free_sgpr 26
		.amdhsa_named_barrier_count 0
		.amdhsa_reserve_vcc 1
		.amdhsa_float_round_mode_32 0
		.amdhsa_float_round_mode_16_64 0
		.amdhsa_float_denorm_mode_32 3
		.amdhsa_float_denorm_mode_16_64 3
		.amdhsa_fp16_overflow 0
		.amdhsa_memory_ordered 1
		.amdhsa_forward_progress 1
		.amdhsa_inst_pref_size 30
		.amdhsa_round_robin_scheduling 0
		.amdhsa_exception_fp_ieee_invalid_op 0
		.amdhsa_exception_fp_denorm_src 0
		.amdhsa_exception_fp_ieee_div_zero 0
		.amdhsa_exception_fp_ieee_overflow 0
		.amdhsa_exception_fp_ieee_underflow 0
		.amdhsa_exception_fp_ieee_inexact 0
		.amdhsa_exception_int_div_zero 0
	.end_amdhsa_kernel
	.section	.text._ZN7rocprim17ROCPRIM_400000_NS6detail17trampoline_kernelINS0_14default_configENS1_32segmented_reduce_config_selectorIN3c104HalfEEEZNS1_21segmented_reduce_implIS3_PKS6_PS6_PKiS6_N6hipcub16HIPCUB_304000_NS6detail27convert_result_type_wrapperISA_SB_N2at6native12_GLOBAL__N_110CustomProdEEEEE10hipError_tPvRmT0_T1_jT2_SS_T4_T3_P12ihipStream_tbEUlT_E_NS1_11comp_targetILNS1_3genE0ELNS1_11target_archE4294967295ELNS1_3gpuE0ELNS1_3repE0EEENS1_30default_config_static_selectorELNS0_4arch9wavefront6targetE0EEEvSR_,"axG",@progbits,_ZN7rocprim17ROCPRIM_400000_NS6detail17trampoline_kernelINS0_14default_configENS1_32segmented_reduce_config_selectorIN3c104HalfEEEZNS1_21segmented_reduce_implIS3_PKS6_PS6_PKiS6_N6hipcub16HIPCUB_304000_NS6detail27convert_result_type_wrapperISA_SB_N2at6native12_GLOBAL__N_110CustomProdEEEEE10hipError_tPvRmT0_T1_jT2_SS_T4_T3_P12ihipStream_tbEUlT_E_NS1_11comp_targetILNS1_3genE0ELNS1_11target_archE4294967295ELNS1_3gpuE0ELNS1_3repE0EEENS1_30default_config_static_selectorELNS0_4arch9wavefront6targetE0EEEvSR_,comdat
.Lfunc_end102:
	.size	_ZN7rocprim17ROCPRIM_400000_NS6detail17trampoline_kernelINS0_14default_configENS1_32segmented_reduce_config_selectorIN3c104HalfEEEZNS1_21segmented_reduce_implIS3_PKS6_PS6_PKiS6_N6hipcub16HIPCUB_304000_NS6detail27convert_result_type_wrapperISA_SB_N2at6native12_GLOBAL__N_110CustomProdEEEEE10hipError_tPvRmT0_T1_jT2_SS_T4_T3_P12ihipStream_tbEUlT_E_NS1_11comp_targetILNS1_3genE0ELNS1_11target_archE4294967295ELNS1_3gpuE0ELNS1_3repE0EEENS1_30default_config_static_selectorELNS0_4arch9wavefront6targetE0EEEvSR_, .Lfunc_end102-_ZN7rocprim17ROCPRIM_400000_NS6detail17trampoline_kernelINS0_14default_configENS1_32segmented_reduce_config_selectorIN3c104HalfEEEZNS1_21segmented_reduce_implIS3_PKS6_PS6_PKiS6_N6hipcub16HIPCUB_304000_NS6detail27convert_result_type_wrapperISA_SB_N2at6native12_GLOBAL__N_110CustomProdEEEEE10hipError_tPvRmT0_T1_jT2_SS_T4_T3_P12ihipStream_tbEUlT_E_NS1_11comp_targetILNS1_3genE0ELNS1_11target_archE4294967295ELNS1_3gpuE0ELNS1_3repE0EEENS1_30default_config_static_selectorELNS0_4arch9wavefront6targetE0EEEvSR_
                                        ; -- End function
	.set _ZN7rocprim17ROCPRIM_400000_NS6detail17trampoline_kernelINS0_14default_configENS1_32segmented_reduce_config_selectorIN3c104HalfEEEZNS1_21segmented_reduce_implIS3_PKS6_PS6_PKiS6_N6hipcub16HIPCUB_304000_NS6detail27convert_result_type_wrapperISA_SB_N2at6native12_GLOBAL__N_110CustomProdEEEEE10hipError_tPvRmT0_T1_jT2_SS_T4_T3_P12ihipStream_tbEUlT_E_NS1_11comp_targetILNS1_3genE0ELNS1_11target_archE4294967295ELNS1_3gpuE0ELNS1_3repE0EEENS1_30default_config_static_selectorELNS0_4arch9wavefront6targetE0EEEvSR_.num_vgpr, 24
	.set _ZN7rocprim17ROCPRIM_400000_NS6detail17trampoline_kernelINS0_14default_configENS1_32segmented_reduce_config_selectorIN3c104HalfEEEZNS1_21segmented_reduce_implIS3_PKS6_PS6_PKiS6_N6hipcub16HIPCUB_304000_NS6detail27convert_result_type_wrapperISA_SB_N2at6native12_GLOBAL__N_110CustomProdEEEEE10hipError_tPvRmT0_T1_jT2_SS_T4_T3_P12ihipStream_tbEUlT_E_NS1_11comp_targetILNS1_3genE0ELNS1_11target_archE4294967295ELNS1_3gpuE0ELNS1_3repE0EEENS1_30default_config_static_selectorELNS0_4arch9wavefront6targetE0EEEvSR_.num_agpr, 0
	.set _ZN7rocprim17ROCPRIM_400000_NS6detail17trampoline_kernelINS0_14default_configENS1_32segmented_reduce_config_selectorIN3c104HalfEEEZNS1_21segmented_reduce_implIS3_PKS6_PS6_PKiS6_N6hipcub16HIPCUB_304000_NS6detail27convert_result_type_wrapperISA_SB_N2at6native12_GLOBAL__N_110CustomProdEEEEE10hipError_tPvRmT0_T1_jT2_SS_T4_T3_P12ihipStream_tbEUlT_E_NS1_11comp_targetILNS1_3genE0ELNS1_11target_archE4294967295ELNS1_3gpuE0ELNS1_3repE0EEENS1_30default_config_static_selectorELNS0_4arch9wavefront6targetE0EEEvSR_.numbered_sgpr, 26
	.set _ZN7rocprim17ROCPRIM_400000_NS6detail17trampoline_kernelINS0_14default_configENS1_32segmented_reduce_config_selectorIN3c104HalfEEEZNS1_21segmented_reduce_implIS3_PKS6_PS6_PKiS6_N6hipcub16HIPCUB_304000_NS6detail27convert_result_type_wrapperISA_SB_N2at6native12_GLOBAL__N_110CustomProdEEEEE10hipError_tPvRmT0_T1_jT2_SS_T4_T3_P12ihipStream_tbEUlT_E_NS1_11comp_targetILNS1_3genE0ELNS1_11target_archE4294967295ELNS1_3gpuE0ELNS1_3repE0EEENS1_30default_config_static_selectorELNS0_4arch9wavefront6targetE0EEEvSR_.num_named_barrier, 0
	.set _ZN7rocprim17ROCPRIM_400000_NS6detail17trampoline_kernelINS0_14default_configENS1_32segmented_reduce_config_selectorIN3c104HalfEEEZNS1_21segmented_reduce_implIS3_PKS6_PS6_PKiS6_N6hipcub16HIPCUB_304000_NS6detail27convert_result_type_wrapperISA_SB_N2at6native12_GLOBAL__N_110CustomProdEEEEE10hipError_tPvRmT0_T1_jT2_SS_T4_T3_P12ihipStream_tbEUlT_E_NS1_11comp_targetILNS1_3genE0ELNS1_11target_archE4294967295ELNS1_3gpuE0ELNS1_3repE0EEENS1_30default_config_static_selectorELNS0_4arch9wavefront6targetE0EEEvSR_.private_seg_size, 0
	.set _ZN7rocprim17ROCPRIM_400000_NS6detail17trampoline_kernelINS0_14default_configENS1_32segmented_reduce_config_selectorIN3c104HalfEEEZNS1_21segmented_reduce_implIS3_PKS6_PS6_PKiS6_N6hipcub16HIPCUB_304000_NS6detail27convert_result_type_wrapperISA_SB_N2at6native12_GLOBAL__N_110CustomProdEEEEE10hipError_tPvRmT0_T1_jT2_SS_T4_T3_P12ihipStream_tbEUlT_E_NS1_11comp_targetILNS1_3genE0ELNS1_11target_archE4294967295ELNS1_3gpuE0ELNS1_3repE0EEENS1_30default_config_static_selectorELNS0_4arch9wavefront6targetE0EEEvSR_.uses_vcc, 1
	.set _ZN7rocprim17ROCPRIM_400000_NS6detail17trampoline_kernelINS0_14default_configENS1_32segmented_reduce_config_selectorIN3c104HalfEEEZNS1_21segmented_reduce_implIS3_PKS6_PS6_PKiS6_N6hipcub16HIPCUB_304000_NS6detail27convert_result_type_wrapperISA_SB_N2at6native12_GLOBAL__N_110CustomProdEEEEE10hipError_tPvRmT0_T1_jT2_SS_T4_T3_P12ihipStream_tbEUlT_E_NS1_11comp_targetILNS1_3genE0ELNS1_11target_archE4294967295ELNS1_3gpuE0ELNS1_3repE0EEENS1_30default_config_static_selectorELNS0_4arch9wavefront6targetE0EEEvSR_.uses_flat_scratch, 0
	.set _ZN7rocprim17ROCPRIM_400000_NS6detail17trampoline_kernelINS0_14default_configENS1_32segmented_reduce_config_selectorIN3c104HalfEEEZNS1_21segmented_reduce_implIS3_PKS6_PS6_PKiS6_N6hipcub16HIPCUB_304000_NS6detail27convert_result_type_wrapperISA_SB_N2at6native12_GLOBAL__N_110CustomProdEEEEE10hipError_tPvRmT0_T1_jT2_SS_T4_T3_P12ihipStream_tbEUlT_E_NS1_11comp_targetILNS1_3genE0ELNS1_11target_archE4294967295ELNS1_3gpuE0ELNS1_3repE0EEENS1_30default_config_static_selectorELNS0_4arch9wavefront6targetE0EEEvSR_.has_dyn_sized_stack, 0
	.set _ZN7rocprim17ROCPRIM_400000_NS6detail17trampoline_kernelINS0_14default_configENS1_32segmented_reduce_config_selectorIN3c104HalfEEEZNS1_21segmented_reduce_implIS3_PKS6_PS6_PKiS6_N6hipcub16HIPCUB_304000_NS6detail27convert_result_type_wrapperISA_SB_N2at6native12_GLOBAL__N_110CustomProdEEEEE10hipError_tPvRmT0_T1_jT2_SS_T4_T3_P12ihipStream_tbEUlT_E_NS1_11comp_targetILNS1_3genE0ELNS1_11target_archE4294967295ELNS1_3gpuE0ELNS1_3repE0EEENS1_30default_config_static_selectorELNS0_4arch9wavefront6targetE0EEEvSR_.has_recursion, 0
	.set _ZN7rocprim17ROCPRIM_400000_NS6detail17trampoline_kernelINS0_14default_configENS1_32segmented_reduce_config_selectorIN3c104HalfEEEZNS1_21segmented_reduce_implIS3_PKS6_PS6_PKiS6_N6hipcub16HIPCUB_304000_NS6detail27convert_result_type_wrapperISA_SB_N2at6native12_GLOBAL__N_110CustomProdEEEEE10hipError_tPvRmT0_T1_jT2_SS_T4_T3_P12ihipStream_tbEUlT_E_NS1_11comp_targetILNS1_3genE0ELNS1_11target_archE4294967295ELNS1_3gpuE0ELNS1_3repE0EEENS1_30default_config_static_selectorELNS0_4arch9wavefront6targetE0EEEvSR_.has_indirect_call, 0
	.section	.AMDGPU.csdata,"",@progbits
; Kernel info:
; codeLenInByte = 3732
; TotalNumSgprs: 28
; NumVgprs: 24
; ScratchSize: 0
; MemoryBound: 0
; FloatMode: 240
; IeeeMode: 1
; LDSByteSize: 16 bytes/workgroup (compile time only)
; SGPRBlocks: 0
; VGPRBlocks: 1
; NumSGPRsForWavesPerEU: 28
; NumVGPRsForWavesPerEU: 24
; NamedBarCnt: 0
; Occupancy: 16
; WaveLimiterHint : 1
; COMPUTE_PGM_RSRC2:SCRATCH_EN: 0
; COMPUTE_PGM_RSRC2:USER_SGPR: 2
; COMPUTE_PGM_RSRC2:TRAP_HANDLER: 0
; COMPUTE_PGM_RSRC2:TGID_X_EN: 1
; COMPUTE_PGM_RSRC2:TGID_Y_EN: 0
; COMPUTE_PGM_RSRC2:TGID_Z_EN: 0
; COMPUTE_PGM_RSRC2:TIDIG_COMP_CNT: 0
	.section	.text._ZN7rocprim17ROCPRIM_400000_NS6detail17trampoline_kernelINS0_14default_configENS1_32segmented_reduce_config_selectorIN3c104HalfEEEZNS1_21segmented_reduce_implIS3_PKS6_PS6_PKiS6_N6hipcub16HIPCUB_304000_NS6detail27convert_result_type_wrapperISA_SB_N2at6native12_GLOBAL__N_110CustomProdEEEEE10hipError_tPvRmT0_T1_jT2_SS_T4_T3_P12ihipStream_tbEUlT_E_NS1_11comp_targetILNS1_3genE5ELNS1_11target_archE942ELNS1_3gpuE9ELNS1_3repE0EEENS1_30default_config_static_selectorELNS0_4arch9wavefront6targetE0EEEvSR_,"axG",@progbits,_ZN7rocprim17ROCPRIM_400000_NS6detail17trampoline_kernelINS0_14default_configENS1_32segmented_reduce_config_selectorIN3c104HalfEEEZNS1_21segmented_reduce_implIS3_PKS6_PS6_PKiS6_N6hipcub16HIPCUB_304000_NS6detail27convert_result_type_wrapperISA_SB_N2at6native12_GLOBAL__N_110CustomProdEEEEE10hipError_tPvRmT0_T1_jT2_SS_T4_T3_P12ihipStream_tbEUlT_E_NS1_11comp_targetILNS1_3genE5ELNS1_11target_archE942ELNS1_3gpuE9ELNS1_3repE0EEENS1_30default_config_static_selectorELNS0_4arch9wavefront6targetE0EEEvSR_,comdat
	.globl	_ZN7rocprim17ROCPRIM_400000_NS6detail17trampoline_kernelINS0_14default_configENS1_32segmented_reduce_config_selectorIN3c104HalfEEEZNS1_21segmented_reduce_implIS3_PKS6_PS6_PKiS6_N6hipcub16HIPCUB_304000_NS6detail27convert_result_type_wrapperISA_SB_N2at6native12_GLOBAL__N_110CustomProdEEEEE10hipError_tPvRmT0_T1_jT2_SS_T4_T3_P12ihipStream_tbEUlT_E_NS1_11comp_targetILNS1_3genE5ELNS1_11target_archE942ELNS1_3gpuE9ELNS1_3repE0EEENS1_30default_config_static_selectorELNS0_4arch9wavefront6targetE0EEEvSR_ ; -- Begin function _ZN7rocprim17ROCPRIM_400000_NS6detail17trampoline_kernelINS0_14default_configENS1_32segmented_reduce_config_selectorIN3c104HalfEEEZNS1_21segmented_reduce_implIS3_PKS6_PS6_PKiS6_N6hipcub16HIPCUB_304000_NS6detail27convert_result_type_wrapperISA_SB_N2at6native12_GLOBAL__N_110CustomProdEEEEE10hipError_tPvRmT0_T1_jT2_SS_T4_T3_P12ihipStream_tbEUlT_E_NS1_11comp_targetILNS1_3genE5ELNS1_11target_archE942ELNS1_3gpuE9ELNS1_3repE0EEENS1_30default_config_static_selectorELNS0_4arch9wavefront6targetE0EEEvSR_
	.p2align	8
	.type	_ZN7rocprim17ROCPRIM_400000_NS6detail17trampoline_kernelINS0_14default_configENS1_32segmented_reduce_config_selectorIN3c104HalfEEEZNS1_21segmented_reduce_implIS3_PKS6_PS6_PKiS6_N6hipcub16HIPCUB_304000_NS6detail27convert_result_type_wrapperISA_SB_N2at6native12_GLOBAL__N_110CustomProdEEEEE10hipError_tPvRmT0_T1_jT2_SS_T4_T3_P12ihipStream_tbEUlT_E_NS1_11comp_targetILNS1_3genE5ELNS1_11target_archE942ELNS1_3gpuE9ELNS1_3repE0EEENS1_30default_config_static_selectorELNS0_4arch9wavefront6targetE0EEEvSR_,@function
_ZN7rocprim17ROCPRIM_400000_NS6detail17trampoline_kernelINS0_14default_configENS1_32segmented_reduce_config_selectorIN3c104HalfEEEZNS1_21segmented_reduce_implIS3_PKS6_PS6_PKiS6_N6hipcub16HIPCUB_304000_NS6detail27convert_result_type_wrapperISA_SB_N2at6native12_GLOBAL__N_110CustomProdEEEEE10hipError_tPvRmT0_T1_jT2_SS_T4_T3_P12ihipStream_tbEUlT_E_NS1_11comp_targetILNS1_3genE5ELNS1_11target_archE942ELNS1_3gpuE9ELNS1_3repE0EEENS1_30default_config_static_selectorELNS0_4arch9wavefront6targetE0EEEvSR_: ; @_ZN7rocprim17ROCPRIM_400000_NS6detail17trampoline_kernelINS0_14default_configENS1_32segmented_reduce_config_selectorIN3c104HalfEEEZNS1_21segmented_reduce_implIS3_PKS6_PS6_PKiS6_N6hipcub16HIPCUB_304000_NS6detail27convert_result_type_wrapperISA_SB_N2at6native12_GLOBAL__N_110CustomProdEEEEE10hipError_tPvRmT0_T1_jT2_SS_T4_T3_P12ihipStream_tbEUlT_E_NS1_11comp_targetILNS1_3genE5ELNS1_11target_archE942ELNS1_3gpuE9ELNS1_3repE0EEENS1_30default_config_static_selectorELNS0_4arch9wavefront6targetE0EEEvSR_
; %bb.0:
	.section	.rodata,"a",@progbits
	.p2align	6, 0x0
	.amdhsa_kernel _ZN7rocprim17ROCPRIM_400000_NS6detail17trampoline_kernelINS0_14default_configENS1_32segmented_reduce_config_selectorIN3c104HalfEEEZNS1_21segmented_reduce_implIS3_PKS6_PS6_PKiS6_N6hipcub16HIPCUB_304000_NS6detail27convert_result_type_wrapperISA_SB_N2at6native12_GLOBAL__N_110CustomProdEEEEE10hipError_tPvRmT0_T1_jT2_SS_T4_T3_P12ihipStream_tbEUlT_E_NS1_11comp_targetILNS1_3genE5ELNS1_11target_archE942ELNS1_3gpuE9ELNS1_3repE0EEENS1_30default_config_static_selectorELNS0_4arch9wavefront6targetE0EEEvSR_
		.amdhsa_group_segment_fixed_size 0
		.amdhsa_private_segment_fixed_size 0
		.amdhsa_kernarg_size 48
		.amdhsa_user_sgpr_count 2
		.amdhsa_user_sgpr_dispatch_ptr 0
		.amdhsa_user_sgpr_queue_ptr 0
		.amdhsa_user_sgpr_kernarg_segment_ptr 1
		.amdhsa_user_sgpr_dispatch_id 0
		.amdhsa_user_sgpr_kernarg_preload_length 0
		.amdhsa_user_sgpr_kernarg_preload_offset 0
		.amdhsa_user_sgpr_private_segment_size 0
		.amdhsa_wavefront_size32 1
		.amdhsa_uses_dynamic_stack 0
		.amdhsa_enable_private_segment 0
		.amdhsa_system_sgpr_workgroup_id_x 1
		.amdhsa_system_sgpr_workgroup_id_y 0
		.amdhsa_system_sgpr_workgroup_id_z 0
		.amdhsa_system_sgpr_workgroup_info 0
		.amdhsa_system_vgpr_workitem_id 0
		.amdhsa_next_free_vgpr 1
		.amdhsa_next_free_sgpr 1
		.amdhsa_named_barrier_count 0
		.amdhsa_reserve_vcc 0
		.amdhsa_float_round_mode_32 0
		.amdhsa_float_round_mode_16_64 0
		.amdhsa_float_denorm_mode_32 3
		.amdhsa_float_denorm_mode_16_64 3
		.amdhsa_fp16_overflow 0
		.amdhsa_memory_ordered 1
		.amdhsa_forward_progress 1
		.amdhsa_inst_pref_size 0
		.amdhsa_round_robin_scheduling 0
		.amdhsa_exception_fp_ieee_invalid_op 0
		.amdhsa_exception_fp_denorm_src 0
		.amdhsa_exception_fp_ieee_div_zero 0
		.amdhsa_exception_fp_ieee_overflow 0
		.amdhsa_exception_fp_ieee_underflow 0
		.amdhsa_exception_fp_ieee_inexact 0
		.amdhsa_exception_int_div_zero 0
	.end_amdhsa_kernel
	.section	.text._ZN7rocprim17ROCPRIM_400000_NS6detail17trampoline_kernelINS0_14default_configENS1_32segmented_reduce_config_selectorIN3c104HalfEEEZNS1_21segmented_reduce_implIS3_PKS6_PS6_PKiS6_N6hipcub16HIPCUB_304000_NS6detail27convert_result_type_wrapperISA_SB_N2at6native12_GLOBAL__N_110CustomProdEEEEE10hipError_tPvRmT0_T1_jT2_SS_T4_T3_P12ihipStream_tbEUlT_E_NS1_11comp_targetILNS1_3genE5ELNS1_11target_archE942ELNS1_3gpuE9ELNS1_3repE0EEENS1_30default_config_static_selectorELNS0_4arch9wavefront6targetE0EEEvSR_,"axG",@progbits,_ZN7rocprim17ROCPRIM_400000_NS6detail17trampoline_kernelINS0_14default_configENS1_32segmented_reduce_config_selectorIN3c104HalfEEEZNS1_21segmented_reduce_implIS3_PKS6_PS6_PKiS6_N6hipcub16HIPCUB_304000_NS6detail27convert_result_type_wrapperISA_SB_N2at6native12_GLOBAL__N_110CustomProdEEEEE10hipError_tPvRmT0_T1_jT2_SS_T4_T3_P12ihipStream_tbEUlT_E_NS1_11comp_targetILNS1_3genE5ELNS1_11target_archE942ELNS1_3gpuE9ELNS1_3repE0EEENS1_30default_config_static_selectorELNS0_4arch9wavefront6targetE0EEEvSR_,comdat
.Lfunc_end103:
	.size	_ZN7rocprim17ROCPRIM_400000_NS6detail17trampoline_kernelINS0_14default_configENS1_32segmented_reduce_config_selectorIN3c104HalfEEEZNS1_21segmented_reduce_implIS3_PKS6_PS6_PKiS6_N6hipcub16HIPCUB_304000_NS6detail27convert_result_type_wrapperISA_SB_N2at6native12_GLOBAL__N_110CustomProdEEEEE10hipError_tPvRmT0_T1_jT2_SS_T4_T3_P12ihipStream_tbEUlT_E_NS1_11comp_targetILNS1_3genE5ELNS1_11target_archE942ELNS1_3gpuE9ELNS1_3repE0EEENS1_30default_config_static_selectorELNS0_4arch9wavefront6targetE0EEEvSR_, .Lfunc_end103-_ZN7rocprim17ROCPRIM_400000_NS6detail17trampoline_kernelINS0_14default_configENS1_32segmented_reduce_config_selectorIN3c104HalfEEEZNS1_21segmented_reduce_implIS3_PKS6_PS6_PKiS6_N6hipcub16HIPCUB_304000_NS6detail27convert_result_type_wrapperISA_SB_N2at6native12_GLOBAL__N_110CustomProdEEEEE10hipError_tPvRmT0_T1_jT2_SS_T4_T3_P12ihipStream_tbEUlT_E_NS1_11comp_targetILNS1_3genE5ELNS1_11target_archE942ELNS1_3gpuE9ELNS1_3repE0EEENS1_30default_config_static_selectorELNS0_4arch9wavefront6targetE0EEEvSR_
                                        ; -- End function
	.set _ZN7rocprim17ROCPRIM_400000_NS6detail17trampoline_kernelINS0_14default_configENS1_32segmented_reduce_config_selectorIN3c104HalfEEEZNS1_21segmented_reduce_implIS3_PKS6_PS6_PKiS6_N6hipcub16HIPCUB_304000_NS6detail27convert_result_type_wrapperISA_SB_N2at6native12_GLOBAL__N_110CustomProdEEEEE10hipError_tPvRmT0_T1_jT2_SS_T4_T3_P12ihipStream_tbEUlT_E_NS1_11comp_targetILNS1_3genE5ELNS1_11target_archE942ELNS1_3gpuE9ELNS1_3repE0EEENS1_30default_config_static_selectorELNS0_4arch9wavefront6targetE0EEEvSR_.num_vgpr, 0
	.set _ZN7rocprim17ROCPRIM_400000_NS6detail17trampoline_kernelINS0_14default_configENS1_32segmented_reduce_config_selectorIN3c104HalfEEEZNS1_21segmented_reduce_implIS3_PKS6_PS6_PKiS6_N6hipcub16HIPCUB_304000_NS6detail27convert_result_type_wrapperISA_SB_N2at6native12_GLOBAL__N_110CustomProdEEEEE10hipError_tPvRmT0_T1_jT2_SS_T4_T3_P12ihipStream_tbEUlT_E_NS1_11comp_targetILNS1_3genE5ELNS1_11target_archE942ELNS1_3gpuE9ELNS1_3repE0EEENS1_30default_config_static_selectorELNS0_4arch9wavefront6targetE0EEEvSR_.num_agpr, 0
	.set _ZN7rocprim17ROCPRIM_400000_NS6detail17trampoline_kernelINS0_14default_configENS1_32segmented_reduce_config_selectorIN3c104HalfEEEZNS1_21segmented_reduce_implIS3_PKS6_PS6_PKiS6_N6hipcub16HIPCUB_304000_NS6detail27convert_result_type_wrapperISA_SB_N2at6native12_GLOBAL__N_110CustomProdEEEEE10hipError_tPvRmT0_T1_jT2_SS_T4_T3_P12ihipStream_tbEUlT_E_NS1_11comp_targetILNS1_3genE5ELNS1_11target_archE942ELNS1_3gpuE9ELNS1_3repE0EEENS1_30default_config_static_selectorELNS0_4arch9wavefront6targetE0EEEvSR_.numbered_sgpr, 0
	.set _ZN7rocprim17ROCPRIM_400000_NS6detail17trampoline_kernelINS0_14default_configENS1_32segmented_reduce_config_selectorIN3c104HalfEEEZNS1_21segmented_reduce_implIS3_PKS6_PS6_PKiS6_N6hipcub16HIPCUB_304000_NS6detail27convert_result_type_wrapperISA_SB_N2at6native12_GLOBAL__N_110CustomProdEEEEE10hipError_tPvRmT0_T1_jT2_SS_T4_T3_P12ihipStream_tbEUlT_E_NS1_11comp_targetILNS1_3genE5ELNS1_11target_archE942ELNS1_3gpuE9ELNS1_3repE0EEENS1_30default_config_static_selectorELNS0_4arch9wavefront6targetE0EEEvSR_.num_named_barrier, 0
	.set _ZN7rocprim17ROCPRIM_400000_NS6detail17trampoline_kernelINS0_14default_configENS1_32segmented_reduce_config_selectorIN3c104HalfEEEZNS1_21segmented_reduce_implIS3_PKS6_PS6_PKiS6_N6hipcub16HIPCUB_304000_NS6detail27convert_result_type_wrapperISA_SB_N2at6native12_GLOBAL__N_110CustomProdEEEEE10hipError_tPvRmT0_T1_jT2_SS_T4_T3_P12ihipStream_tbEUlT_E_NS1_11comp_targetILNS1_3genE5ELNS1_11target_archE942ELNS1_3gpuE9ELNS1_3repE0EEENS1_30default_config_static_selectorELNS0_4arch9wavefront6targetE0EEEvSR_.private_seg_size, 0
	.set _ZN7rocprim17ROCPRIM_400000_NS6detail17trampoline_kernelINS0_14default_configENS1_32segmented_reduce_config_selectorIN3c104HalfEEEZNS1_21segmented_reduce_implIS3_PKS6_PS6_PKiS6_N6hipcub16HIPCUB_304000_NS6detail27convert_result_type_wrapperISA_SB_N2at6native12_GLOBAL__N_110CustomProdEEEEE10hipError_tPvRmT0_T1_jT2_SS_T4_T3_P12ihipStream_tbEUlT_E_NS1_11comp_targetILNS1_3genE5ELNS1_11target_archE942ELNS1_3gpuE9ELNS1_3repE0EEENS1_30default_config_static_selectorELNS0_4arch9wavefront6targetE0EEEvSR_.uses_vcc, 0
	.set _ZN7rocprim17ROCPRIM_400000_NS6detail17trampoline_kernelINS0_14default_configENS1_32segmented_reduce_config_selectorIN3c104HalfEEEZNS1_21segmented_reduce_implIS3_PKS6_PS6_PKiS6_N6hipcub16HIPCUB_304000_NS6detail27convert_result_type_wrapperISA_SB_N2at6native12_GLOBAL__N_110CustomProdEEEEE10hipError_tPvRmT0_T1_jT2_SS_T4_T3_P12ihipStream_tbEUlT_E_NS1_11comp_targetILNS1_3genE5ELNS1_11target_archE942ELNS1_3gpuE9ELNS1_3repE0EEENS1_30default_config_static_selectorELNS0_4arch9wavefront6targetE0EEEvSR_.uses_flat_scratch, 0
	.set _ZN7rocprim17ROCPRIM_400000_NS6detail17trampoline_kernelINS0_14default_configENS1_32segmented_reduce_config_selectorIN3c104HalfEEEZNS1_21segmented_reduce_implIS3_PKS6_PS6_PKiS6_N6hipcub16HIPCUB_304000_NS6detail27convert_result_type_wrapperISA_SB_N2at6native12_GLOBAL__N_110CustomProdEEEEE10hipError_tPvRmT0_T1_jT2_SS_T4_T3_P12ihipStream_tbEUlT_E_NS1_11comp_targetILNS1_3genE5ELNS1_11target_archE942ELNS1_3gpuE9ELNS1_3repE0EEENS1_30default_config_static_selectorELNS0_4arch9wavefront6targetE0EEEvSR_.has_dyn_sized_stack, 0
	.set _ZN7rocprim17ROCPRIM_400000_NS6detail17trampoline_kernelINS0_14default_configENS1_32segmented_reduce_config_selectorIN3c104HalfEEEZNS1_21segmented_reduce_implIS3_PKS6_PS6_PKiS6_N6hipcub16HIPCUB_304000_NS6detail27convert_result_type_wrapperISA_SB_N2at6native12_GLOBAL__N_110CustomProdEEEEE10hipError_tPvRmT0_T1_jT2_SS_T4_T3_P12ihipStream_tbEUlT_E_NS1_11comp_targetILNS1_3genE5ELNS1_11target_archE942ELNS1_3gpuE9ELNS1_3repE0EEENS1_30default_config_static_selectorELNS0_4arch9wavefront6targetE0EEEvSR_.has_recursion, 0
	.set _ZN7rocprim17ROCPRIM_400000_NS6detail17trampoline_kernelINS0_14default_configENS1_32segmented_reduce_config_selectorIN3c104HalfEEEZNS1_21segmented_reduce_implIS3_PKS6_PS6_PKiS6_N6hipcub16HIPCUB_304000_NS6detail27convert_result_type_wrapperISA_SB_N2at6native12_GLOBAL__N_110CustomProdEEEEE10hipError_tPvRmT0_T1_jT2_SS_T4_T3_P12ihipStream_tbEUlT_E_NS1_11comp_targetILNS1_3genE5ELNS1_11target_archE942ELNS1_3gpuE9ELNS1_3repE0EEENS1_30default_config_static_selectorELNS0_4arch9wavefront6targetE0EEEvSR_.has_indirect_call, 0
	.section	.AMDGPU.csdata,"",@progbits
; Kernel info:
; codeLenInByte = 0
; TotalNumSgprs: 0
; NumVgprs: 0
; ScratchSize: 0
; MemoryBound: 0
; FloatMode: 240
; IeeeMode: 1
; LDSByteSize: 0 bytes/workgroup (compile time only)
; SGPRBlocks: 0
; VGPRBlocks: 0
; NumSGPRsForWavesPerEU: 1
; NumVGPRsForWavesPerEU: 1
; NamedBarCnt: 0
; Occupancy: 16
; WaveLimiterHint : 0
; COMPUTE_PGM_RSRC2:SCRATCH_EN: 0
; COMPUTE_PGM_RSRC2:USER_SGPR: 2
; COMPUTE_PGM_RSRC2:TRAP_HANDLER: 0
; COMPUTE_PGM_RSRC2:TGID_X_EN: 1
; COMPUTE_PGM_RSRC2:TGID_Y_EN: 0
; COMPUTE_PGM_RSRC2:TGID_Z_EN: 0
; COMPUTE_PGM_RSRC2:TIDIG_COMP_CNT: 0
	.section	.text._ZN7rocprim17ROCPRIM_400000_NS6detail17trampoline_kernelINS0_14default_configENS1_32segmented_reduce_config_selectorIN3c104HalfEEEZNS1_21segmented_reduce_implIS3_PKS6_PS6_PKiS6_N6hipcub16HIPCUB_304000_NS6detail27convert_result_type_wrapperISA_SB_N2at6native12_GLOBAL__N_110CustomProdEEEEE10hipError_tPvRmT0_T1_jT2_SS_T4_T3_P12ihipStream_tbEUlT_E_NS1_11comp_targetILNS1_3genE10ELNS1_11target_archE1201ELNS1_3gpuE5ELNS1_3repE0EEENS1_30default_config_static_selectorELNS0_4arch9wavefront6targetE0EEEvSR_,"axG",@progbits,_ZN7rocprim17ROCPRIM_400000_NS6detail17trampoline_kernelINS0_14default_configENS1_32segmented_reduce_config_selectorIN3c104HalfEEEZNS1_21segmented_reduce_implIS3_PKS6_PS6_PKiS6_N6hipcub16HIPCUB_304000_NS6detail27convert_result_type_wrapperISA_SB_N2at6native12_GLOBAL__N_110CustomProdEEEEE10hipError_tPvRmT0_T1_jT2_SS_T4_T3_P12ihipStream_tbEUlT_E_NS1_11comp_targetILNS1_3genE10ELNS1_11target_archE1201ELNS1_3gpuE5ELNS1_3repE0EEENS1_30default_config_static_selectorELNS0_4arch9wavefront6targetE0EEEvSR_,comdat
	.globl	_ZN7rocprim17ROCPRIM_400000_NS6detail17trampoline_kernelINS0_14default_configENS1_32segmented_reduce_config_selectorIN3c104HalfEEEZNS1_21segmented_reduce_implIS3_PKS6_PS6_PKiS6_N6hipcub16HIPCUB_304000_NS6detail27convert_result_type_wrapperISA_SB_N2at6native12_GLOBAL__N_110CustomProdEEEEE10hipError_tPvRmT0_T1_jT2_SS_T4_T3_P12ihipStream_tbEUlT_E_NS1_11comp_targetILNS1_3genE10ELNS1_11target_archE1201ELNS1_3gpuE5ELNS1_3repE0EEENS1_30default_config_static_selectorELNS0_4arch9wavefront6targetE0EEEvSR_ ; -- Begin function _ZN7rocprim17ROCPRIM_400000_NS6detail17trampoline_kernelINS0_14default_configENS1_32segmented_reduce_config_selectorIN3c104HalfEEEZNS1_21segmented_reduce_implIS3_PKS6_PS6_PKiS6_N6hipcub16HIPCUB_304000_NS6detail27convert_result_type_wrapperISA_SB_N2at6native12_GLOBAL__N_110CustomProdEEEEE10hipError_tPvRmT0_T1_jT2_SS_T4_T3_P12ihipStream_tbEUlT_E_NS1_11comp_targetILNS1_3genE10ELNS1_11target_archE1201ELNS1_3gpuE5ELNS1_3repE0EEENS1_30default_config_static_selectorELNS0_4arch9wavefront6targetE0EEEvSR_
	.p2align	8
	.type	_ZN7rocprim17ROCPRIM_400000_NS6detail17trampoline_kernelINS0_14default_configENS1_32segmented_reduce_config_selectorIN3c104HalfEEEZNS1_21segmented_reduce_implIS3_PKS6_PS6_PKiS6_N6hipcub16HIPCUB_304000_NS6detail27convert_result_type_wrapperISA_SB_N2at6native12_GLOBAL__N_110CustomProdEEEEE10hipError_tPvRmT0_T1_jT2_SS_T4_T3_P12ihipStream_tbEUlT_E_NS1_11comp_targetILNS1_3genE10ELNS1_11target_archE1201ELNS1_3gpuE5ELNS1_3repE0EEENS1_30default_config_static_selectorELNS0_4arch9wavefront6targetE0EEEvSR_,@function
_ZN7rocprim17ROCPRIM_400000_NS6detail17trampoline_kernelINS0_14default_configENS1_32segmented_reduce_config_selectorIN3c104HalfEEEZNS1_21segmented_reduce_implIS3_PKS6_PS6_PKiS6_N6hipcub16HIPCUB_304000_NS6detail27convert_result_type_wrapperISA_SB_N2at6native12_GLOBAL__N_110CustomProdEEEEE10hipError_tPvRmT0_T1_jT2_SS_T4_T3_P12ihipStream_tbEUlT_E_NS1_11comp_targetILNS1_3genE10ELNS1_11target_archE1201ELNS1_3gpuE5ELNS1_3repE0EEENS1_30default_config_static_selectorELNS0_4arch9wavefront6targetE0EEEvSR_: ; @_ZN7rocprim17ROCPRIM_400000_NS6detail17trampoline_kernelINS0_14default_configENS1_32segmented_reduce_config_selectorIN3c104HalfEEEZNS1_21segmented_reduce_implIS3_PKS6_PS6_PKiS6_N6hipcub16HIPCUB_304000_NS6detail27convert_result_type_wrapperISA_SB_N2at6native12_GLOBAL__N_110CustomProdEEEEE10hipError_tPvRmT0_T1_jT2_SS_T4_T3_P12ihipStream_tbEUlT_E_NS1_11comp_targetILNS1_3genE10ELNS1_11target_archE1201ELNS1_3gpuE5ELNS1_3repE0EEENS1_30default_config_static_selectorELNS0_4arch9wavefront6targetE0EEEvSR_
; %bb.0:
	.section	.rodata,"a",@progbits
	.p2align	6, 0x0
	.amdhsa_kernel _ZN7rocprim17ROCPRIM_400000_NS6detail17trampoline_kernelINS0_14default_configENS1_32segmented_reduce_config_selectorIN3c104HalfEEEZNS1_21segmented_reduce_implIS3_PKS6_PS6_PKiS6_N6hipcub16HIPCUB_304000_NS6detail27convert_result_type_wrapperISA_SB_N2at6native12_GLOBAL__N_110CustomProdEEEEE10hipError_tPvRmT0_T1_jT2_SS_T4_T3_P12ihipStream_tbEUlT_E_NS1_11comp_targetILNS1_3genE10ELNS1_11target_archE1201ELNS1_3gpuE5ELNS1_3repE0EEENS1_30default_config_static_selectorELNS0_4arch9wavefront6targetE0EEEvSR_
		.amdhsa_group_segment_fixed_size 0
		.amdhsa_private_segment_fixed_size 0
		.amdhsa_kernarg_size 48
		.amdhsa_user_sgpr_count 2
		.amdhsa_user_sgpr_dispatch_ptr 0
		.amdhsa_user_sgpr_queue_ptr 0
		.amdhsa_user_sgpr_kernarg_segment_ptr 1
		.amdhsa_user_sgpr_dispatch_id 0
		.amdhsa_user_sgpr_kernarg_preload_length 0
		.amdhsa_user_sgpr_kernarg_preload_offset 0
		.amdhsa_user_sgpr_private_segment_size 0
		.amdhsa_wavefront_size32 1
		.amdhsa_uses_dynamic_stack 0
		.amdhsa_enable_private_segment 0
		.amdhsa_system_sgpr_workgroup_id_x 1
		.amdhsa_system_sgpr_workgroup_id_y 0
		.amdhsa_system_sgpr_workgroup_id_z 0
		.amdhsa_system_sgpr_workgroup_info 0
		.amdhsa_system_vgpr_workitem_id 0
		.amdhsa_next_free_vgpr 1
		.amdhsa_next_free_sgpr 1
		.amdhsa_named_barrier_count 0
		.amdhsa_reserve_vcc 0
		.amdhsa_float_round_mode_32 0
		.amdhsa_float_round_mode_16_64 0
		.amdhsa_float_denorm_mode_32 3
		.amdhsa_float_denorm_mode_16_64 3
		.amdhsa_fp16_overflow 0
		.amdhsa_memory_ordered 1
		.amdhsa_forward_progress 1
		.amdhsa_inst_pref_size 0
		.amdhsa_round_robin_scheduling 0
		.amdhsa_exception_fp_ieee_invalid_op 0
		.amdhsa_exception_fp_denorm_src 0
		.amdhsa_exception_fp_ieee_div_zero 0
		.amdhsa_exception_fp_ieee_overflow 0
		.amdhsa_exception_fp_ieee_underflow 0
		.amdhsa_exception_fp_ieee_inexact 0
		.amdhsa_exception_int_div_zero 0
	.end_amdhsa_kernel
	.section	.text._ZN7rocprim17ROCPRIM_400000_NS6detail17trampoline_kernelINS0_14default_configENS1_32segmented_reduce_config_selectorIN3c104HalfEEEZNS1_21segmented_reduce_implIS3_PKS6_PS6_PKiS6_N6hipcub16HIPCUB_304000_NS6detail27convert_result_type_wrapperISA_SB_N2at6native12_GLOBAL__N_110CustomProdEEEEE10hipError_tPvRmT0_T1_jT2_SS_T4_T3_P12ihipStream_tbEUlT_E_NS1_11comp_targetILNS1_3genE10ELNS1_11target_archE1201ELNS1_3gpuE5ELNS1_3repE0EEENS1_30default_config_static_selectorELNS0_4arch9wavefront6targetE0EEEvSR_,"axG",@progbits,_ZN7rocprim17ROCPRIM_400000_NS6detail17trampoline_kernelINS0_14default_configENS1_32segmented_reduce_config_selectorIN3c104HalfEEEZNS1_21segmented_reduce_implIS3_PKS6_PS6_PKiS6_N6hipcub16HIPCUB_304000_NS6detail27convert_result_type_wrapperISA_SB_N2at6native12_GLOBAL__N_110CustomProdEEEEE10hipError_tPvRmT0_T1_jT2_SS_T4_T3_P12ihipStream_tbEUlT_E_NS1_11comp_targetILNS1_3genE10ELNS1_11target_archE1201ELNS1_3gpuE5ELNS1_3repE0EEENS1_30default_config_static_selectorELNS0_4arch9wavefront6targetE0EEEvSR_,comdat
.Lfunc_end104:
	.size	_ZN7rocprim17ROCPRIM_400000_NS6detail17trampoline_kernelINS0_14default_configENS1_32segmented_reduce_config_selectorIN3c104HalfEEEZNS1_21segmented_reduce_implIS3_PKS6_PS6_PKiS6_N6hipcub16HIPCUB_304000_NS6detail27convert_result_type_wrapperISA_SB_N2at6native12_GLOBAL__N_110CustomProdEEEEE10hipError_tPvRmT0_T1_jT2_SS_T4_T3_P12ihipStream_tbEUlT_E_NS1_11comp_targetILNS1_3genE10ELNS1_11target_archE1201ELNS1_3gpuE5ELNS1_3repE0EEENS1_30default_config_static_selectorELNS0_4arch9wavefront6targetE0EEEvSR_, .Lfunc_end104-_ZN7rocprim17ROCPRIM_400000_NS6detail17trampoline_kernelINS0_14default_configENS1_32segmented_reduce_config_selectorIN3c104HalfEEEZNS1_21segmented_reduce_implIS3_PKS6_PS6_PKiS6_N6hipcub16HIPCUB_304000_NS6detail27convert_result_type_wrapperISA_SB_N2at6native12_GLOBAL__N_110CustomProdEEEEE10hipError_tPvRmT0_T1_jT2_SS_T4_T3_P12ihipStream_tbEUlT_E_NS1_11comp_targetILNS1_3genE10ELNS1_11target_archE1201ELNS1_3gpuE5ELNS1_3repE0EEENS1_30default_config_static_selectorELNS0_4arch9wavefront6targetE0EEEvSR_
                                        ; -- End function
	.set _ZN7rocprim17ROCPRIM_400000_NS6detail17trampoline_kernelINS0_14default_configENS1_32segmented_reduce_config_selectorIN3c104HalfEEEZNS1_21segmented_reduce_implIS3_PKS6_PS6_PKiS6_N6hipcub16HIPCUB_304000_NS6detail27convert_result_type_wrapperISA_SB_N2at6native12_GLOBAL__N_110CustomProdEEEEE10hipError_tPvRmT0_T1_jT2_SS_T4_T3_P12ihipStream_tbEUlT_E_NS1_11comp_targetILNS1_3genE10ELNS1_11target_archE1201ELNS1_3gpuE5ELNS1_3repE0EEENS1_30default_config_static_selectorELNS0_4arch9wavefront6targetE0EEEvSR_.num_vgpr, 0
	.set _ZN7rocprim17ROCPRIM_400000_NS6detail17trampoline_kernelINS0_14default_configENS1_32segmented_reduce_config_selectorIN3c104HalfEEEZNS1_21segmented_reduce_implIS3_PKS6_PS6_PKiS6_N6hipcub16HIPCUB_304000_NS6detail27convert_result_type_wrapperISA_SB_N2at6native12_GLOBAL__N_110CustomProdEEEEE10hipError_tPvRmT0_T1_jT2_SS_T4_T3_P12ihipStream_tbEUlT_E_NS1_11comp_targetILNS1_3genE10ELNS1_11target_archE1201ELNS1_3gpuE5ELNS1_3repE0EEENS1_30default_config_static_selectorELNS0_4arch9wavefront6targetE0EEEvSR_.num_agpr, 0
	.set _ZN7rocprim17ROCPRIM_400000_NS6detail17trampoline_kernelINS0_14default_configENS1_32segmented_reduce_config_selectorIN3c104HalfEEEZNS1_21segmented_reduce_implIS3_PKS6_PS6_PKiS6_N6hipcub16HIPCUB_304000_NS6detail27convert_result_type_wrapperISA_SB_N2at6native12_GLOBAL__N_110CustomProdEEEEE10hipError_tPvRmT0_T1_jT2_SS_T4_T3_P12ihipStream_tbEUlT_E_NS1_11comp_targetILNS1_3genE10ELNS1_11target_archE1201ELNS1_3gpuE5ELNS1_3repE0EEENS1_30default_config_static_selectorELNS0_4arch9wavefront6targetE0EEEvSR_.numbered_sgpr, 0
	.set _ZN7rocprim17ROCPRIM_400000_NS6detail17trampoline_kernelINS0_14default_configENS1_32segmented_reduce_config_selectorIN3c104HalfEEEZNS1_21segmented_reduce_implIS3_PKS6_PS6_PKiS6_N6hipcub16HIPCUB_304000_NS6detail27convert_result_type_wrapperISA_SB_N2at6native12_GLOBAL__N_110CustomProdEEEEE10hipError_tPvRmT0_T1_jT2_SS_T4_T3_P12ihipStream_tbEUlT_E_NS1_11comp_targetILNS1_3genE10ELNS1_11target_archE1201ELNS1_3gpuE5ELNS1_3repE0EEENS1_30default_config_static_selectorELNS0_4arch9wavefront6targetE0EEEvSR_.num_named_barrier, 0
	.set _ZN7rocprim17ROCPRIM_400000_NS6detail17trampoline_kernelINS0_14default_configENS1_32segmented_reduce_config_selectorIN3c104HalfEEEZNS1_21segmented_reduce_implIS3_PKS6_PS6_PKiS6_N6hipcub16HIPCUB_304000_NS6detail27convert_result_type_wrapperISA_SB_N2at6native12_GLOBAL__N_110CustomProdEEEEE10hipError_tPvRmT0_T1_jT2_SS_T4_T3_P12ihipStream_tbEUlT_E_NS1_11comp_targetILNS1_3genE10ELNS1_11target_archE1201ELNS1_3gpuE5ELNS1_3repE0EEENS1_30default_config_static_selectorELNS0_4arch9wavefront6targetE0EEEvSR_.private_seg_size, 0
	.set _ZN7rocprim17ROCPRIM_400000_NS6detail17trampoline_kernelINS0_14default_configENS1_32segmented_reduce_config_selectorIN3c104HalfEEEZNS1_21segmented_reduce_implIS3_PKS6_PS6_PKiS6_N6hipcub16HIPCUB_304000_NS6detail27convert_result_type_wrapperISA_SB_N2at6native12_GLOBAL__N_110CustomProdEEEEE10hipError_tPvRmT0_T1_jT2_SS_T4_T3_P12ihipStream_tbEUlT_E_NS1_11comp_targetILNS1_3genE10ELNS1_11target_archE1201ELNS1_3gpuE5ELNS1_3repE0EEENS1_30default_config_static_selectorELNS0_4arch9wavefront6targetE0EEEvSR_.uses_vcc, 0
	.set _ZN7rocprim17ROCPRIM_400000_NS6detail17trampoline_kernelINS0_14default_configENS1_32segmented_reduce_config_selectorIN3c104HalfEEEZNS1_21segmented_reduce_implIS3_PKS6_PS6_PKiS6_N6hipcub16HIPCUB_304000_NS6detail27convert_result_type_wrapperISA_SB_N2at6native12_GLOBAL__N_110CustomProdEEEEE10hipError_tPvRmT0_T1_jT2_SS_T4_T3_P12ihipStream_tbEUlT_E_NS1_11comp_targetILNS1_3genE10ELNS1_11target_archE1201ELNS1_3gpuE5ELNS1_3repE0EEENS1_30default_config_static_selectorELNS0_4arch9wavefront6targetE0EEEvSR_.uses_flat_scratch, 0
	.set _ZN7rocprim17ROCPRIM_400000_NS6detail17trampoline_kernelINS0_14default_configENS1_32segmented_reduce_config_selectorIN3c104HalfEEEZNS1_21segmented_reduce_implIS3_PKS6_PS6_PKiS6_N6hipcub16HIPCUB_304000_NS6detail27convert_result_type_wrapperISA_SB_N2at6native12_GLOBAL__N_110CustomProdEEEEE10hipError_tPvRmT0_T1_jT2_SS_T4_T3_P12ihipStream_tbEUlT_E_NS1_11comp_targetILNS1_3genE10ELNS1_11target_archE1201ELNS1_3gpuE5ELNS1_3repE0EEENS1_30default_config_static_selectorELNS0_4arch9wavefront6targetE0EEEvSR_.has_dyn_sized_stack, 0
	.set _ZN7rocprim17ROCPRIM_400000_NS6detail17trampoline_kernelINS0_14default_configENS1_32segmented_reduce_config_selectorIN3c104HalfEEEZNS1_21segmented_reduce_implIS3_PKS6_PS6_PKiS6_N6hipcub16HIPCUB_304000_NS6detail27convert_result_type_wrapperISA_SB_N2at6native12_GLOBAL__N_110CustomProdEEEEE10hipError_tPvRmT0_T1_jT2_SS_T4_T3_P12ihipStream_tbEUlT_E_NS1_11comp_targetILNS1_3genE10ELNS1_11target_archE1201ELNS1_3gpuE5ELNS1_3repE0EEENS1_30default_config_static_selectorELNS0_4arch9wavefront6targetE0EEEvSR_.has_recursion, 0
	.set _ZN7rocprim17ROCPRIM_400000_NS6detail17trampoline_kernelINS0_14default_configENS1_32segmented_reduce_config_selectorIN3c104HalfEEEZNS1_21segmented_reduce_implIS3_PKS6_PS6_PKiS6_N6hipcub16HIPCUB_304000_NS6detail27convert_result_type_wrapperISA_SB_N2at6native12_GLOBAL__N_110CustomProdEEEEE10hipError_tPvRmT0_T1_jT2_SS_T4_T3_P12ihipStream_tbEUlT_E_NS1_11comp_targetILNS1_3genE10ELNS1_11target_archE1201ELNS1_3gpuE5ELNS1_3repE0EEENS1_30default_config_static_selectorELNS0_4arch9wavefront6targetE0EEEvSR_.has_indirect_call, 0
	.section	.AMDGPU.csdata,"",@progbits
; Kernel info:
; codeLenInByte = 0
; TotalNumSgprs: 0
; NumVgprs: 0
; ScratchSize: 0
; MemoryBound: 0
; FloatMode: 240
; IeeeMode: 1
; LDSByteSize: 0 bytes/workgroup (compile time only)
; SGPRBlocks: 0
; VGPRBlocks: 0
; NumSGPRsForWavesPerEU: 1
; NumVGPRsForWavesPerEU: 1
; NamedBarCnt: 0
; Occupancy: 16
; WaveLimiterHint : 0
; COMPUTE_PGM_RSRC2:SCRATCH_EN: 0
; COMPUTE_PGM_RSRC2:USER_SGPR: 2
; COMPUTE_PGM_RSRC2:TRAP_HANDLER: 0
; COMPUTE_PGM_RSRC2:TGID_X_EN: 1
; COMPUTE_PGM_RSRC2:TGID_Y_EN: 0
; COMPUTE_PGM_RSRC2:TGID_Z_EN: 0
; COMPUTE_PGM_RSRC2:TIDIG_COMP_CNT: 0
	.section	.text._ZN7rocprim17ROCPRIM_400000_NS6detail17trampoline_kernelINS0_14default_configENS1_32segmented_reduce_config_selectorIN3c104HalfEEEZNS1_21segmented_reduce_implIS3_PKS6_PS6_PKiS6_N6hipcub16HIPCUB_304000_NS6detail27convert_result_type_wrapperISA_SB_N2at6native12_GLOBAL__N_110CustomProdEEEEE10hipError_tPvRmT0_T1_jT2_SS_T4_T3_P12ihipStream_tbEUlT_E_NS1_11comp_targetILNS1_3genE4ELNS1_11target_archE910ELNS1_3gpuE8ELNS1_3repE0EEENS1_30default_config_static_selectorELNS0_4arch9wavefront6targetE0EEEvSR_,"axG",@progbits,_ZN7rocprim17ROCPRIM_400000_NS6detail17trampoline_kernelINS0_14default_configENS1_32segmented_reduce_config_selectorIN3c104HalfEEEZNS1_21segmented_reduce_implIS3_PKS6_PS6_PKiS6_N6hipcub16HIPCUB_304000_NS6detail27convert_result_type_wrapperISA_SB_N2at6native12_GLOBAL__N_110CustomProdEEEEE10hipError_tPvRmT0_T1_jT2_SS_T4_T3_P12ihipStream_tbEUlT_E_NS1_11comp_targetILNS1_3genE4ELNS1_11target_archE910ELNS1_3gpuE8ELNS1_3repE0EEENS1_30default_config_static_selectorELNS0_4arch9wavefront6targetE0EEEvSR_,comdat
	.globl	_ZN7rocprim17ROCPRIM_400000_NS6detail17trampoline_kernelINS0_14default_configENS1_32segmented_reduce_config_selectorIN3c104HalfEEEZNS1_21segmented_reduce_implIS3_PKS6_PS6_PKiS6_N6hipcub16HIPCUB_304000_NS6detail27convert_result_type_wrapperISA_SB_N2at6native12_GLOBAL__N_110CustomProdEEEEE10hipError_tPvRmT0_T1_jT2_SS_T4_T3_P12ihipStream_tbEUlT_E_NS1_11comp_targetILNS1_3genE4ELNS1_11target_archE910ELNS1_3gpuE8ELNS1_3repE0EEENS1_30default_config_static_selectorELNS0_4arch9wavefront6targetE0EEEvSR_ ; -- Begin function _ZN7rocprim17ROCPRIM_400000_NS6detail17trampoline_kernelINS0_14default_configENS1_32segmented_reduce_config_selectorIN3c104HalfEEEZNS1_21segmented_reduce_implIS3_PKS6_PS6_PKiS6_N6hipcub16HIPCUB_304000_NS6detail27convert_result_type_wrapperISA_SB_N2at6native12_GLOBAL__N_110CustomProdEEEEE10hipError_tPvRmT0_T1_jT2_SS_T4_T3_P12ihipStream_tbEUlT_E_NS1_11comp_targetILNS1_3genE4ELNS1_11target_archE910ELNS1_3gpuE8ELNS1_3repE0EEENS1_30default_config_static_selectorELNS0_4arch9wavefront6targetE0EEEvSR_
	.p2align	8
	.type	_ZN7rocprim17ROCPRIM_400000_NS6detail17trampoline_kernelINS0_14default_configENS1_32segmented_reduce_config_selectorIN3c104HalfEEEZNS1_21segmented_reduce_implIS3_PKS6_PS6_PKiS6_N6hipcub16HIPCUB_304000_NS6detail27convert_result_type_wrapperISA_SB_N2at6native12_GLOBAL__N_110CustomProdEEEEE10hipError_tPvRmT0_T1_jT2_SS_T4_T3_P12ihipStream_tbEUlT_E_NS1_11comp_targetILNS1_3genE4ELNS1_11target_archE910ELNS1_3gpuE8ELNS1_3repE0EEENS1_30default_config_static_selectorELNS0_4arch9wavefront6targetE0EEEvSR_,@function
_ZN7rocprim17ROCPRIM_400000_NS6detail17trampoline_kernelINS0_14default_configENS1_32segmented_reduce_config_selectorIN3c104HalfEEEZNS1_21segmented_reduce_implIS3_PKS6_PS6_PKiS6_N6hipcub16HIPCUB_304000_NS6detail27convert_result_type_wrapperISA_SB_N2at6native12_GLOBAL__N_110CustomProdEEEEE10hipError_tPvRmT0_T1_jT2_SS_T4_T3_P12ihipStream_tbEUlT_E_NS1_11comp_targetILNS1_3genE4ELNS1_11target_archE910ELNS1_3gpuE8ELNS1_3repE0EEENS1_30default_config_static_selectorELNS0_4arch9wavefront6targetE0EEEvSR_: ; @_ZN7rocprim17ROCPRIM_400000_NS6detail17trampoline_kernelINS0_14default_configENS1_32segmented_reduce_config_selectorIN3c104HalfEEEZNS1_21segmented_reduce_implIS3_PKS6_PS6_PKiS6_N6hipcub16HIPCUB_304000_NS6detail27convert_result_type_wrapperISA_SB_N2at6native12_GLOBAL__N_110CustomProdEEEEE10hipError_tPvRmT0_T1_jT2_SS_T4_T3_P12ihipStream_tbEUlT_E_NS1_11comp_targetILNS1_3genE4ELNS1_11target_archE910ELNS1_3gpuE8ELNS1_3repE0EEENS1_30default_config_static_selectorELNS0_4arch9wavefront6targetE0EEEvSR_
; %bb.0:
	.section	.rodata,"a",@progbits
	.p2align	6, 0x0
	.amdhsa_kernel _ZN7rocprim17ROCPRIM_400000_NS6detail17trampoline_kernelINS0_14default_configENS1_32segmented_reduce_config_selectorIN3c104HalfEEEZNS1_21segmented_reduce_implIS3_PKS6_PS6_PKiS6_N6hipcub16HIPCUB_304000_NS6detail27convert_result_type_wrapperISA_SB_N2at6native12_GLOBAL__N_110CustomProdEEEEE10hipError_tPvRmT0_T1_jT2_SS_T4_T3_P12ihipStream_tbEUlT_E_NS1_11comp_targetILNS1_3genE4ELNS1_11target_archE910ELNS1_3gpuE8ELNS1_3repE0EEENS1_30default_config_static_selectorELNS0_4arch9wavefront6targetE0EEEvSR_
		.amdhsa_group_segment_fixed_size 0
		.amdhsa_private_segment_fixed_size 0
		.amdhsa_kernarg_size 48
		.amdhsa_user_sgpr_count 2
		.amdhsa_user_sgpr_dispatch_ptr 0
		.amdhsa_user_sgpr_queue_ptr 0
		.amdhsa_user_sgpr_kernarg_segment_ptr 1
		.amdhsa_user_sgpr_dispatch_id 0
		.amdhsa_user_sgpr_kernarg_preload_length 0
		.amdhsa_user_sgpr_kernarg_preload_offset 0
		.amdhsa_user_sgpr_private_segment_size 0
		.amdhsa_wavefront_size32 1
		.amdhsa_uses_dynamic_stack 0
		.amdhsa_enable_private_segment 0
		.amdhsa_system_sgpr_workgroup_id_x 1
		.amdhsa_system_sgpr_workgroup_id_y 0
		.amdhsa_system_sgpr_workgroup_id_z 0
		.amdhsa_system_sgpr_workgroup_info 0
		.amdhsa_system_vgpr_workitem_id 0
		.amdhsa_next_free_vgpr 1
		.amdhsa_next_free_sgpr 1
		.amdhsa_named_barrier_count 0
		.amdhsa_reserve_vcc 0
		.amdhsa_float_round_mode_32 0
		.amdhsa_float_round_mode_16_64 0
		.amdhsa_float_denorm_mode_32 3
		.amdhsa_float_denorm_mode_16_64 3
		.amdhsa_fp16_overflow 0
		.amdhsa_memory_ordered 1
		.amdhsa_forward_progress 1
		.amdhsa_inst_pref_size 0
		.amdhsa_round_robin_scheduling 0
		.amdhsa_exception_fp_ieee_invalid_op 0
		.amdhsa_exception_fp_denorm_src 0
		.amdhsa_exception_fp_ieee_div_zero 0
		.amdhsa_exception_fp_ieee_overflow 0
		.amdhsa_exception_fp_ieee_underflow 0
		.amdhsa_exception_fp_ieee_inexact 0
		.amdhsa_exception_int_div_zero 0
	.end_amdhsa_kernel
	.section	.text._ZN7rocprim17ROCPRIM_400000_NS6detail17trampoline_kernelINS0_14default_configENS1_32segmented_reduce_config_selectorIN3c104HalfEEEZNS1_21segmented_reduce_implIS3_PKS6_PS6_PKiS6_N6hipcub16HIPCUB_304000_NS6detail27convert_result_type_wrapperISA_SB_N2at6native12_GLOBAL__N_110CustomProdEEEEE10hipError_tPvRmT0_T1_jT2_SS_T4_T3_P12ihipStream_tbEUlT_E_NS1_11comp_targetILNS1_3genE4ELNS1_11target_archE910ELNS1_3gpuE8ELNS1_3repE0EEENS1_30default_config_static_selectorELNS0_4arch9wavefront6targetE0EEEvSR_,"axG",@progbits,_ZN7rocprim17ROCPRIM_400000_NS6detail17trampoline_kernelINS0_14default_configENS1_32segmented_reduce_config_selectorIN3c104HalfEEEZNS1_21segmented_reduce_implIS3_PKS6_PS6_PKiS6_N6hipcub16HIPCUB_304000_NS6detail27convert_result_type_wrapperISA_SB_N2at6native12_GLOBAL__N_110CustomProdEEEEE10hipError_tPvRmT0_T1_jT2_SS_T4_T3_P12ihipStream_tbEUlT_E_NS1_11comp_targetILNS1_3genE4ELNS1_11target_archE910ELNS1_3gpuE8ELNS1_3repE0EEENS1_30default_config_static_selectorELNS0_4arch9wavefront6targetE0EEEvSR_,comdat
.Lfunc_end105:
	.size	_ZN7rocprim17ROCPRIM_400000_NS6detail17trampoline_kernelINS0_14default_configENS1_32segmented_reduce_config_selectorIN3c104HalfEEEZNS1_21segmented_reduce_implIS3_PKS6_PS6_PKiS6_N6hipcub16HIPCUB_304000_NS6detail27convert_result_type_wrapperISA_SB_N2at6native12_GLOBAL__N_110CustomProdEEEEE10hipError_tPvRmT0_T1_jT2_SS_T4_T3_P12ihipStream_tbEUlT_E_NS1_11comp_targetILNS1_3genE4ELNS1_11target_archE910ELNS1_3gpuE8ELNS1_3repE0EEENS1_30default_config_static_selectorELNS0_4arch9wavefront6targetE0EEEvSR_, .Lfunc_end105-_ZN7rocprim17ROCPRIM_400000_NS6detail17trampoline_kernelINS0_14default_configENS1_32segmented_reduce_config_selectorIN3c104HalfEEEZNS1_21segmented_reduce_implIS3_PKS6_PS6_PKiS6_N6hipcub16HIPCUB_304000_NS6detail27convert_result_type_wrapperISA_SB_N2at6native12_GLOBAL__N_110CustomProdEEEEE10hipError_tPvRmT0_T1_jT2_SS_T4_T3_P12ihipStream_tbEUlT_E_NS1_11comp_targetILNS1_3genE4ELNS1_11target_archE910ELNS1_3gpuE8ELNS1_3repE0EEENS1_30default_config_static_selectorELNS0_4arch9wavefront6targetE0EEEvSR_
                                        ; -- End function
	.set _ZN7rocprim17ROCPRIM_400000_NS6detail17trampoline_kernelINS0_14default_configENS1_32segmented_reduce_config_selectorIN3c104HalfEEEZNS1_21segmented_reduce_implIS3_PKS6_PS6_PKiS6_N6hipcub16HIPCUB_304000_NS6detail27convert_result_type_wrapperISA_SB_N2at6native12_GLOBAL__N_110CustomProdEEEEE10hipError_tPvRmT0_T1_jT2_SS_T4_T3_P12ihipStream_tbEUlT_E_NS1_11comp_targetILNS1_3genE4ELNS1_11target_archE910ELNS1_3gpuE8ELNS1_3repE0EEENS1_30default_config_static_selectorELNS0_4arch9wavefront6targetE0EEEvSR_.num_vgpr, 0
	.set _ZN7rocprim17ROCPRIM_400000_NS6detail17trampoline_kernelINS0_14default_configENS1_32segmented_reduce_config_selectorIN3c104HalfEEEZNS1_21segmented_reduce_implIS3_PKS6_PS6_PKiS6_N6hipcub16HIPCUB_304000_NS6detail27convert_result_type_wrapperISA_SB_N2at6native12_GLOBAL__N_110CustomProdEEEEE10hipError_tPvRmT0_T1_jT2_SS_T4_T3_P12ihipStream_tbEUlT_E_NS1_11comp_targetILNS1_3genE4ELNS1_11target_archE910ELNS1_3gpuE8ELNS1_3repE0EEENS1_30default_config_static_selectorELNS0_4arch9wavefront6targetE0EEEvSR_.num_agpr, 0
	.set _ZN7rocprim17ROCPRIM_400000_NS6detail17trampoline_kernelINS0_14default_configENS1_32segmented_reduce_config_selectorIN3c104HalfEEEZNS1_21segmented_reduce_implIS3_PKS6_PS6_PKiS6_N6hipcub16HIPCUB_304000_NS6detail27convert_result_type_wrapperISA_SB_N2at6native12_GLOBAL__N_110CustomProdEEEEE10hipError_tPvRmT0_T1_jT2_SS_T4_T3_P12ihipStream_tbEUlT_E_NS1_11comp_targetILNS1_3genE4ELNS1_11target_archE910ELNS1_3gpuE8ELNS1_3repE0EEENS1_30default_config_static_selectorELNS0_4arch9wavefront6targetE0EEEvSR_.numbered_sgpr, 0
	.set _ZN7rocprim17ROCPRIM_400000_NS6detail17trampoline_kernelINS0_14default_configENS1_32segmented_reduce_config_selectorIN3c104HalfEEEZNS1_21segmented_reduce_implIS3_PKS6_PS6_PKiS6_N6hipcub16HIPCUB_304000_NS6detail27convert_result_type_wrapperISA_SB_N2at6native12_GLOBAL__N_110CustomProdEEEEE10hipError_tPvRmT0_T1_jT2_SS_T4_T3_P12ihipStream_tbEUlT_E_NS1_11comp_targetILNS1_3genE4ELNS1_11target_archE910ELNS1_3gpuE8ELNS1_3repE0EEENS1_30default_config_static_selectorELNS0_4arch9wavefront6targetE0EEEvSR_.num_named_barrier, 0
	.set _ZN7rocprim17ROCPRIM_400000_NS6detail17trampoline_kernelINS0_14default_configENS1_32segmented_reduce_config_selectorIN3c104HalfEEEZNS1_21segmented_reduce_implIS3_PKS6_PS6_PKiS6_N6hipcub16HIPCUB_304000_NS6detail27convert_result_type_wrapperISA_SB_N2at6native12_GLOBAL__N_110CustomProdEEEEE10hipError_tPvRmT0_T1_jT2_SS_T4_T3_P12ihipStream_tbEUlT_E_NS1_11comp_targetILNS1_3genE4ELNS1_11target_archE910ELNS1_3gpuE8ELNS1_3repE0EEENS1_30default_config_static_selectorELNS0_4arch9wavefront6targetE0EEEvSR_.private_seg_size, 0
	.set _ZN7rocprim17ROCPRIM_400000_NS6detail17trampoline_kernelINS0_14default_configENS1_32segmented_reduce_config_selectorIN3c104HalfEEEZNS1_21segmented_reduce_implIS3_PKS6_PS6_PKiS6_N6hipcub16HIPCUB_304000_NS6detail27convert_result_type_wrapperISA_SB_N2at6native12_GLOBAL__N_110CustomProdEEEEE10hipError_tPvRmT0_T1_jT2_SS_T4_T3_P12ihipStream_tbEUlT_E_NS1_11comp_targetILNS1_3genE4ELNS1_11target_archE910ELNS1_3gpuE8ELNS1_3repE0EEENS1_30default_config_static_selectorELNS0_4arch9wavefront6targetE0EEEvSR_.uses_vcc, 0
	.set _ZN7rocprim17ROCPRIM_400000_NS6detail17trampoline_kernelINS0_14default_configENS1_32segmented_reduce_config_selectorIN3c104HalfEEEZNS1_21segmented_reduce_implIS3_PKS6_PS6_PKiS6_N6hipcub16HIPCUB_304000_NS6detail27convert_result_type_wrapperISA_SB_N2at6native12_GLOBAL__N_110CustomProdEEEEE10hipError_tPvRmT0_T1_jT2_SS_T4_T3_P12ihipStream_tbEUlT_E_NS1_11comp_targetILNS1_3genE4ELNS1_11target_archE910ELNS1_3gpuE8ELNS1_3repE0EEENS1_30default_config_static_selectorELNS0_4arch9wavefront6targetE0EEEvSR_.uses_flat_scratch, 0
	.set _ZN7rocprim17ROCPRIM_400000_NS6detail17trampoline_kernelINS0_14default_configENS1_32segmented_reduce_config_selectorIN3c104HalfEEEZNS1_21segmented_reduce_implIS3_PKS6_PS6_PKiS6_N6hipcub16HIPCUB_304000_NS6detail27convert_result_type_wrapperISA_SB_N2at6native12_GLOBAL__N_110CustomProdEEEEE10hipError_tPvRmT0_T1_jT2_SS_T4_T3_P12ihipStream_tbEUlT_E_NS1_11comp_targetILNS1_3genE4ELNS1_11target_archE910ELNS1_3gpuE8ELNS1_3repE0EEENS1_30default_config_static_selectorELNS0_4arch9wavefront6targetE0EEEvSR_.has_dyn_sized_stack, 0
	.set _ZN7rocprim17ROCPRIM_400000_NS6detail17trampoline_kernelINS0_14default_configENS1_32segmented_reduce_config_selectorIN3c104HalfEEEZNS1_21segmented_reduce_implIS3_PKS6_PS6_PKiS6_N6hipcub16HIPCUB_304000_NS6detail27convert_result_type_wrapperISA_SB_N2at6native12_GLOBAL__N_110CustomProdEEEEE10hipError_tPvRmT0_T1_jT2_SS_T4_T3_P12ihipStream_tbEUlT_E_NS1_11comp_targetILNS1_3genE4ELNS1_11target_archE910ELNS1_3gpuE8ELNS1_3repE0EEENS1_30default_config_static_selectorELNS0_4arch9wavefront6targetE0EEEvSR_.has_recursion, 0
	.set _ZN7rocprim17ROCPRIM_400000_NS6detail17trampoline_kernelINS0_14default_configENS1_32segmented_reduce_config_selectorIN3c104HalfEEEZNS1_21segmented_reduce_implIS3_PKS6_PS6_PKiS6_N6hipcub16HIPCUB_304000_NS6detail27convert_result_type_wrapperISA_SB_N2at6native12_GLOBAL__N_110CustomProdEEEEE10hipError_tPvRmT0_T1_jT2_SS_T4_T3_P12ihipStream_tbEUlT_E_NS1_11comp_targetILNS1_3genE4ELNS1_11target_archE910ELNS1_3gpuE8ELNS1_3repE0EEENS1_30default_config_static_selectorELNS0_4arch9wavefront6targetE0EEEvSR_.has_indirect_call, 0
	.section	.AMDGPU.csdata,"",@progbits
; Kernel info:
; codeLenInByte = 0
; TotalNumSgprs: 0
; NumVgprs: 0
; ScratchSize: 0
; MemoryBound: 0
; FloatMode: 240
; IeeeMode: 1
; LDSByteSize: 0 bytes/workgroup (compile time only)
; SGPRBlocks: 0
; VGPRBlocks: 0
; NumSGPRsForWavesPerEU: 1
; NumVGPRsForWavesPerEU: 1
; NamedBarCnt: 0
; Occupancy: 16
; WaveLimiterHint : 0
; COMPUTE_PGM_RSRC2:SCRATCH_EN: 0
; COMPUTE_PGM_RSRC2:USER_SGPR: 2
; COMPUTE_PGM_RSRC2:TRAP_HANDLER: 0
; COMPUTE_PGM_RSRC2:TGID_X_EN: 1
; COMPUTE_PGM_RSRC2:TGID_Y_EN: 0
; COMPUTE_PGM_RSRC2:TGID_Z_EN: 0
; COMPUTE_PGM_RSRC2:TIDIG_COMP_CNT: 0
	.section	.text._ZN7rocprim17ROCPRIM_400000_NS6detail17trampoline_kernelINS0_14default_configENS1_32segmented_reduce_config_selectorIN3c104HalfEEEZNS1_21segmented_reduce_implIS3_PKS6_PS6_PKiS6_N6hipcub16HIPCUB_304000_NS6detail27convert_result_type_wrapperISA_SB_N2at6native12_GLOBAL__N_110CustomProdEEEEE10hipError_tPvRmT0_T1_jT2_SS_T4_T3_P12ihipStream_tbEUlT_E_NS1_11comp_targetILNS1_3genE3ELNS1_11target_archE908ELNS1_3gpuE7ELNS1_3repE0EEENS1_30default_config_static_selectorELNS0_4arch9wavefront6targetE0EEEvSR_,"axG",@progbits,_ZN7rocprim17ROCPRIM_400000_NS6detail17trampoline_kernelINS0_14default_configENS1_32segmented_reduce_config_selectorIN3c104HalfEEEZNS1_21segmented_reduce_implIS3_PKS6_PS6_PKiS6_N6hipcub16HIPCUB_304000_NS6detail27convert_result_type_wrapperISA_SB_N2at6native12_GLOBAL__N_110CustomProdEEEEE10hipError_tPvRmT0_T1_jT2_SS_T4_T3_P12ihipStream_tbEUlT_E_NS1_11comp_targetILNS1_3genE3ELNS1_11target_archE908ELNS1_3gpuE7ELNS1_3repE0EEENS1_30default_config_static_selectorELNS0_4arch9wavefront6targetE0EEEvSR_,comdat
	.globl	_ZN7rocprim17ROCPRIM_400000_NS6detail17trampoline_kernelINS0_14default_configENS1_32segmented_reduce_config_selectorIN3c104HalfEEEZNS1_21segmented_reduce_implIS3_PKS6_PS6_PKiS6_N6hipcub16HIPCUB_304000_NS6detail27convert_result_type_wrapperISA_SB_N2at6native12_GLOBAL__N_110CustomProdEEEEE10hipError_tPvRmT0_T1_jT2_SS_T4_T3_P12ihipStream_tbEUlT_E_NS1_11comp_targetILNS1_3genE3ELNS1_11target_archE908ELNS1_3gpuE7ELNS1_3repE0EEENS1_30default_config_static_selectorELNS0_4arch9wavefront6targetE0EEEvSR_ ; -- Begin function _ZN7rocprim17ROCPRIM_400000_NS6detail17trampoline_kernelINS0_14default_configENS1_32segmented_reduce_config_selectorIN3c104HalfEEEZNS1_21segmented_reduce_implIS3_PKS6_PS6_PKiS6_N6hipcub16HIPCUB_304000_NS6detail27convert_result_type_wrapperISA_SB_N2at6native12_GLOBAL__N_110CustomProdEEEEE10hipError_tPvRmT0_T1_jT2_SS_T4_T3_P12ihipStream_tbEUlT_E_NS1_11comp_targetILNS1_3genE3ELNS1_11target_archE908ELNS1_3gpuE7ELNS1_3repE0EEENS1_30default_config_static_selectorELNS0_4arch9wavefront6targetE0EEEvSR_
	.p2align	8
	.type	_ZN7rocprim17ROCPRIM_400000_NS6detail17trampoline_kernelINS0_14default_configENS1_32segmented_reduce_config_selectorIN3c104HalfEEEZNS1_21segmented_reduce_implIS3_PKS6_PS6_PKiS6_N6hipcub16HIPCUB_304000_NS6detail27convert_result_type_wrapperISA_SB_N2at6native12_GLOBAL__N_110CustomProdEEEEE10hipError_tPvRmT0_T1_jT2_SS_T4_T3_P12ihipStream_tbEUlT_E_NS1_11comp_targetILNS1_3genE3ELNS1_11target_archE908ELNS1_3gpuE7ELNS1_3repE0EEENS1_30default_config_static_selectorELNS0_4arch9wavefront6targetE0EEEvSR_,@function
_ZN7rocprim17ROCPRIM_400000_NS6detail17trampoline_kernelINS0_14default_configENS1_32segmented_reduce_config_selectorIN3c104HalfEEEZNS1_21segmented_reduce_implIS3_PKS6_PS6_PKiS6_N6hipcub16HIPCUB_304000_NS6detail27convert_result_type_wrapperISA_SB_N2at6native12_GLOBAL__N_110CustomProdEEEEE10hipError_tPvRmT0_T1_jT2_SS_T4_T3_P12ihipStream_tbEUlT_E_NS1_11comp_targetILNS1_3genE3ELNS1_11target_archE908ELNS1_3gpuE7ELNS1_3repE0EEENS1_30default_config_static_selectorELNS0_4arch9wavefront6targetE0EEEvSR_: ; @_ZN7rocprim17ROCPRIM_400000_NS6detail17trampoline_kernelINS0_14default_configENS1_32segmented_reduce_config_selectorIN3c104HalfEEEZNS1_21segmented_reduce_implIS3_PKS6_PS6_PKiS6_N6hipcub16HIPCUB_304000_NS6detail27convert_result_type_wrapperISA_SB_N2at6native12_GLOBAL__N_110CustomProdEEEEE10hipError_tPvRmT0_T1_jT2_SS_T4_T3_P12ihipStream_tbEUlT_E_NS1_11comp_targetILNS1_3genE3ELNS1_11target_archE908ELNS1_3gpuE7ELNS1_3repE0EEENS1_30default_config_static_selectorELNS0_4arch9wavefront6targetE0EEEvSR_
; %bb.0:
	.section	.rodata,"a",@progbits
	.p2align	6, 0x0
	.amdhsa_kernel _ZN7rocprim17ROCPRIM_400000_NS6detail17trampoline_kernelINS0_14default_configENS1_32segmented_reduce_config_selectorIN3c104HalfEEEZNS1_21segmented_reduce_implIS3_PKS6_PS6_PKiS6_N6hipcub16HIPCUB_304000_NS6detail27convert_result_type_wrapperISA_SB_N2at6native12_GLOBAL__N_110CustomProdEEEEE10hipError_tPvRmT0_T1_jT2_SS_T4_T3_P12ihipStream_tbEUlT_E_NS1_11comp_targetILNS1_3genE3ELNS1_11target_archE908ELNS1_3gpuE7ELNS1_3repE0EEENS1_30default_config_static_selectorELNS0_4arch9wavefront6targetE0EEEvSR_
		.amdhsa_group_segment_fixed_size 0
		.amdhsa_private_segment_fixed_size 0
		.amdhsa_kernarg_size 48
		.amdhsa_user_sgpr_count 2
		.amdhsa_user_sgpr_dispatch_ptr 0
		.amdhsa_user_sgpr_queue_ptr 0
		.amdhsa_user_sgpr_kernarg_segment_ptr 1
		.amdhsa_user_sgpr_dispatch_id 0
		.amdhsa_user_sgpr_kernarg_preload_length 0
		.amdhsa_user_sgpr_kernarg_preload_offset 0
		.amdhsa_user_sgpr_private_segment_size 0
		.amdhsa_wavefront_size32 1
		.amdhsa_uses_dynamic_stack 0
		.amdhsa_enable_private_segment 0
		.amdhsa_system_sgpr_workgroup_id_x 1
		.amdhsa_system_sgpr_workgroup_id_y 0
		.amdhsa_system_sgpr_workgroup_id_z 0
		.amdhsa_system_sgpr_workgroup_info 0
		.amdhsa_system_vgpr_workitem_id 0
		.amdhsa_next_free_vgpr 1
		.amdhsa_next_free_sgpr 1
		.amdhsa_named_barrier_count 0
		.amdhsa_reserve_vcc 0
		.amdhsa_float_round_mode_32 0
		.amdhsa_float_round_mode_16_64 0
		.amdhsa_float_denorm_mode_32 3
		.amdhsa_float_denorm_mode_16_64 3
		.amdhsa_fp16_overflow 0
		.amdhsa_memory_ordered 1
		.amdhsa_forward_progress 1
		.amdhsa_inst_pref_size 0
		.amdhsa_round_robin_scheduling 0
		.amdhsa_exception_fp_ieee_invalid_op 0
		.amdhsa_exception_fp_denorm_src 0
		.amdhsa_exception_fp_ieee_div_zero 0
		.amdhsa_exception_fp_ieee_overflow 0
		.amdhsa_exception_fp_ieee_underflow 0
		.amdhsa_exception_fp_ieee_inexact 0
		.amdhsa_exception_int_div_zero 0
	.end_amdhsa_kernel
	.section	.text._ZN7rocprim17ROCPRIM_400000_NS6detail17trampoline_kernelINS0_14default_configENS1_32segmented_reduce_config_selectorIN3c104HalfEEEZNS1_21segmented_reduce_implIS3_PKS6_PS6_PKiS6_N6hipcub16HIPCUB_304000_NS6detail27convert_result_type_wrapperISA_SB_N2at6native12_GLOBAL__N_110CustomProdEEEEE10hipError_tPvRmT0_T1_jT2_SS_T4_T3_P12ihipStream_tbEUlT_E_NS1_11comp_targetILNS1_3genE3ELNS1_11target_archE908ELNS1_3gpuE7ELNS1_3repE0EEENS1_30default_config_static_selectorELNS0_4arch9wavefront6targetE0EEEvSR_,"axG",@progbits,_ZN7rocprim17ROCPRIM_400000_NS6detail17trampoline_kernelINS0_14default_configENS1_32segmented_reduce_config_selectorIN3c104HalfEEEZNS1_21segmented_reduce_implIS3_PKS6_PS6_PKiS6_N6hipcub16HIPCUB_304000_NS6detail27convert_result_type_wrapperISA_SB_N2at6native12_GLOBAL__N_110CustomProdEEEEE10hipError_tPvRmT0_T1_jT2_SS_T4_T3_P12ihipStream_tbEUlT_E_NS1_11comp_targetILNS1_3genE3ELNS1_11target_archE908ELNS1_3gpuE7ELNS1_3repE0EEENS1_30default_config_static_selectorELNS0_4arch9wavefront6targetE0EEEvSR_,comdat
.Lfunc_end106:
	.size	_ZN7rocprim17ROCPRIM_400000_NS6detail17trampoline_kernelINS0_14default_configENS1_32segmented_reduce_config_selectorIN3c104HalfEEEZNS1_21segmented_reduce_implIS3_PKS6_PS6_PKiS6_N6hipcub16HIPCUB_304000_NS6detail27convert_result_type_wrapperISA_SB_N2at6native12_GLOBAL__N_110CustomProdEEEEE10hipError_tPvRmT0_T1_jT2_SS_T4_T3_P12ihipStream_tbEUlT_E_NS1_11comp_targetILNS1_3genE3ELNS1_11target_archE908ELNS1_3gpuE7ELNS1_3repE0EEENS1_30default_config_static_selectorELNS0_4arch9wavefront6targetE0EEEvSR_, .Lfunc_end106-_ZN7rocprim17ROCPRIM_400000_NS6detail17trampoline_kernelINS0_14default_configENS1_32segmented_reduce_config_selectorIN3c104HalfEEEZNS1_21segmented_reduce_implIS3_PKS6_PS6_PKiS6_N6hipcub16HIPCUB_304000_NS6detail27convert_result_type_wrapperISA_SB_N2at6native12_GLOBAL__N_110CustomProdEEEEE10hipError_tPvRmT0_T1_jT2_SS_T4_T3_P12ihipStream_tbEUlT_E_NS1_11comp_targetILNS1_3genE3ELNS1_11target_archE908ELNS1_3gpuE7ELNS1_3repE0EEENS1_30default_config_static_selectorELNS0_4arch9wavefront6targetE0EEEvSR_
                                        ; -- End function
	.set _ZN7rocprim17ROCPRIM_400000_NS6detail17trampoline_kernelINS0_14default_configENS1_32segmented_reduce_config_selectorIN3c104HalfEEEZNS1_21segmented_reduce_implIS3_PKS6_PS6_PKiS6_N6hipcub16HIPCUB_304000_NS6detail27convert_result_type_wrapperISA_SB_N2at6native12_GLOBAL__N_110CustomProdEEEEE10hipError_tPvRmT0_T1_jT2_SS_T4_T3_P12ihipStream_tbEUlT_E_NS1_11comp_targetILNS1_3genE3ELNS1_11target_archE908ELNS1_3gpuE7ELNS1_3repE0EEENS1_30default_config_static_selectorELNS0_4arch9wavefront6targetE0EEEvSR_.num_vgpr, 0
	.set _ZN7rocprim17ROCPRIM_400000_NS6detail17trampoline_kernelINS0_14default_configENS1_32segmented_reduce_config_selectorIN3c104HalfEEEZNS1_21segmented_reduce_implIS3_PKS6_PS6_PKiS6_N6hipcub16HIPCUB_304000_NS6detail27convert_result_type_wrapperISA_SB_N2at6native12_GLOBAL__N_110CustomProdEEEEE10hipError_tPvRmT0_T1_jT2_SS_T4_T3_P12ihipStream_tbEUlT_E_NS1_11comp_targetILNS1_3genE3ELNS1_11target_archE908ELNS1_3gpuE7ELNS1_3repE0EEENS1_30default_config_static_selectorELNS0_4arch9wavefront6targetE0EEEvSR_.num_agpr, 0
	.set _ZN7rocprim17ROCPRIM_400000_NS6detail17trampoline_kernelINS0_14default_configENS1_32segmented_reduce_config_selectorIN3c104HalfEEEZNS1_21segmented_reduce_implIS3_PKS6_PS6_PKiS6_N6hipcub16HIPCUB_304000_NS6detail27convert_result_type_wrapperISA_SB_N2at6native12_GLOBAL__N_110CustomProdEEEEE10hipError_tPvRmT0_T1_jT2_SS_T4_T3_P12ihipStream_tbEUlT_E_NS1_11comp_targetILNS1_3genE3ELNS1_11target_archE908ELNS1_3gpuE7ELNS1_3repE0EEENS1_30default_config_static_selectorELNS0_4arch9wavefront6targetE0EEEvSR_.numbered_sgpr, 0
	.set _ZN7rocprim17ROCPRIM_400000_NS6detail17trampoline_kernelINS0_14default_configENS1_32segmented_reduce_config_selectorIN3c104HalfEEEZNS1_21segmented_reduce_implIS3_PKS6_PS6_PKiS6_N6hipcub16HIPCUB_304000_NS6detail27convert_result_type_wrapperISA_SB_N2at6native12_GLOBAL__N_110CustomProdEEEEE10hipError_tPvRmT0_T1_jT2_SS_T4_T3_P12ihipStream_tbEUlT_E_NS1_11comp_targetILNS1_3genE3ELNS1_11target_archE908ELNS1_3gpuE7ELNS1_3repE0EEENS1_30default_config_static_selectorELNS0_4arch9wavefront6targetE0EEEvSR_.num_named_barrier, 0
	.set _ZN7rocprim17ROCPRIM_400000_NS6detail17trampoline_kernelINS0_14default_configENS1_32segmented_reduce_config_selectorIN3c104HalfEEEZNS1_21segmented_reduce_implIS3_PKS6_PS6_PKiS6_N6hipcub16HIPCUB_304000_NS6detail27convert_result_type_wrapperISA_SB_N2at6native12_GLOBAL__N_110CustomProdEEEEE10hipError_tPvRmT0_T1_jT2_SS_T4_T3_P12ihipStream_tbEUlT_E_NS1_11comp_targetILNS1_3genE3ELNS1_11target_archE908ELNS1_3gpuE7ELNS1_3repE0EEENS1_30default_config_static_selectorELNS0_4arch9wavefront6targetE0EEEvSR_.private_seg_size, 0
	.set _ZN7rocprim17ROCPRIM_400000_NS6detail17trampoline_kernelINS0_14default_configENS1_32segmented_reduce_config_selectorIN3c104HalfEEEZNS1_21segmented_reduce_implIS3_PKS6_PS6_PKiS6_N6hipcub16HIPCUB_304000_NS6detail27convert_result_type_wrapperISA_SB_N2at6native12_GLOBAL__N_110CustomProdEEEEE10hipError_tPvRmT0_T1_jT2_SS_T4_T3_P12ihipStream_tbEUlT_E_NS1_11comp_targetILNS1_3genE3ELNS1_11target_archE908ELNS1_3gpuE7ELNS1_3repE0EEENS1_30default_config_static_selectorELNS0_4arch9wavefront6targetE0EEEvSR_.uses_vcc, 0
	.set _ZN7rocprim17ROCPRIM_400000_NS6detail17trampoline_kernelINS0_14default_configENS1_32segmented_reduce_config_selectorIN3c104HalfEEEZNS1_21segmented_reduce_implIS3_PKS6_PS6_PKiS6_N6hipcub16HIPCUB_304000_NS6detail27convert_result_type_wrapperISA_SB_N2at6native12_GLOBAL__N_110CustomProdEEEEE10hipError_tPvRmT0_T1_jT2_SS_T4_T3_P12ihipStream_tbEUlT_E_NS1_11comp_targetILNS1_3genE3ELNS1_11target_archE908ELNS1_3gpuE7ELNS1_3repE0EEENS1_30default_config_static_selectorELNS0_4arch9wavefront6targetE0EEEvSR_.uses_flat_scratch, 0
	.set _ZN7rocprim17ROCPRIM_400000_NS6detail17trampoline_kernelINS0_14default_configENS1_32segmented_reduce_config_selectorIN3c104HalfEEEZNS1_21segmented_reduce_implIS3_PKS6_PS6_PKiS6_N6hipcub16HIPCUB_304000_NS6detail27convert_result_type_wrapperISA_SB_N2at6native12_GLOBAL__N_110CustomProdEEEEE10hipError_tPvRmT0_T1_jT2_SS_T4_T3_P12ihipStream_tbEUlT_E_NS1_11comp_targetILNS1_3genE3ELNS1_11target_archE908ELNS1_3gpuE7ELNS1_3repE0EEENS1_30default_config_static_selectorELNS0_4arch9wavefront6targetE0EEEvSR_.has_dyn_sized_stack, 0
	.set _ZN7rocprim17ROCPRIM_400000_NS6detail17trampoline_kernelINS0_14default_configENS1_32segmented_reduce_config_selectorIN3c104HalfEEEZNS1_21segmented_reduce_implIS3_PKS6_PS6_PKiS6_N6hipcub16HIPCUB_304000_NS6detail27convert_result_type_wrapperISA_SB_N2at6native12_GLOBAL__N_110CustomProdEEEEE10hipError_tPvRmT0_T1_jT2_SS_T4_T3_P12ihipStream_tbEUlT_E_NS1_11comp_targetILNS1_3genE3ELNS1_11target_archE908ELNS1_3gpuE7ELNS1_3repE0EEENS1_30default_config_static_selectorELNS0_4arch9wavefront6targetE0EEEvSR_.has_recursion, 0
	.set _ZN7rocprim17ROCPRIM_400000_NS6detail17trampoline_kernelINS0_14default_configENS1_32segmented_reduce_config_selectorIN3c104HalfEEEZNS1_21segmented_reduce_implIS3_PKS6_PS6_PKiS6_N6hipcub16HIPCUB_304000_NS6detail27convert_result_type_wrapperISA_SB_N2at6native12_GLOBAL__N_110CustomProdEEEEE10hipError_tPvRmT0_T1_jT2_SS_T4_T3_P12ihipStream_tbEUlT_E_NS1_11comp_targetILNS1_3genE3ELNS1_11target_archE908ELNS1_3gpuE7ELNS1_3repE0EEENS1_30default_config_static_selectorELNS0_4arch9wavefront6targetE0EEEvSR_.has_indirect_call, 0
	.section	.AMDGPU.csdata,"",@progbits
; Kernel info:
; codeLenInByte = 0
; TotalNumSgprs: 0
; NumVgprs: 0
; ScratchSize: 0
; MemoryBound: 0
; FloatMode: 240
; IeeeMode: 1
; LDSByteSize: 0 bytes/workgroup (compile time only)
; SGPRBlocks: 0
; VGPRBlocks: 0
; NumSGPRsForWavesPerEU: 1
; NumVGPRsForWavesPerEU: 1
; NamedBarCnt: 0
; Occupancy: 16
; WaveLimiterHint : 0
; COMPUTE_PGM_RSRC2:SCRATCH_EN: 0
; COMPUTE_PGM_RSRC2:USER_SGPR: 2
; COMPUTE_PGM_RSRC2:TRAP_HANDLER: 0
; COMPUTE_PGM_RSRC2:TGID_X_EN: 1
; COMPUTE_PGM_RSRC2:TGID_Y_EN: 0
; COMPUTE_PGM_RSRC2:TGID_Z_EN: 0
; COMPUTE_PGM_RSRC2:TIDIG_COMP_CNT: 0
	.section	.text._ZN7rocprim17ROCPRIM_400000_NS6detail17trampoline_kernelINS0_14default_configENS1_32segmented_reduce_config_selectorIN3c104HalfEEEZNS1_21segmented_reduce_implIS3_PKS6_PS6_PKiS6_N6hipcub16HIPCUB_304000_NS6detail27convert_result_type_wrapperISA_SB_N2at6native12_GLOBAL__N_110CustomProdEEEEE10hipError_tPvRmT0_T1_jT2_SS_T4_T3_P12ihipStream_tbEUlT_E_NS1_11comp_targetILNS1_3genE2ELNS1_11target_archE906ELNS1_3gpuE6ELNS1_3repE0EEENS1_30default_config_static_selectorELNS0_4arch9wavefront6targetE0EEEvSR_,"axG",@progbits,_ZN7rocprim17ROCPRIM_400000_NS6detail17trampoline_kernelINS0_14default_configENS1_32segmented_reduce_config_selectorIN3c104HalfEEEZNS1_21segmented_reduce_implIS3_PKS6_PS6_PKiS6_N6hipcub16HIPCUB_304000_NS6detail27convert_result_type_wrapperISA_SB_N2at6native12_GLOBAL__N_110CustomProdEEEEE10hipError_tPvRmT0_T1_jT2_SS_T4_T3_P12ihipStream_tbEUlT_E_NS1_11comp_targetILNS1_3genE2ELNS1_11target_archE906ELNS1_3gpuE6ELNS1_3repE0EEENS1_30default_config_static_selectorELNS0_4arch9wavefront6targetE0EEEvSR_,comdat
	.globl	_ZN7rocprim17ROCPRIM_400000_NS6detail17trampoline_kernelINS0_14default_configENS1_32segmented_reduce_config_selectorIN3c104HalfEEEZNS1_21segmented_reduce_implIS3_PKS6_PS6_PKiS6_N6hipcub16HIPCUB_304000_NS6detail27convert_result_type_wrapperISA_SB_N2at6native12_GLOBAL__N_110CustomProdEEEEE10hipError_tPvRmT0_T1_jT2_SS_T4_T3_P12ihipStream_tbEUlT_E_NS1_11comp_targetILNS1_3genE2ELNS1_11target_archE906ELNS1_3gpuE6ELNS1_3repE0EEENS1_30default_config_static_selectorELNS0_4arch9wavefront6targetE0EEEvSR_ ; -- Begin function _ZN7rocprim17ROCPRIM_400000_NS6detail17trampoline_kernelINS0_14default_configENS1_32segmented_reduce_config_selectorIN3c104HalfEEEZNS1_21segmented_reduce_implIS3_PKS6_PS6_PKiS6_N6hipcub16HIPCUB_304000_NS6detail27convert_result_type_wrapperISA_SB_N2at6native12_GLOBAL__N_110CustomProdEEEEE10hipError_tPvRmT0_T1_jT2_SS_T4_T3_P12ihipStream_tbEUlT_E_NS1_11comp_targetILNS1_3genE2ELNS1_11target_archE906ELNS1_3gpuE6ELNS1_3repE0EEENS1_30default_config_static_selectorELNS0_4arch9wavefront6targetE0EEEvSR_
	.p2align	8
	.type	_ZN7rocprim17ROCPRIM_400000_NS6detail17trampoline_kernelINS0_14default_configENS1_32segmented_reduce_config_selectorIN3c104HalfEEEZNS1_21segmented_reduce_implIS3_PKS6_PS6_PKiS6_N6hipcub16HIPCUB_304000_NS6detail27convert_result_type_wrapperISA_SB_N2at6native12_GLOBAL__N_110CustomProdEEEEE10hipError_tPvRmT0_T1_jT2_SS_T4_T3_P12ihipStream_tbEUlT_E_NS1_11comp_targetILNS1_3genE2ELNS1_11target_archE906ELNS1_3gpuE6ELNS1_3repE0EEENS1_30default_config_static_selectorELNS0_4arch9wavefront6targetE0EEEvSR_,@function
_ZN7rocprim17ROCPRIM_400000_NS6detail17trampoline_kernelINS0_14default_configENS1_32segmented_reduce_config_selectorIN3c104HalfEEEZNS1_21segmented_reduce_implIS3_PKS6_PS6_PKiS6_N6hipcub16HIPCUB_304000_NS6detail27convert_result_type_wrapperISA_SB_N2at6native12_GLOBAL__N_110CustomProdEEEEE10hipError_tPvRmT0_T1_jT2_SS_T4_T3_P12ihipStream_tbEUlT_E_NS1_11comp_targetILNS1_3genE2ELNS1_11target_archE906ELNS1_3gpuE6ELNS1_3repE0EEENS1_30default_config_static_selectorELNS0_4arch9wavefront6targetE0EEEvSR_: ; @_ZN7rocprim17ROCPRIM_400000_NS6detail17trampoline_kernelINS0_14default_configENS1_32segmented_reduce_config_selectorIN3c104HalfEEEZNS1_21segmented_reduce_implIS3_PKS6_PS6_PKiS6_N6hipcub16HIPCUB_304000_NS6detail27convert_result_type_wrapperISA_SB_N2at6native12_GLOBAL__N_110CustomProdEEEEE10hipError_tPvRmT0_T1_jT2_SS_T4_T3_P12ihipStream_tbEUlT_E_NS1_11comp_targetILNS1_3genE2ELNS1_11target_archE906ELNS1_3gpuE6ELNS1_3repE0EEENS1_30default_config_static_selectorELNS0_4arch9wavefront6targetE0EEEvSR_
; %bb.0:
	.section	.rodata,"a",@progbits
	.p2align	6, 0x0
	.amdhsa_kernel _ZN7rocprim17ROCPRIM_400000_NS6detail17trampoline_kernelINS0_14default_configENS1_32segmented_reduce_config_selectorIN3c104HalfEEEZNS1_21segmented_reduce_implIS3_PKS6_PS6_PKiS6_N6hipcub16HIPCUB_304000_NS6detail27convert_result_type_wrapperISA_SB_N2at6native12_GLOBAL__N_110CustomProdEEEEE10hipError_tPvRmT0_T1_jT2_SS_T4_T3_P12ihipStream_tbEUlT_E_NS1_11comp_targetILNS1_3genE2ELNS1_11target_archE906ELNS1_3gpuE6ELNS1_3repE0EEENS1_30default_config_static_selectorELNS0_4arch9wavefront6targetE0EEEvSR_
		.amdhsa_group_segment_fixed_size 0
		.amdhsa_private_segment_fixed_size 0
		.amdhsa_kernarg_size 48
		.amdhsa_user_sgpr_count 2
		.amdhsa_user_sgpr_dispatch_ptr 0
		.amdhsa_user_sgpr_queue_ptr 0
		.amdhsa_user_sgpr_kernarg_segment_ptr 1
		.amdhsa_user_sgpr_dispatch_id 0
		.amdhsa_user_sgpr_kernarg_preload_length 0
		.amdhsa_user_sgpr_kernarg_preload_offset 0
		.amdhsa_user_sgpr_private_segment_size 0
		.amdhsa_wavefront_size32 1
		.amdhsa_uses_dynamic_stack 0
		.amdhsa_enable_private_segment 0
		.amdhsa_system_sgpr_workgroup_id_x 1
		.amdhsa_system_sgpr_workgroup_id_y 0
		.amdhsa_system_sgpr_workgroup_id_z 0
		.amdhsa_system_sgpr_workgroup_info 0
		.amdhsa_system_vgpr_workitem_id 0
		.amdhsa_next_free_vgpr 1
		.amdhsa_next_free_sgpr 1
		.amdhsa_named_barrier_count 0
		.amdhsa_reserve_vcc 0
		.amdhsa_float_round_mode_32 0
		.amdhsa_float_round_mode_16_64 0
		.amdhsa_float_denorm_mode_32 3
		.amdhsa_float_denorm_mode_16_64 3
		.amdhsa_fp16_overflow 0
		.amdhsa_memory_ordered 1
		.amdhsa_forward_progress 1
		.amdhsa_inst_pref_size 0
		.amdhsa_round_robin_scheduling 0
		.amdhsa_exception_fp_ieee_invalid_op 0
		.amdhsa_exception_fp_denorm_src 0
		.amdhsa_exception_fp_ieee_div_zero 0
		.amdhsa_exception_fp_ieee_overflow 0
		.amdhsa_exception_fp_ieee_underflow 0
		.amdhsa_exception_fp_ieee_inexact 0
		.amdhsa_exception_int_div_zero 0
	.end_amdhsa_kernel
	.section	.text._ZN7rocprim17ROCPRIM_400000_NS6detail17trampoline_kernelINS0_14default_configENS1_32segmented_reduce_config_selectorIN3c104HalfEEEZNS1_21segmented_reduce_implIS3_PKS6_PS6_PKiS6_N6hipcub16HIPCUB_304000_NS6detail27convert_result_type_wrapperISA_SB_N2at6native12_GLOBAL__N_110CustomProdEEEEE10hipError_tPvRmT0_T1_jT2_SS_T4_T3_P12ihipStream_tbEUlT_E_NS1_11comp_targetILNS1_3genE2ELNS1_11target_archE906ELNS1_3gpuE6ELNS1_3repE0EEENS1_30default_config_static_selectorELNS0_4arch9wavefront6targetE0EEEvSR_,"axG",@progbits,_ZN7rocprim17ROCPRIM_400000_NS6detail17trampoline_kernelINS0_14default_configENS1_32segmented_reduce_config_selectorIN3c104HalfEEEZNS1_21segmented_reduce_implIS3_PKS6_PS6_PKiS6_N6hipcub16HIPCUB_304000_NS6detail27convert_result_type_wrapperISA_SB_N2at6native12_GLOBAL__N_110CustomProdEEEEE10hipError_tPvRmT0_T1_jT2_SS_T4_T3_P12ihipStream_tbEUlT_E_NS1_11comp_targetILNS1_3genE2ELNS1_11target_archE906ELNS1_3gpuE6ELNS1_3repE0EEENS1_30default_config_static_selectorELNS0_4arch9wavefront6targetE0EEEvSR_,comdat
.Lfunc_end107:
	.size	_ZN7rocprim17ROCPRIM_400000_NS6detail17trampoline_kernelINS0_14default_configENS1_32segmented_reduce_config_selectorIN3c104HalfEEEZNS1_21segmented_reduce_implIS3_PKS6_PS6_PKiS6_N6hipcub16HIPCUB_304000_NS6detail27convert_result_type_wrapperISA_SB_N2at6native12_GLOBAL__N_110CustomProdEEEEE10hipError_tPvRmT0_T1_jT2_SS_T4_T3_P12ihipStream_tbEUlT_E_NS1_11comp_targetILNS1_3genE2ELNS1_11target_archE906ELNS1_3gpuE6ELNS1_3repE0EEENS1_30default_config_static_selectorELNS0_4arch9wavefront6targetE0EEEvSR_, .Lfunc_end107-_ZN7rocprim17ROCPRIM_400000_NS6detail17trampoline_kernelINS0_14default_configENS1_32segmented_reduce_config_selectorIN3c104HalfEEEZNS1_21segmented_reduce_implIS3_PKS6_PS6_PKiS6_N6hipcub16HIPCUB_304000_NS6detail27convert_result_type_wrapperISA_SB_N2at6native12_GLOBAL__N_110CustomProdEEEEE10hipError_tPvRmT0_T1_jT2_SS_T4_T3_P12ihipStream_tbEUlT_E_NS1_11comp_targetILNS1_3genE2ELNS1_11target_archE906ELNS1_3gpuE6ELNS1_3repE0EEENS1_30default_config_static_selectorELNS0_4arch9wavefront6targetE0EEEvSR_
                                        ; -- End function
	.set _ZN7rocprim17ROCPRIM_400000_NS6detail17trampoline_kernelINS0_14default_configENS1_32segmented_reduce_config_selectorIN3c104HalfEEEZNS1_21segmented_reduce_implIS3_PKS6_PS6_PKiS6_N6hipcub16HIPCUB_304000_NS6detail27convert_result_type_wrapperISA_SB_N2at6native12_GLOBAL__N_110CustomProdEEEEE10hipError_tPvRmT0_T1_jT2_SS_T4_T3_P12ihipStream_tbEUlT_E_NS1_11comp_targetILNS1_3genE2ELNS1_11target_archE906ELNS1_3gpuE6ELNS1_3repE0EEENS1_30default_config_static_selectorELNS0_4arch9wavefront6targetE0EEEvSR_.num_vgpr, 0
	.set _ZN7rocprim17ROCPRIM_400000_NS6detail17trampoline_kernelINS0_14default_configENS1_32segmented_reduce_config_selectorIN3c104HalfEEEZNS1_21segmented_reduce_implIS3_PKS6_PS6_PKiS6_N6hipcub16HIPCUB_304000_NS6detail27convert_result_type_wrapperISA_SB_N2at6native12_GLOBAL__N_110CustomProdEEEEE10hipError_tPvRmT0_T1_jT2_SS_T4_T3_P12ihipStream_tbEUlT_E_NS1_11comp_targetILNS1_3genE2ELNS1_11target_archE906ELNS1_3gpuE6ELNS1_3repE0EEENS1_30default_config_static_selectorELNS0_4arch9wavefront6targetE0EEEvSR_.num_agpr, 0
	.set _ZN7rocprim17ROCPRIM_400000_NS6detail17trampoline_kernelINS0_14default_configENS1_32segmented_reduce_config_selectorIN3c104HalfEEEZNS1_21segmented_reduce_implIS3_PKS6_PS6_PKiS6_N6hipcub16HIPCUB_304000_NS6detail27convert_result_type_wrapperISA_SB_N2at6native12_GLOBAL__N_110CustomProdEEEEE10hipError_tPvRmT0_T1_jT2_SS_T4_T3_P12ihipStream_tbEUlT_E_NS1_11comp_targetILNS1_3genE2ELNS1_11target_archE906ELNS1_3gpuE6ELNS1_3repE0EEENS1_30default_config_static_selectorELNS0_4arch9wavefront6targetE0EEEvSR_.numbered_sgpr, 0
	.set _ZN7rocprim17ROCPRIM_400000_NS6detail17trampoline_kernelINS0_14default_configENS1_32segmented_reduce_config_selectorIN3c104HalfEEEZNS1_21segmented_reduce_implIS3_PKS6_PS6_PKiS6_N6hipcub16HIPCUB_304000_NS6detail27convert_result_type_wrapperISA_SB_N2at6native12_GLOBAL__N_110CustomProdEEEEE10hipError_tPvRmT0_T1_jT2_SS_T4_T3_P12ihipStream_tbEUlT_E_NS1_11comp_targetILNS1_3genE2ELNS1_11target_archE906ELNS1_3gpuE6ELNS1_3repE0EEENS1_30default_config_static_selectorELNS0_4arch9wavefront6targetE0EEEvSR_.num_named_barrier, 0
	.set _ZN7rocprim17ROCPRIM_400000_NS6detail17trampoline_kernelINS0_14default_configENS1_32segmented_reduce_config_selectorIN3c104HalfEEEZNS1_21segmented_reduce_implIS3_PKS6_PS6_PKiS6_N6hipcub16HIPCUB_304000_NS6detail27convert_result_type_wrapperISA_SB_N2at6native12_GLOBAL__N_110CustomProdEEEEE10hipError_tPvRmT0_T1_jT2_SS_T4_T3_P12ihipStream_tbEUlT_E_NS1_11comp_targetILNS1_3genE2ELNS1_11target_archE906ELNS1_3gpuE6ELNS1_3repE0EEENS1_30default_config_static_selectorELNS0_4arch9wavefront6targetE0EEEvSR_.private_seg_size, 0
	.set _ZN7rocprim17ROCPRIM_400000_NS6detail17trampoline_kernelINS0_14default_configENS1_32segmented_reduce_config_selectorIN3c104HalfEEEZNS1_21segmented_reduce_implIS3_PKS6_PS6_PKiS6_N6hipcub16HIPCUB_304000_NS6detail27convert_result_type_wrapperISA_SB_N2at6native12_GLOBAL__N_110CustomProdEEEEE10hipError_tPvRmT0_T1_jT2_SS_T4_T3_P12ihipStream_tbEUlT_E_NS1_11comp_targetILNS1_3genE2ELNS1_11target_archE906ELNS1_3gpuE6ELNS1_3repE0EEENS1_30default_config_static_selectorELNS0_4arch9wavefront6targetE0EEEvSR_.uses_vcc, 0
	.set _ZN7rocprim17ROCPRIM_400000_NS6detail17trampoline_kernelINS0_14default_configENS1_32segmented_reduce_config_selectorIN3c104HalfEEEZNS1_21segmented_reduce_implIS3_PKS6_PS6_PKiS6_N6hipcub16HIPCUB_304000_NS6detail27convert_result_type_wrapperISA_SB_N2at6native12_GLOBAL__N_110CustomProdEEEEE10hipError_tPvRmT0_T1_jT2_SS_T4_T3_P12ihipStream_tbEUlT_E_NS1_11comp_targetILNS1_3genE2ELNS1_11target_archE906ELNS1_3gpuE6ELNS1_3repE0EEENS1_30default_config_static_selectorELNS0_4arch9wavefront6targetE0EEEvSR_.uses_flat_scratch, 0
	.set _ZN7rocprim17ROCPRIM_400000_NS6detail17trampoline_kernelINS0_14default_configENS1_32segmented_reduce_config_selectorIN3c104HalfEEEZNS1_21segmented_reduce_implIS3_PKS6_PS6_PKiS6_N6hipcub16HIPCUB_304000_NS6detail27convert_result_type_wrapperISA_SB_N2at6native12_GLOBAL__N_110CustomProdEEEEE10hipError_tPvRmT0_T1_jT2_SS_T4_T3_P12ihipStream_tbEUlT_E_NS1_11comp_targetILNS1_3genE2ELNS1_11target_archE906ELNS1_3gpuE6ELNS1_3repE0EEENS1_30default_config_static_selectorELNS0_4arch9wavefront6targetE0EEEvSR_.has_dyn_sized_stack, 0
	.set _ZN7rocprim17ROCPRIM_400000_NS6detail17trampoline_kernelINS0_14default_configENS1_32segmented_reduce_config_selectorIN3c104HalfEEEZNS1_21segmented_reduce_implIS3_PKS6_PS6_PKiS6_N6hipcub16HIPCUB_304000_NS6detail27convert_result_type_wrapperISA_SB_N2at6native12_GLOBAL__N_110CustomProdEEEEE10hipError_tPvRmT0_T1_jT2_SS_T4_T3_P12ihipStream_tbEUlT_E_NS1_11comp_targetILNS1_3genE2ELNS1_11target_archE906ELNS1_3gpuE6ELNS1_3repE0EEENS1_30default_config_static_selectorELNS0_4arch9wavefront6targetE0EEEvSR_.has_recursion, 0
	.set _ZN7rocprim17ROCPRIM_400000_NS6detail17trampoline_kernelINS0_14default_configENS1_32segmented_reduce_config_selectorIN3c104HalfEEEZNS1_21segmented_reduce_implIS3_PKS6_PS6_PKiS6_N6hipcub16HIPCUB_304000_NS6detail27convert_result_type_wrapperISA_SB_N2at6native12_GLOBAL__N_110CustomProdEEEEE10hipError_tPvRmT0_T1_jT2_SS_T4_T3_P12ihipStream_tbEUlT_E_NS1_11comp_targetILNS1_3genE2ELNS1_11target_archE906ELNS1_3gpuE6ELNS1_3repE0EEENS1_30default_config_static_selectorELNS0_4arch9wavefront6targetE0EEEvSR_.has_indirect_call, 0
	.section	.AMDGPU.csdata,"",@progbits
; Kernel info:
; codeLenInByte = 0
; TotalNumSgprs: 0
; NumVgprs: 0
; ScratchSize: 0
; MemoryBound: 0
; FloatMode: 240
; IeeeMode: 1
; LDSByteSize: 0 bytes/workgroup (compile time only)
; SGPRBlocks: 0
; VGPRBlocks: 0
; NumSGPRsForWavesPerEU: 1
; NumVGPRsForWavesPerEU: 1
; NamedBarCnt: 0
; Occupancy: 16
; WaveLimiterHint : 0
; COMPUTE_PGM_RSRC2:SCRATCH_EN: 0
; COMPUTE_PGM_RSRC2:USER_SGPR: 2
; COMPUTE_PGM_RSRC2:TRAP_HANDLER: 0
; COMPUTE_PGM_RSRC2:TGID_X_EN: 1
; COMPUTE_PGM_RSRC2:TGID_Y_EN: 0
; COMPUTE_PGM_RSRC2:TGID_Z_EN: 0
; COMPUTE_PGM_RSRC2:TIDIG_COMP_CNT: 0
	.section	.text._ZN7rocprim17ROCPRIM_400000_NS6detail17trampoline_kernelINS0_14default_configENS1_32segmented_reduce_config_selectorIN3c104HalfEEEZNS1_21segmented_reduce_implIS3_PKS6_PS6_PKiS6_N6hipcub16HIPCUB_304000_NS6detail27convert_result_type_wrapperISA_SB_N2at6native12_GLOBAL__N_110CustomProdEEEEE10hipError_tPvRmT0_T1_jT2_SS_T4_T3_P12ihipStream_tbEUlT_E_NS1_11comp_targetILNS1_3genE9ELNS1_11target_archE1100ELNS1_3gpuE3ELNS1_3repE0EEENS1_30default_config_static_selectorELNS0_4arch9wavefront6targetE0EEEvSR_,"axG",@progbits,_ZN7rocprim17ROCPRIM_400000_NS6detail17trampoline_kernelINS0_14default_configENS1_32segmented_reduce_config_selectorIN3c104HalfEEEZNS1_21segmented_reduce_implIS3_PKS6_PS6_PKiS6_N6hipcub16HIPCUB_304000_NS6detail27convert_result_type_wrapperISA_SB_N2at6native12_GLOBAL__N_110CustomProdEEEEE10hipError_tPvRmT0_T1_jT2_SS_T4_T3_P12ihipStream_tbEUlT_E_NS1_11comp_targetILNS1_3genE9ELNS1_11target_archE1100ELNS1_3gpuE3ELNS1_3repE0EEENS1_30default_config_static_selectorELNS0_4arch9wavefront6targetE0EEEvSR_,comdat
	.globl	_ZN7rocprim17ROCPRIM_400000_NS6detail17trampoline_kernelINS0_14default_configENS1_32segmented_reduce_config_selectorIN3c104HalfEEEZNS1_21segmented_reduce_implIS3_PKS6_PS6_PKiS6_N6hipcub16HIPCUB_304000_NS6detail27convert_result_type_wrapperISA_SB_N2at6native12_GLOBAL__N_110CustomProdEEEEE10hipError_tPvRmT0_T1_jT2_SS_T4_T3_P12ihipStream_tbEUlT_E_NS1_11comp_targetILNS1_3genE9ELNS1_11target_archE1100ELNS1_3gpuE3ELNS1_3repE0EEENS1_30default_config_static_selectorELNS0_4arch9wavefront6targetE0EEEvSR_ ; -- Begin function _ZN7rocprim17ROCPRIM_400000_NS6detail17trampoline_kernelINS0_14default_configENS1_32segmented_reduce_config_selectorIN3c104HalfEEEZNS1_21segmented_reduce_implIS3_PKS6_PS6_PKiS6_N6hipcub16HIPCUB_304000_NS6detail27convert_result_type_wrapperISA_SB_N2at6native12_GLOBAL__N_110CustomProdEEEEE10hipError_tPvRmT0_T1_jT2_SS_T4_T3_P12ihipStream_tbEUlT_E_NS1_11comp_targetILNS1_3genE9ELNS1_11target_archE1100ELNS1_3gpuE3ELNS1_3repE0EEENS1_30default_config_static_selectorELNS0_4arch9wavefront6targetE0EEEvSR_
	.p2align	8
	.type	_ZN7rocprim17ROCPRIM_400000_NS6detail17trampoline_kernelINS0_14default_configENS1_32segmented_reduce_config_selectorIN3c104HalfEEEZNS1_21segmented_reduce_implIS3_PKS6_PS6_PKiS6_N6hipcub16HIPCUB_304000_NS6detail27convert_result_type_wrapperISA_SB_N2at6native12_GLOBAL__N_110CustomProdEEEEE10hipError_tPvRmT0_T1_jT2_SS_T4_T3_P12ihipStream_tbEUlT_E_NS1_11comp_targetILNS1_3genE9ELNS1_11target_archE1100ELNS1_3gpuE3ELNS1_3repE0EEENS1_30default_config_static_selectorELNS0_4arch9wavefront6targetE0EEEvSR_,@function
_ZN7rocprim17ROCPRIM_400000_NS6detail17trampoline_kernelINS0_14default_configENS1_32segmented_reduce_config_selectorIN3c104HalfEEEZNS1_21segmented_reduce_implIS3_PKS6_PS6_PKiS6_N6hipcub16HIPCUB_304000_NS6detail27convert_result_type_wrapperISA_SB_N2at6native12_GLOBAL__N_110CustomProdEEEEE10hipError_tPvRmT0_T1_jT2_SS_T4_T3_P12ihipStream_tbEUlT_E_NS1_11comp_targetILNS1_3genE9ELNS1_11target_archE1100ELNS1_3gpuE3ELNS1_3repE0EEENS1_30default_config_static_selectorELNS0_4arch9wavefront6targetE0EEEvSR_: ; @_ZN7rocprim17ROCPRIM_400000_NS6detail17trampoline_kernelINS0_14default_configENS1_32segmented_reduce_config_selectorIN3c104HalfEEEZNS1_21segmented_reduce_implIS3_PKS6_PS6_PKiS6_N6hipcub16HIPCUB_304000_NS6detail27convert_result_type_wrapperISA_SB_N2at6native12_GLOBAL__N_110CustomProdEEEEE10hipError_tPvRmT0_T1_jT2_SS_T4_T3_P12ihipStream_tbEUlT_E_NS1_11comp_targetILNS1_3genE9ELNS1_11target_archE1100ELNS1_3gpuE3ELNS1_3repE0EEENS1_30default_config_static_selectorELNS0_4arch9wavefront6targetE0EEEvSR_
; %bb.0:
	.section	.rodata,"a",@progbits
	.p2align	6, 0x0
	.amdhsa_kernel _ZN7rocprim17ROCPRIM_400000_NS6detail17trampoline_kernelINS0_14default_configENS1_32segmented_reduce_config_selectorIN3c104HalfEEEZNS1_21segmented_reduce_implIS3_PKS6_PS6_PKiS6_N6hipcub16HIPCUB_304000_NS6detail27convert_result_type_wrapperISA_SB_N2at6native12_GLOBAL__N_110CustomProdEEEEE10hipError_tPvRmT0_T1_jT2_SS_T4_T3_P12ihipStream_tbEUlT_E_NS1_11comp_targetILNS1_3genE9ELNS1_11target_archE1100ELNS1_3gpuE3ELNS1_3repE0EEENS1_30default_config_static_selectorELNS0_4arch9wavefront6targetE0EEEvSR_
		.amdhsa_group_segment_fixed_size 0
		.amdhsa_private_segment_fixed_size 0
		.amdhsa_kernarg_size 48
		.amdhsa_user_sgpr_count 2
		.amdhsa_user_sgpr_dispatch_ptr 0
		.amdhsa_user_sgpr_queue_ptr 0
		.amdhsa_user_sgpr_kernarg_segment_ptr 1
		.amdhsa_user_sgpr_dispatch_id 0
		.amdhsa_user_sgpr_kernarg_preload_length 0
		.amdhsa_user_sgpr_kernarg_preload_offset 0
		.amdhsa_user_sgpr_private_segment_size 0
		.amdhsa_wavefront_size32 1
		.amdhsa_uses_dynamic_stack 0
		.amdhsa_enable_private_segment 0
		.amdhsa_system_sgpr_workgroup_id_x 1
		.amdhsa_system_sgpr_workgroup_id_y 0
		.amdhsa_system_sgpr_workgroup_id_z 0
		.amdhsa_system_sgpr_workgroup_info 0
		.amdhsa_system_vgpr_workitem_id 0
		.amdhsa_next_free_vgpr 1
		.amdhsa_next_free_sgpr 1
		.amdhsa_named_barrier_count 0
		.amdhsa_reserve_vcc 0
		.amdhsa_float_round_mode_32 0
		.amdhsa_float_round_mode_16_64 0
		.amdhsa_float_denorm_mode_32 3
		.amdhsa_float_denorm_mode_16_64 3
		.amdhsa_fp16_overflow 0
		.amdhsa_memory_ordered 1
		.amdhsa_forward_progress 1
		.amdhsa_inst_pref_size 0
		.amdhsa_round_robin_scheduling 0
		.amdhsa_exception_fp_ieee_invalid_op 0
		.amdhsa_exception_fp_denorm_src 0
		.amdhsa_exception_fp_ieee_div_zero 0
		.amdhsa_exception_fp_ieee_overflow 0
		.amdhsa_exception_fp_ieee_underflow 0
		.amdhsa_exception_fp_ieee_inexact 0
		.amdhsa_exception_int_div_zero 0
	.end_amdhsa_kernel
	.section	.text._ZN7rocprim17ROCPRIM_400000_NS6detail17trampoline_kernelINS0_14default_configENS1_32segmented_reduce_config_selectorIN3c104HalfEEEZNS1_21segmented_reduce_implIS3_PKS6_PS6_PKiS6_N6hipcub16HIPCUB_304000_NS6detail27convert_result_type_wrapperISA_SB_N2at6native12_GLOBAL__N_110CustomProdEEEEE10hipError_tPvRmT0_T1_jT2_SS_T4_T3_P12ihipStream_tbEUlT_E_NS1_11comp_targetILNS1_3genE9ELNS1_11target_archE1100ELNS1_3gpuE3ELNS1_3repE0EEENS1_30default_config_static_selectorELNS0_4arch9wavefront6targetE0EEEvSR_,"axG",@progbits,_ZN7rocprim17ROCPRIM_400000_NS6detail17trampoline_kernelINS0_14default_configENS1_32segmented_reduce_config_selectorIN3c104HalfEEEZNS1_21segmented_reduce_implIS3_PKS6_PS6_PKiS6_N6hipcub16HIPCUB_304000_NS6detail27convert_result_type_wrapperISA_SB_N2at6native12_GLOBAL__N_110CustomProdEEEEE10hipError_tPvRmT0_T1_jT2_SS_T4_T3_P12ihipStream_tbEUlT_E_NS1_11comp_targetILNS1_3genE9ELNS1_11target_archE1100ELNS1_3gpuE3ELNS1_3repE0EEENS1_30default_config_static_selectorELNS0_4arch9wavefront6targetE0EEEvSR_,comdat
.Lfunc_end108:
	.size	_ZN7rocprim17ROCPRIM_400000_NS6detail17trampoline_kernelINS0_14default_configENS1_32segmented_reduce_config_selectorIN3c104HalfEEEZNS1_21segmented_reduce_implIS3_PKS6_PS6_PKiS6_N6hipcub16HIPCUB_304000_NS6detail27convert_result_type_wrapperISA_SB_N2at6native12_GLOBAL__N_110CustomProdEEEEE10hipError_tPvRmT0_T1_jT2_SS_T4_T3_P12ihipStream_tbEUlT_E_NS1_11comp_targetILNS1_3genE9ELNS1_11target_archE1100ELNS1_3gpuE3ELNS1_3repE0EEENS1_30default_config_static_selectorELNS0_4arch9wavefront6targetE0EEEvSR_, .Lfunc_end108-_ZN7rocprim17ROCPRIM_400000_NS6detail17trampoline_kernelINS0_14default_configENS1_32segmented_reduce_config_selectorIN3c104HalfEEEZNS1_21segmented_reduce_implIS3_PKS6_PS6_PKiS6_N6hipcub16HIPCUB_304000_NS6detail27convert_result_type_wrapperISA_SB_N2at6native12_GLOBAL__N_110CustomProdEEEEE10hipError_tPvRmT0_T1_jT2_SS_T4_T3_P12ihipStream_tbEUlT_E_NS1_11comp_targetILNS1_3genE9ELNS1_11target_archE1100ELNS1_3gpuE3ELNS1_3repE0EEENS1_30default_config_static_selectorELNS0_4arch9wavefront6targetE0EEEvSR_
                                        ; -- End function
	.set _ZN7rocprim17ROCPRIM_400000_NS6detail17trampoline_kernelINS0_14default_configENS1_32segmented_reduce_config_selectorIN3c104HalfEEEZNS1_21segmented_reduce_implIS3_PKS6_PS6_PKiS6_N6hipcub16HIPCUB_304000_NS6detail27convert_result_type_wrapperISA_SB_N2at6native12_GLOBAL__N_110CustomProdEEEEE10hipError_tPvRmT0_T1_jT2_SS_T4_T3_P12ihipStream_tbEUlT_E_NS1_11comp_targetILNS1_3genE9ELNS1_11target_archE1100ELNS1_3gpuE3ELNS1_3repE0EEENS1_30default_config_static_selectorELNS0_4arch9wavefront6targetE0EEEvSR_.num_vgpr, 0
	.set _ZN7rocprim17ROCPRIM_400000_NS6detail17trampoline_kernelINS0_14default_configENS1_32segmented_reduce_config_selectorIN3c104HalfEEEZNS1_21segmented_reduce_implIS3_PKS6_PS6_PKiS6_N6hipcub16HIPCUB_304000_NS6detail27convert_result_type_wrapperISA_SB_N2at6native12_GLOBAL__N_110CustomProdEEEEE10hipError_tPvRmT0_T1_jT2_SS_T4_T3_P12ihipStream_tbEUlT_E_NS1_11comp_targetILNS1_3genE9ELNS1_11target_archE1100ELNS1_3gpuE3ELNS1_3repE0EEENS1_30default_config_static_selectorELNS0_4arch9wavefront6targetE0EEEvSR_.num_agpr, 0
	.set _ZN7rocprim17ROCPRIM_400000_NS6detail17trampoline_kernelINS0_14default_configENS1_32segmented_reduce_config_selectorIN3c104HalfEEEZNS1_21segmented_reduce_implIS3_PKS6_PS6_PKiS6_N6hipcub16HIPCUB_304000_NS6detail27convert_result_type_wrapperISA_SB_N2at6native12_GLOBAL__N_110CustomProdEEEEE10hipError_tPvRmT0_T1_jT2_SS_T4_T3_P12ihipStream_tbEUlT_E_NS1_11comp_targetILNS1_3genE9ELNS1_11target_archE1100ELNS1_3gpuE3ELNS1_3repE0EEENS1_30default_config_static_selectorELNS0_4arch9wavefront6targetE0EEEvSR_.numbered_sgpr, 0
	.set _ZN7rocprim17ROCPRIM_400000_NS6detail17trampoline_kernelINS0_14default_configENS1_32segmented_reduce_config_selectorIN3c104HalfEEEZNS1_21segmented_reduce_implIS3_PKS6_PS6_PKiS6_N6hipcub16HIPCUB_304000_NS6detail27convert_result_type_wrapperISA_SB_N2at6native12_GLOBAL__N_110CustomProdEEEEE10hipError_tPvRmT0_T1_jT2_SS_T4_T3_P12ihipStream_tbEUlT_E_NS1_11comp_targetILNS1_3genE9ELNS1_11target_archE1100ELNS1_3gpuE3ELNS1_3repE0EEENS1_30default_config_static_selectorELNS0_4arch9wavefront6targetE0EEEvSR_.num_named_barrier, 0
	.set _ZN7rocprim17ROCPRIM_400000_NS6detail17trampoline_kernelINS0_14default_configENS1_32segmented_reduce_config_selectorIN3c104HalfEEEZNS1_21segmented_reduce_implIS3_PKS6_PS6_PKiS6_N6hipcub16HIPCUB_304000_NS6detail27convert_result_type_wrapperISA_SB_N2at6native12_GLOBAL__N_110CustomProdEEEEE10hipError_tPvRmT0_T1_jT2_SS_T4_T3_P12ihipStream_tbEUlT_E_NS1_11comp_targetILNS1_3genE9ELNS1_11target_archE1100ELNS1_3gpuE3ELNS1_3repE0EEENS1_30default_config_static_selectorELNS0_4arch9wavefront6targetE0EEEvSR_.private_seg_size, 0
	.set _ZN7rocprim17ROCPRIM_400000_NS6detail17trampoline_kernelINS0_14default_configENS1_32segmented_reduce_config_selectorIN3c104HalfEEEZNS1_21segmented_reduce_implIS3_PKS6_PS6_PKiS6_N6hipcub16HIPCUB_304000_NS6detail27convert_result_type_wrapperISA_SB_N2at6native12_GLOBAL__N_110CustomProdEEEEE10hipError_tPvRmT0_T1_jT2_SS_T4_T3_P12ihipStream_tbEUlT_E_NS1_11comp_targetILNS1_3genE9ELNS1_11target_archE1100ELNS1_3gpuE3ELNS1_3repE0EEENS1_30default_config_static_selectorELNS0_4arch9wavefront6targetE0EEEvSR_.uses_vcc, 0
	.set _ZN7rocprim17ROCPRIM_400000_NS6detail17trampoline_kernelINS0_14default_configENS1_32segmented_reduce_config_selectorIN3c104HalfEEEZNS1_21segmented_reduce_implIS3_PKS6_PS6_PKiS6_N6hipcub16HIPCUB_304000_NS6detail27convert_result_type_wrapperISA_SB_N2at6native12_GLOBAL__N_110CustomProdEEEEE10hipError_tPvRmT0_T1_jT2_SS_T4_T3_P12ihipStream_tbEUlT_E_NS1_11comp_targetILNS1_3genE9ELNS1_11target_archE1100ELNS1_3gpuE3ELNS1_3repE0EEENS1_30default_config_static_selectorELNS0_4arch9wavefront6targetE0EEEvSR_.uses_flat_scratch, 0
	.set _ZN7rocprim17ROCPRIM_400000_NS6detail17trampoline_kernelINS0_14default_configENS1_32segmented_reduce_config_selectorIN3c104HalfEEEZNS1_21segmented_reduce_implIS3_PKS6_PS6_PKiS6_N6hipcub16HIPCUB_304000_NS6detail27convert_result_type_wrapperISA_SB_N2at6native12_GLOBAL__N_110CustomProdEEEEE10hipError_tPvRmT0_T1_jT2_SS_T4_T3_P12ihipStream_tbEUlT_E_NS1_11comp_targetILNS1_3genE9ELNS1_11target_archE1100ELNS1_3gpuE3ELNS1_3repE0EEENS1_30default_config_static_selectorELNS0_4arch9wavefront6targetE0EEEvSR_.has_dyn_sized_stack, 0
	.set _ZN7rocprim17ROCPRIM_400000_NS6detail17trampoline_kernelINS0_14default_configENS1_32segmented_reduce_config_selectorIN3c104HalfEEEZNS1_21segmented_reduce_implIS3_PKS6_PS6_PKiS6_N6hipcub16HIPCUB_304000_NS6detail27convert_result_type_wrapperISA_SB_N2at6native12_GLOBAL__N_110CustomProdEEEEE10hipError_tPvRmT0_T1_jT2_SS_T4_T3_P12ihipStream_tbEUlT_E_NS1_11comp_targetILNS1_3genE9ELNS1_11target_archE1100ELNS1_3gpuE3ELNS1_3repE0EEENS1_30default_config_static_selectorELNS0_4arch9wavefront6targetE0EEEvSR_.has_recursion, 0
	.set _ZN7rocprim17ROCPRIM_400000_NS6detail17trampoline_kernelINS0_14default_configENS1_32segmented_reduce_config_selectorIN3c104HalfEEEZNS1_21segmented_reduce_implIS3_PKS6_PS6_PKiS6_N6hipcub16HIPCUB_304000_NS6detail27convert_result_type_wrapperISA_SB_N2at6native12_GLOBAL__N_110CustomProdEEEEE10hipError_tPvRmT0_T1_jT2_SS_T4_T3_P12ihipStream_tbEUlT_E_NS1_11comp_targetILNS1_3genE9ELNS1_11target_archE1100ELNS1_3gpuE3ELNS1_3repE0EEENS1_30default_config_static_selectorELNS0_4arch9wavefront6targetE0EEEvSR_.has_indirect_call, 0
	.section	.AMDGPU.csdata,"",@progbits
; Kernel info:
; codeLenInByte = 0
; TotalNumSgprs: 0
; NumVgprs: 0
; ScratchSize: 0
; MemoryBound: 0
; FloatMode: 240
; IeeeMode: 1
; LDSByteSize: 0 bytes/workgroup (compile time only)
; SGPRBlocks: 0
; VGPRBlocks: 0
; NumSGPRsForWavesPerEU: 1
; NumVGPRsForWavesPerEU: 1
; NamedBarCnt: 0
; Occupancy: 16
; WaveLimiterHint : 0
; COMPUTE_PGM_RSRC2:SCRATCH_EN: 0
; COMPUTE_PGM_RSRC2:USER_SGPR: 2
; COMPUTE_PGM_RSRC2:TRAP_HANDLER: 0
; COMPUTE_PGM_RSRC2:TGID_X_EN: 1
; COMPUTE_PGM_RSRC2:TGID_Y_EN: 0
; COMPUTE_PGM_RSRC2:TGID_Z_EN: 0
; COMPUTE_PGM_RSRC2:TIDIG_COMP_CNT: 0
	.section	.text._ZN7rocprim17ROCPRIM_400000_NS6detail17trampoline_kernelINS0_14default_configENS1_32segmented_reduce_config_selectorIN3c104HalfEEEZNS1_21segmented_reduce_implIS3_PKS6_PS6_PKiS6_N6hipcub16HIPCUB_304000_NS6detail27convert_result_type_wrapperISA_SB_N2at6native12_GLOBAL__N_110CustomProdEEEEE10hipError_tPvRmT0_T1_jT2_SS_T4_T3_P12ihipStream_tbEUlT_E_NS1_11comp_targetILNS1_3genE8ELNS1_11target_archE1030ELNS1_3gpuE2ELNS1_3repE0EEENS1_30default_config_static_selectorELNS0_4arch9wavefront6targetE0EEEvSR_,"axG",@progbits,_ZN7rocprim17ROCPRIM_400000_NS6detail17trampoline_kernelINS0_14default_configENS1_32segmented_reduce_config_selectorIN3c104HalfEEEZNS1_21segmented_reduce_implIS3_PKS6_PS6_PKiS6_N6hipcub16HIPCUB_304000_NS6detail27convert_result_type_wrapperISA_SB_N2at6native12_GLOBAL__N_110CustomProdEEEEE10hipError_tPvRmT0_T1_jT2_SS_T4_T3_P12ihipStream_tbEUlT_E_NS1_11comp_targetILNS1_3genE8ELNS1_11target_archE1030ELNS1_3gpuE2ELNS1_3repE0EEENS1_30default_config_static_selectorELNS0_4arch9wavefront6targetE0EEEvSR_,comdat
	.globl	_ZN7rocprim17ROCPRIM_400000_NS6detail17trampoline_kernelINS0_14default_configENS1_32segmented_reduce_config_selectorIN3c104HalfEEEZNS1_21segmented_reduce_implIS3_PKS6_PS6_PKiS6_N6hipcub16HIPCUB_304000_NS6detail27convert_result_type_wrapperISA_SB_N2at6native12_GLOBAL__N_110CustomProdEEEEE10hipError_tPvRmT0_T1_jT2_SS_T4_T3_P12ihipStream_tbEUlT_E_NS1_11comp_targetILNS1_3genE8ELNS1_11target_archE1030ELNS1_3gpuE2ELNS1_3repE0EEENS1_30default_config_static_selectorELNS0_4arch9wavefront6targetE0EEEvSR_ ; -- Begin function _ZN7rocprim17ROCPRIM_400000_NS6detail17trampoline_kernelINS0_14default_configENS1_32segmented_reduce_config_selectorIN3c104HalfEEEZNS1_21segmented_reduce_implIS3_PKS6_PS6_PKiS6_N6hipcub16HIPCUB_304000_NS6detail27convert_result_type_wrapperISA_SB_N2at6native12_GLOBAL__N_110CustomProdEEEEE10hipError_tPvRmT0_T1_jT2_SS_T4_T3_P12ihipStream_tbEUlT_E_NS1_11comp_targetILNS1_3genE8ELNS1_11target_archE1030ELNS1_3gpuE2ELNS1_3repE0EEENS1_30default_config_static_selectorELNS0_4arch9wavefront6targetE0EEEvSR_
	.p2align	8
	.type	_ZN7rocprim17ROCPRIM_400000_NS6detail17trampoline_kernelINS0_14default_configENS1_32segmented_reduce_config_selectorIN3c104HalfEEEZNS1_21segmented_reduce_implIS3_PKS6_PS6_PKiS6_N6hipcub16HIPCUB_304000_NS6detail27convert_result_type_wrapperISA_SB_N2at6native12_GLOBAL__N_110CustomProdEEEEE10hipError_tPvRmT0_T1_jT2_SS_T4_T3_P12ihipStream_tbEUlT_E_NS1_11comp_targetILNS1_3genE8ELNS1_11target_archE1030ELNS1_3gpuE2ELNS1_3repE0EEENS1_30default_config_static_selectorELNS0_4arch9wavefront6targetE0EEEvSR_,@function
_ZN7rocprim17ROCPRIM_400000_NS6detail17trampoline_kernelINS0_14default_configENS1_32segmented_reduce_config_selectorIN3c104HalfEEEZNS1_21segmented_reduce_implIS3_PKS6_PS6_PKiS6_N6hipcub16HIPCUB_304000_NS6detail27convert_result_type_wrapperISA_SB_N2at6native12_GLOBAL__N_110CustomProdEEEEE10hipError_tPvRmT0_T1_jT2_SS_T4_T3_P12ihipStream_tbEUlT_E_NS1_11comp_targetILNS1_3genE8ELNS1_11target_archE1030ELNS1_3gpuE2ELNS1_3repE0EEENS1_30default_config_static_selectorELNS0_4arch9wavefront6targetE0EEEvSR_: ; @_ZN7rocprim17ROCPRIM_400000_NS6detail17trampoline_kernelINS0_14default_configENS1_32segmented_reduce_config_selectorIN3c104HalfEEEZNS1_21segmented_reduce_implIS3_PKS6_PS6_PKiS6_N6hipcub16HIPCUB_304000_NS6detail27convert_result_type_wrapperISA_SB_N2at6native12_GLOBAL__N_110CustomProdEEEEE10hipError_tPvRmT0_T1_jT2_SS_T4_T3_P12ihipStream_tbEUlT_E_NS1_11comp_targetILNS1_3genE8ELNS1_11target_archE1030ELNS1_3gpuE2ELNS1_3repE0EEENS1_30default_config_static_selectorELNS0_4arch9wavefront6targetE0EEEvSR_
; %bb.0:
	.section	.rodata,"a",@progbits
	.p2align	6, 0x0
	.amdhsa_kernel _ZN7rocprim17ROCPRIM_400000_NS6detail17trampoline_kernelINS0_14default_configENS1_32segmented_reduce_config_selectorIN3c104HalfEEEZNS1_21segmented_reduce_implIS3_PKS6_PS6_PKiS6_N6hipcub16HIPCUB_304000_NS6detail27convert_result_type_wrapperISA_SB_N2at6native12_GLOBAL__N_110CustomProdEEEEE10hipError_tPvRmT0_T1_jT2_SS_T4_T3_P12ihipStream_tbEUlT_E_NS1_11comp_targetILNS1_3genE8ELNS1_11target_archE1030ELNS1_3gpuE2ELNS1_3repE0EEENS1_30default_config_static_selectorELNS0_4arch9wavefront6targetE0EEEvSR_
		.amdhsa_group_segment_fixed_size 0
		.amdhsa_private_segment_fixed_size 0
		.amdhsa_kernarg_size 48
		.amdhsa_user_sgpr_count 2
		.amdhsa_user_sgpr_dispatch_ptr 0
		.amdhsa_user_sgpr_queue_ptr 0
		.amdhsa_user_sgpr_kernarg_segment_ptr 1
		.amdhsa_user_sgpr_dispatch_id 0
		.amdhsa_user_sgpr_kernarg_preload_length 0
		.amdhsa_user_sgpr_kernarg_preload_offset 0
		.amdhsa_user_sgpr_private_segment_size 0
		.amdhsa_wavefront_size32 1
		.amdhsa_uses_dynamic_stack 0
		.amdhsa_enable_private_segment 0
		.amdhsa_system_sgpr_workgroup_id_x 1
		.amdhsa_system_sgpr_workgroup_id_y 0
		.amdhsa_system_sgpr_workgroup_id_z 0
		.amdhsa_system_sgpr_workgroup_info 0
		.amdhsa_system_vgpr_workitem_id 0
		.amdhsa_next_free_vgpr 1
		.amdhsa_next_free_sgpr 1
		.amdhsa_named_barrier_count 0
		.amdhsa_reserve_vcc 0
		.amdhsa_float_round_mode_32 0
		.amdhsa_float_round_mode_16_64 0
		.amdhsa_float_denorm_mode_32 3
		.amdhsa_float_denorm_mode_16_64 3
		.amdhsa_fp16_overflow 0
		.amdhsa_memory_ordered 1
		.amdhsa_forward_progress 1
		.amdhsa_inst_pref_size 0
		.amdhsa_round_robin_scheduling 0
		.amdhsa_exception_fp_ieee_invalid_op 0
		.amdhsa_exception_fp_denorm_src 0
		.amdhsa_exception_fp_ieee_div_zero 0
		.amdhsa_exception_fp_ieee_overflow 0
		.amdhsa_exception_fp_ieee_underflow 0
		.amdhsa_exception_fp_ieee_inexact 0
		.amdhsa_exception_int_div_zero 0
	.end_amdhsa_kernel
	.section	.text._ZN7rocprim17ROCPRIM_400000_NS6detail17trampoline_kernelINS0_14default_configENS1_32segmented_reduce_config_selectorIN3c104HalfEEEZNS1_21segmented_reduce_implIS3_PKS6_PS6_PKiS6_N6hipcub16HIPCUB_304000_NS6detail27convert_result_type_wrapperISA_SB_N2at6native12_GLOBAL__N_110CustomProdEEEEE10hipError_tPvRmT0_T1_jT2_SS_T4_T3_P12ihipStream_tbEUlT_E_NS1_11comp_targetILNS1_3genE8ELNS1_11target_archE1030ELNS1_3gpuE2ELNS1_3repE0EEENS1_30default_config_static_selectorELNS0_4arch9wavefront6targetE0EEEvSR_,"axG",@progbits,_ZN7rocprim17ROCPRIM_400000_NS6detail17trampoline_kernelINS0_14default_configENS1_32segmented_reduce_config_selectorIN3c104HalfEEEZNS1_21segmented_reduce_implIS3_PKS6_PS6_PKiS6_N6hipcub16HIPCUB_304000_NS6detail27convert_result_type_wrapperISA_SB_N2at6native12_GLOBAL__N_110CustomProdEEEEE10hipError_tPvRmT0_T1_jT2_SS_T4_T3_P12ihipStream_tbEUlT_E_NS1_11comp_targetILNS1_3genE8ELNS1_11target_archE1030ELNS1_3gpuE2ELNS1_3repE0EEENS1_30default_config_static_selectorELNS0_4arch9wavefront6targetE0EEEvSR_,comdat
.Lfunc_end109:
	.size	_ZN7rocprim17ROCPRIM_400000_NS6detail17trampoline_kernelINS0_14default_configENS1_32segmented_reduce_config_selectorIN3c104HalfEEEZNS1_21segmented_reduce_implIS3_PKS6_PS6_PKiS6_N6hipcub16HIPCUB_304000_NS6detail27convert_result_type_wrapperISA_SB_N2at6native12_GLOBAL__N_110CustomProdEEEEE10hipError_tPvRmT0_T1_jT2_SS_T4_T3_P12ihipStream_tbEUlT_E_NS1_11comp_targetILNS1_3genE8ELNS1_11target_archE1030ELNS1_3gpuE2ELNS1_3repE0EEENS1_30default_config_static_selectorELNS0_4arch9wavefront6targetE0EEEvSR_, .Lfunc_end109-_ZN7rocprim17ROCPRIM_400000_NS6detail17trampoline_kernelINS0_14default_configENS1_32segmented_reduce_config_selectorIN3c104HalfEEEZNS1_21segmented_reduce_implIS3_PKS6_PS6_PKiS6_N6hipcub16HIPCUB_304000_NS6detail27convert_result_type_wrapperISA_SB_N2at6native12_GLOBAL__N_110CustomProdEEEEE10hipError_tPvRmT0_T1_jT2_SS_T4_T3_P12ihipStream_tbEUlT_E_NS1_11comp_targetILNS1_3genE8ELNS1_11target_archE1030ELNS1_3gpuE2ELNS1_3repE0EEENS1_30default_config_static_selectorELNS0_4arch9wavefront6targetE0EEEvSR_
                                        ; -- End function
	.set _ZN7rocprim17ROCPRIM_400000_NS6detail17trampoline_kernelINS0_14default_configENS1_32segmented_reduce_config_selectorIN3c104HalfEEEZNS1_21segmented_reduce_implIS3_PKS6_PS6_PKiS6_N6hipcub16HIPCUB_304000_NS6detail27convert_result_type_wrapperISA_SB_N2at6native12_GLOBAL__N_110CustomProdEEEEE10hipError_tPvRmT0_T1_jT2_SS_T4_T3_P12ihipStream_tbEUlT_E_NS1_11comp_targetILNS1_3genE8ELNS1_11target_archE1030ELNS1_3gpuE2ELNS1_3repE0EEENS1_30default_config_static_selectorELNS0_4arch9wavefront6targetE0EEEvSR_.num_vgpr, 0
	.set _ZN7rocprim17ROCPRIM_400000_NS6detail17trampoline_kernelINS0_14default_configENS1_32segmented_reduce_config_selectorIN3c104HalfEEEZNS1_21segmented_reduce_implIS3_PKS6_PS6_PKiS6_N6hipcub16HIPCUB_304000_NS6detail27convert_result_type_wrapperISA_SB_N2at6native12_GLOBAL__N_110CustomProdEEEEE10hipError_tPvRmT0_T1_jT2_SS_T4_T3_P12ihipStream_tbEUlT_E_NS1_11comp_targetILNS1_3genE8ELNS1_11target_archE1030ELNS1_3gpuE2ELNS1_3repE0EEENS1_30default_config_static_selectorELNS0_4arch9wavefront6targetE0EEEvSR_.num_agpr, 0
	.set _ZN7rocprim17ROCPRIM_400000_NS6detail17trampoline_kernelINS0_14default_configENS1_32segmented_reduce_config_selectorIN3c104HalfEEEZNS1_21segmented_reduce_implIS3_PKS6_PS6_PKiS6_N6hipcub16HIPCUB_304000_NS6detail27convert_result_type_wrapperISA_SB_N2at6native12_GLOBAL__N_110CustomProdEEEEE10hipError_tPvRmT0_T1_jT2_SS_T4_T3_P12ihipStream_tbEUlT_E_NS1_11comp_targetILNS1_3genE8ELNS1_11target_archE1030ELNS1_3gpuE2ELNS1_3repE0EEENS1_30default_config_static_selectorELNS0_4arch9wavefront6targetE0EEEvSR_.numbered_sgpr, 0
	.set _ZN7rocprim17ROCPRIM_400000_NS6detail17trampoline_kernelINS0_14default_configENS1_32segmented_reduce_config_selectorIN3c104HalfEEEZNS1_21segmented_reduce_implIS3_PKS6_PS6_PKiS6_N6hipcub16HIPCUB_304000_NS6detail27convert_result_type_wrapperISA_SB_N2at6native12_GLOBAL__N_110CustomProdEEEEE10hipError_tPvRmT0_T1_jT2_SS_T4_T3_P12ihipStream_tbEUlT_E_NS1_11comp_targetILNS1_3genE8ELNS1_11target_archE1030ELNS1_3gpuE2ELNS1_3repE0EEENS1_30default_config_static_selectorELNS0_4arch9wavefront6targetE0EEEvSR_.num_named_barrier, 0
	.set _ZN7rocprim17ROCPRIM_400000_NS6detail17trampoline_kernelINS0_14default_configENS1_32segmented_reduce_config_selectorIN3c104HalfEEEZNS1_21segmented_reduce_implIS3_PKS6_PS6_PKiS6_N6hipcub16HIPCUB_304000_NS6detail27convert_result_type_wrapperISA_SB_N2at6native12_GLOBAL__N_110CustomProdEEEEE10hipError_tPvRmT0_T1_jT2_SS_T4_T3_P12ihipStream_tbEUlT_E_NS1_11comp_targetILNS1_3genE8ELNS1_11target_archE1030ELNS1_3gpuE2ELNS1_3repE0EEENS1_30default_config_static_selectorELNS0_4arch9wavefront6targetE0EEEvSR_.private_seg_size, 0
	.set _ZN7rocprim17ROCPRIM_400000_NS6detail17trampoline_kernelINS0_14default_configENS1_32segmented_reduce_config_selectorIN3c104HalfEEEZNS1_21segmented_reduce_implIS3_PKS6_PS6_PKiS6_N6hipcub16HIPCUB_304000_NS6detail27convert_result_type_wrapperISA_SB_N2at6native12_GLOBAL__N_110CustomProdEEEEE10hipError_tPvRmT0_T1_jT2_SS_T4_T3_P12ihipStream_tbEUlT_E_NS1_11comp_targetILNS1_3genE8ELNS1_11target_archE1030ELNS1_3gpuE2ELNS1_3repE0EEENS1_30default_config_static_selectorELNS0_4arch9wavefront6targetE0EEEvSR_.uses_vcc, 0
	.set _ZN7rocprim17ROCPRIM_400000_NS6detail17trampoline_kernelINS0_14default_configENS1_32segmented_reduce_config_selectorIN3c104HalfEEEZNS1_21segmented_reduce_implIS3_PKS6_PS6_PKiS6_N6hipcub16HIPCUB_304000_NS6detail27convert_result_type_wrapperISA_SB_N2at6native12_GLOBAL__N_110CustomProdEEEEE10hipError_tPvRmT0_T1_jT2_SS_T4_T3_P12ihipStream_tbEUlT_E_NS1_11comp_targetILNS1_3genE8ELNS1_11target_archE1030ELNS1_3gpuE2ELNS1_3repE0EEENS1_30default_config_static_selectorELNS0_4arch9wavefront6targetE0EEEvSR_.uses_flat_scratch, 0
	.set _ZN7rocprim17ROCPRIM_400000_NS6detail17trampoline_kernelINS0_14default_configENS1_32segmented_reduce_config_selectorIN3c104HalfEEEZNS1_21segmented_reduce_implIS3_PKS6_PS6_PKiS6_N6hipcub16HIPCUB_304000_NS6detail27convert_result_type_wrapperISA_SB_N2at6native12_GLOBAL__N_110CustomProdEEEEE10hipError_tPvRmT0_T1_jT2_SS_T4_T3_P12ihipStream_tbEUlT_E_NS1_11comp_targetILNS1_3genE8ELNS1_11target_archE1030ELNS1_3gpuE2ELNS1_3repE0EEENS1_30default_config_static_selectorELNS0_4arch9wavefront6targetE0EEEvSR_.has_dyn_sized_stack, 0
	.set _ZN7rocprim17ROCPRIM_400000_NS6detail17trampoline_kernelINS0_14default_configENS1_32segmented_reduce_config_selectorIN3c104HalfEEEZNS1_21segmented_reduce_implIS3_PKS6_PS6_PKiS6_N6hipcub16HIPCUB_304000_NS6detail27convert_result_type_wrapperISA_SB_N2at6native12_GLOBAL__N_110CustomProdEEEEE10hipError_tPvRmT0_T1_jT2_SS_T4_T3_P12ihipStream_tbEUlT_E_NS1_11comp_targetILNS1_3genE8ELNS1_11target_archE1030ELNS1_3gpuE2ELNS1_3repE0EEENS1_30default_config_static_selectorELNS0_4arch9wavefront6targetE0EEEvSR_.has_recursion, 0
	.set _ZN7rocprim17ROCPRIM_400000_NS6detail17trampoline_kernelINS0_14default_configENS1_32segmented_reduce_config_selectorIN3c104HalfEEEZNS1_21segmented_reduce_implIS3_PKS6_PS6_PKiS6_N6hipcub16HIPCUB_304000_NS6detail27convert_result_type_wrapperISA_SB_N2at6native12_GLOBAL__N_110CustomProdEEEEE10hipError_tPvRmT0_T1_jT2_SS_T4_T3_P12ihipStream_tbEUlT_E_NS1_11comp_targetILNS1_3genE8ELNS1_11target_archE1030ELNS1_3gpuE2ELNS1_3repE0EEENS1_30default_config_static_selectorELNS0_4arch9wavefront6targetE0EEEvSR_.has_indirect_call, 0
	.section	.AMDGPU.csdata,"",@progbits
; Kernel info:
; codeLenInByte = 0
; TotalNumSgprs: 0
; NumVgprs: 0
; ScratchSize: 0
; MemoryBound: 0
; FloatMode: 240
; IeeeMode: 1
; LDSByteSize: 0 bytes/workgroup (compile time only)
; SGPRBlocks: 0
; VGPRBlocks: 0
; NumSGPRsForWavesPerEU: 1
; NumVGPRsForWavesPerEU: 1
; NamedBarCnt: 0
; Occupancy: 16
; WaveLimiterHint : 0
; COMPUTE_PGM_RSRC2:SCRATCH_EN: 0
; COMPUTE_PGM_RSRC2:USER_SGPR: 2
; COMPUTE_PGM_RSRC2:TRAP_HANDLER: 0
; COMPUTE_PGM_RSRC2:TGID_X_EN: 1
; COMPUTE_PGM_RSRC2:TGID_Y_EN: 0
; COMPUTE_PGM_RSRC2:TGID_Z_EN: 0
; COMPUTE_PGM_RSRC2:TIDIG_COMP_CNT: 0
	.section	.text._ZN2at6native12_GLOBAL__N_129segment_reduce_forward_kernelIN3c108BFloat16EiEEvNS0_13ReductionTypeEPT_PKS6_PKT0_SC_llbS6_lllllll,"axG",@progbits,_ZN2at6native12_GLOBAL__N_129segment_reduce_forward_kernelIN3c108BFloat16EiEEvNS0_13ReductionTypeEPT_PKS6_PKT0_SC_llbS6_lllllll,comdat
	.globl	_ZN2at6native12_GLOBAL__N_129segment_reduce_forward_kernelIN3c108BFloat16EiEEvNS0_13ReductionTypeEPT_PKS6_PKT0_SC_llbS6_lllllll ; -- Begin function _ZN2at6native12_GLOBAL__N_129segment_reduce_forward_kernelIN3c108BFloat16EiEEvNS0_13ReductionTypeEPT_PKS6_PKT0_SC_llbS6_lllllll
	.p2align	8
	.type	_ZN2at6native12_GLOBAL__N_129segment_reduce_forward_kernelIN3c108BFloat16EiEEvNS0_13ReductionTypeEPT_PKS6_PKT0_SC_llbS6_lllllll,@function
_ZN2at6native12_GLOBAL__N_129segment_reduce_forward_kernelIN3c108BFloat16EiEEvNS0_13ReductionTypeEPT_PKS6_PKT0_SC_llbS6_lllllll: ; @_ZN2at6native12_GLOBAL__N_129segment_reduce_forward_kernelIN3c108BFloat16EiEEvNS0_13ReductionTypeEPT_PKS6_PKT0_SC_llbS6_lllllll
; %bb.0:
	s_clause 0x2
	s_load_b32 s2, s[0:1], 0x84
	s_load_b128 s[28:31], s[0:1], 0x28
	s_load_b256 s[20:27], s[0:1], 0x40
	s_bfe_u32 s3, ttmp6, 0x4000c
	v_mov_b32_e32 v2, 0
	s_add_co_i32 s3, s3, 1
	s_and_b32 s4, ttmp6, 15
	s_mul_i32 s3, ttmp9, s3
	s_getreg_b32 s5, hwreg(HW_REG_IB_STS2, 6, 4)
	v_mov_b32_e32 v1, v2
	s_add_co_i32 s4, s4, s3
	s_wait_kmcnt 0x0
	s_and_b32 s2, s2, 0xffff
	s_cmp_eq_u32 s5, 0
	s_cselect_b32 s3, ttmp9, s4
	s_delay_alu instid0(SALU_CYCLE_1) | instskip(SKIP_1) | instid1(SALU_CYCLE_1)
	v_mad_nc_u64_u32 v[0:1], s2, s3, v[0:1]
	s_mul_u64 s[2:3], s[20:21], s[28:29]
	s_mul_u64 s[2:3], s[2:3], s[22:23]
	s_delay_alu instid0(VALU_DEP_1) | instid1(SALU_CYCLE_1)
	v_cmp_gt_i64_e32 vcc_lo, s[2:3], v[0:1]
	s_and_saveexec_b32 s2, vcc_lo
	s_cbranch_execz .LBB110_37
; %bb.1:
	v_or_b32_e32 v3, s23, v1
                                        ; implicit-def: $vgpr6_vgpr7
	s_mov_b32 s2, exec_lo
	s_delay_alu instid0(VALU_DEP_1)
	v_cmpx_ne_u64_e32 0, v[2:3]
	s_xor_b32 s3, exec_lo, s2
	s_cbranch_execz .LBB110_3
; %bb.2:
	s_ashr_i32 s4, s23, 31
	s_mov_b32 s15, 0
	s_mov_b32 s5, s4
	v_dual_mov_b32 v7, 0 :: v_dual_ashrrev_i32 v2, 31, v1
	s_add_nc_u64 s[6:7], s[22:23], s[4:5]
	s_delay_alu instid0(SALU_CYCLE_1) | instskip(NEXT) | instid1(VALU_DEP_1)
	s_xor_b64 s[6:7], s[6:7], s[4:5]
	v_mov_b32_e32 v3, v2
	s_cvt_f32_u32 s2, s6
	s_cvt_f32_u32 s5, s7
	s_sub_nc_u64 s[10:11], 0, s[6:7]
	s_delay_alu instid0(VALU_DEP_1) | instskip(NEXT) | instid1(SALU_CYCLE_1)
	v_add_nc_u64_e32 v[4:5], v[0:1], v[2:3]
	s_fmamk_f32 s2, s5, 0x4f800000, s2
	v_mov_b32_e32 v9, v7
	s_delay_alu instid0(SALU_CYCLE_2) | instskip(NEXT) | instid1(VALU_DEP_2)
	v_s_rcp_f32 s2, s2
	v_xor_b32_e32 v6, v4, v2
	s_delay_alu instid0(VALU_DEP_3) | instskip(SKIP_1) | instid1(TRANS32_DEP_1)
	v_dual_mov_b32 v15, v7 :: v_dual_bitop2_b32 v8, v5, v2 bitop3:0x14
	v_xor_b32_e32 v2, s4, v2
	s_mul_f32 s2, s2, 0x5f7ffffc
	s_delay_alu instid0(SALU_CYCLE_3) | instskip(NEXT) | instid1(SALU_CYCLE_3)
	s_mul_f32 s5, s2, 0x2f800000
	s_trunc_f32 s5, s5
	s_delay_alu instid0(SALU_CYCLE_3) | instskip(SKIP_1) | instid1(SALU_CYCLE_2)
	s_fmamk_f32 s2, s5, 0xcf800000, s2
	s_cvt_u32_f32 s9, s5
	s_cvt_u32_f32 s8, s2
	s_delay_alu instid0(SALU_CYCLE_3) | instskip(NEXT) | instid1(SALU_CYCLE_1)
	s_mul_u64 s[12:13], s[10:11], s[8:9]
	s_mul_hi_u32 s17, s8, s13
	s_mul_i32 s16, s8, s13
	s_mul_hi_u32 s14, s8, s12
	s_mul_i32 s5, s9, s12
	s_add_nc_u64 s[16:17], s[14:15], s[16:17]
	s_mul_hi_u32 s2, s9, s12
	s_mul_hi_u32 s18, s9, s13
	s_add_co_u32 s5, s16, s5
	s_add_co_ci_u32 s14, s17, s2
	s_mul_i32 s12, s9, s13
	s_add_co_ci_u32 s13, s18, 0
	s_delay_alu instid0(SALU_CYCLE_1) | instskip(NEXT) | instid1(SALU_CYCLE_1)
	s_add_nc_u64 s[12:13], s[14:15], s[12:13]
	s_add_co_u32 s8, s8, s12
	s_cselect_b32 s2, -1, 0
	s_delay_alu instid0(SALU_CYCLE_1) | instskip(SKIP_1) | instid1(SALU_CYCLE_1)
	s_cmp_lg_u32 s2, 0
	s_add_co_ci_u32 s9, s9, s13
	s_mul_u64 s[10:11], s[10:11], s[8:9]
	s_delay_alu instid0(SALU_CYCLE_1)
	s_mul_hi_u32 s13, s8, s11
	s_mul_i32 s12, s8, s11
	s_mul_hi_u32 s14, s8, s10
	s_mul_i32 s5, s9, s10
	s_add_nc_u64 s[12:13], s[14:15], s[12:13]
	s_mul_hi_u32 s2, s9, s10
	s_mul_hi_u32 s16, s9, s11
	s_add_co_u32 s5, s12, s5
	s_add_co_ci_u32 s14, s13, s2
	s_mul_i32 s10, s9, s11
	s_add_co_ci_u32 s11, s16, 0
	s_delay_alu instid0(SALU_CYCLE_1) | instskip(NEXT) | instid1(SALU_CYCLE_1)
	s_add_nc_u64 s[10:11], s[14:15], s[10:11]
	s_add_co_u32 s2, s8, s10
	s_cselect_b32 s5, -1, 0
	v_mul_hi_u32 v14, v6, s2
	s_cmp_lg_u32 s5, 0
	s_add_co_ci_u32 s14, s9, s11
	s_mov_b64 s[8:9], 0xffffffff
	v_mul_u64_e32 v[10:11], s[14:15], v[6:7]
	s_and_b64 s[8:9], s[2:3], s[8:9]
	v_mul_u64_e32 v[12:13], s[14:15], v[8:9]
	v_mul_u64_e32 v[4:5], s[8:9], v[8:9]
	s_delay_alu instid0(VALU_DEP_3) | instskip(NEXT) | instid1(VALU_DEP_1)
	v_add_nc_u64_e32 v[10:11], v[14:15], v[10:11]
	v_add_co_u32 v3, vcc_lo, v10, v4
	s_delay_alu instid0(VALU_DEP_2) | instskip(SKIP_1) | instid1(VALU_DEP_1)
	v_add_co_ci_u32_e32 v14, vcc_lo, v11, v5, vcc_lo
	v_add_co_ci_u32_e32 v13, vcc_lo, 0, v13, vcc_lo
	v_add_nc_u64_e32 v[4:5], v[14:15], v[12:13]
	s_delay_alu instid0(VALU_DEP_1) | instskip(NEXT) | instid1(VALU_DEP_1)
	v_mul_u64_e32 v[10:11], s[6:7], v[4:5]
	v_sub_nc_u32_e32 v3, v8, v11
	s_delay_alu instid0(VALU_DEP_2) | instskip(NEXT) | instid1(VALU_DEP_1)
	v_sub_co_u32 v6, vcc_lo, v6, v10
	v_sub_co_ci_u32_e64 v10, null, v8, v11, vcc_lo
	s_delay_alu instid0(VALU_DEP_3) | instskip(NEXT) | instid1(VALU_DEP_3)
	v_subrev_co_ci_u32_e64 v3, null, s7, v3, vcc_lo
	v_sub_co_u32 v7, s2, v6, s6
	s_delay_alu instid0(VALU_DEP_1) | instskip(NEXT) | instid1(VALU_DEP_2)
	v_subrev_co_ci_u32_e64 v3, null, 0, v3, s2
	v_cmp_le_u32_e32 vcc_lo, s6, v7
	v_cndmask_b32_e64 v7, 0, -1, vcc_lo
	s_delay_alu instid0(VALU_DEP_3)
	v_cmp_le_u32_e32 vcc_lo, s7, v3
	v_cndmask_b32_e64 v8, 0, -1, vcc_lo
	v_cmp_le_u32_e32 vcc_lo, s6, v6
	v_cndmask_b32_e64 v11, 0, -1, vcc_lo
	;; [unrolled: 2-line block ×3, first 2 shown]
	v_cmp_eq_u32_e32 vcc_lo, s7, v3
	v_cndmask_b32_e32 v3, v8, v7, vcc_lo
	v_cmp_eq_u32_e32 vcc_lo, s7, v10
	v_add_nc_u64_e32 v[6:7], 2, v[4:5]
	v_add_nc_u64_e32 v[8:9], 1, v[4:5]
	v_cndmask_b32_e32 v10, v12, v11, vcc_lo
	v_cmp_ne_u32_e32 vcc_lo, 0, v3
	s_delay_alu instid0(VALU_DEP_2) | instskip(NEXT) | instid1(VALU_DEP_4)
	v_cmp_ne_u32_e64 s2, 0, v10
	v_dual_cndmask_b32 v6, v8, v6 :: v_dual_cndmask_b32 v3, v9, v7
	s_delay_alu instid0(VALU_DEP_1) | instskip(NEXT) | instid1(VALU_DEP_1)
	v_dual_cndmask_b32 v4, v4, v6, s2 :: v_dual_cndmask_b32 v5, v5, v3, s2
	v_dual_mov_b32 v3, v2 :: v_dual_bitop2_b32 v4, v4, v2 bitop3:0x14
	s_delay_alu instid0(VALU_DEP_2) | instskip(NEXT) | instid1(VALU_DEP_1)
	v_xor_b32_e32 v5, v5, v2
	v_sub_nc_u64_e32 v[6:7], v[4:5], v[2:3]
.LBB110_3:
	s_or_saveexec_b32 s2, s3
	s_clause 0x1
	s_load_b256 s[4:11], s[0:1], 0x8
	s_load_b256 s[12:19], s[0:1], 0x60
	s_xor_b32 exec_lo, exec_lo, s2
	s_cbranch_execz .LBB110_5
; %bb.4:
	v_cvt_f32_u32_e32 v2, s22
	s_sub_co_i32 s3, 0, s22
	v_mov_b32_e32 v7, 0
	s_delay_alu instid0(VALU_DEP_2) | instskip(SKIP_1) | instid1(TRANS32_DEP_1)
	v_rcp_iflag_f32_e32 v2, v2
	v_nop
	v_mul_f32_e32 v2, 0x4f7ffffe, v2
	s_delay_alu instid0(VALU_DEP_1) | instskip(NEXT) | instid1(VALU_DEP_1)
	v_cvt_u32_f32_e32 v2, v2
	v_mul_lo_u32 v3, s3, v2
	s_delay_alu instid0(VALU_DEP_1) | instskip(NEXT) | instid1(VALU_DEP_1)
	v_mul_hi_u32 v3, v2, v3
	v_add_nc_u32_e32 v2, v2, v3
	s_delay_alu instid0(VALU_DEP_1) | instskip(NEXT) | instid1(VALU_DEP_1)
	v_mul_hi_u32 v2, v0, v2
	v_mul_lo_u32 v3, v2, s22
	s_delay_alu instid0(VALU_DEP_1) | instskip(NEXT) | instid1(VALU_DEP_1)
	v_dual_add_nc_u32 v4, 1, v2 :: v_dual_sub_nc_u32 v3, v0, v3
	v_subrev_nc_u32_e32 v5, s22, v3
	v_cmp_le_u32_e32 vcc_lo, s22, v3
	s_delay_alu instid0(VALU_DEP_2) | instskip(NEXT) | instid1(VALU_DEP_1)
	v_dual_cndmask_b32 v3, v3, v5 :: v_dual_cndmask_b32 v2, v2, v4
	v_cmp_le_u32_e32 vcc_lo, s22, v3
	s_delay_alu instid0(VALU_DEP_2) | instskip(NEXT) | instid1(VALU_DEP_1)
	v_add_nc_u32_e32 v4, 1, v2
	v_cndmask_b32_e32 v6, v2, v4, vcc_lo
.LBB110_5:
	s_or_b32 exec_lo, exec_lo, s2
	v_dual_mov_b32 v4, 0 :: v_dual_bitop2_b32 v5, s29, v7 bitop3:0x54
                                        ; implicit-def: $vgpr2_vgpr3
	s_mov_b32 s2, exec_lo
	s_delay_alu instid0(VALU_DEP_1)
	v_cmpx_ne_u64_e32 0, v[4:5]
	s_xor_b32 s3, exec_lo, s2
	s_cbranch_execz .LBB110_7
; %bb.6:
	s_wait_kmcnt 0x0
	s_ashr_i32 s18, s29, 31
	s_mov_b32 s41, 0
	s_mov_b32 s19, s18
	v_dual_mov_b32 v11, v4 :: v_dual_ashrrev_i32 v2, 31, v7
	s_add_nc_u64 s[20:21], s[28:29], s[18:19]
	v_dual_mov_b32 v19, v4 :: v_dual_mov_b32 v5, v4
	s_xor_b64 s[20:21], s[20:21], s[18:19]
	s_delay_alu instid0(VALU_DEP_2) | instskip(SKIP_3) | instid1(VALU_DEP_1)
	v_mov_b32_e32 v3, v2
	s_cvt_f32_u32 s2, s20
	s_cvt_f32_u32 s19, s21
	s_sub_nc_u64 s[36:37], 0, s[20:21]
	v_add_nc_u64_e32 v[8:9], v[6:7], v[2:3]
	s_delay_alu instid0(SALU_CYCLE_1) | instskip(SKIP_1) | instid1(SALU_CYCLE_2)
	s_fmamk_f32 s2, s19, 0x4f800000, s2
	v_mov_b32_e32 v13, v4
	v_s_rcp_f32 s2, s2
	s_delay_alu instid0(VALU_DEP_2) | instskip(NEXT) | instid1(VALU_DEP_3)
	v_xor_b32_e32 v10, v8, v2
	v_xor_b32_e32 v12, v9, v2
	;; [unrolled: 1-line block ×3, first 2 shown]
	s_delay_alu instid0(TRANS32_DEP_1) | instskip(NEXT) | instid1(SALU_CYCLE_3)
	s_mul_f32 s2, s2, 0x5f7ffffc
	s_mul_f32 s19, s2, 0x2f800000
	s_delay_alu instid0(SALU_CYCLE_3) | instskip(NEXT) | instid1(SALU_CYCLE_3)
	s_trunc_f32 s19, s19
	s_fmamk_f32 s2, s19, 0xcf800000, s2
	s_cvt_u32_f32 s35, s19
	s_delay_alu instid0(SALU_CYCLE_2) | instskip(NEXT) | instid1(SALU_CYCLE_3)
	s_cvt_u32_f32 s34, s2
	s_mul_u64 s[38:39], s[36:37], s[34:35]
	s_delay_alu instid0(SALU_CYCLE_1)
	s_mul_hi_u32 s43, s34, s39
	s_mul_i32 s42, s34, s39
	s_mul_hi_u32 s40, s34, s38
	s_mul_i32 s19, s35, s38
	s_add_nc_u64 s[42:43], s[40:41], s[42:43]
	s_mul_hi_u32 s2, s35, s38
	s_mul_hi_u32 s33, s35, s39
	s_add_co_u32 s19, s42, s19
	s_add_co_ci_u32 s40, s43, s2
	s_mul_i32 s38, s35, s39
	s_add_co_ci_u32 s39, s33, 0
	s_delay_alu instid0(SALU_CYCLE_1) | instskip(NEXT) | instid1(SALU_CYCLE_1)
	s_add_nc_u64 s[38:39], s[40:41], s[38:39]
	s_add_co_u32 s34, s34, s38
	s_cselect_b32 s2, -1, 0
	s_delay_alu instid0(SALU_CYCLE_1) | instskip(SKIP_1) | instid1(SALU_CYCLE_1)
	s_cmp_lg_u32 s2, 0
	s_add_co_ci_u32 s35, s35, s39
	s_mul_u64 s[36:37], s[36:37], s[34:35]
	s_delay_alu instid0(SALU_CYCLE_1)
	s_mul_hi_u32 s39, s34, s37
	s_mul_i32 s38, s34, s37
	s_mul_hi_u32 s40, s34, s36
	s_mul_i32 s19, s35, s36
	s_add_nc_u64 s[38:39], s[40:41], s[38:39]
	s_mul_hi_u32 s2, s35, s36
	s_mul_hi_u32 s33, s35, s37
	s_add_co_u32 s19, s38, s19
	s_add_co_ci_u32 s40, s39, s2
	s_mul_i32 s36, s35, s37
	s_add_co_ci_u32 s37, s33, 0
	s_delay_alu instid0(SALU_CYCLE_1) | instskip(NEXT) | instid1(SALU_CYCLE_1)
	s_add_nc_u64 s[36:37], s[40:41], s[36:37]
	s_add_co_u32 s2, s34, s36
	s_cselect_b32 s19, -1, 0
	v_mul_hi_u32 v18, v10, s2
	s_cmp_lg_u32 s19, 0
	s_add_co_ci_u32 s40, s35, s37
	s_mov_b64 s[34:35], 0xffffffff
	v_mul_u64_e32 v[14:15], s[40:41], v[10:11]
	s_and_b64 s[34:35], s[2:3], s[34:35]
	v_mul_u64_e32 v[16:17], s[40:41], v[12:13]
	v_mul_u64_e32 v[8:9], s[34:35], v[12:13]
	s_delay_alu instid0(VALU_DEP_3) | instskip(NEXT) | instid1(VALU_DEP_1)
	v_add_nc_u64_e32 v[14:15], v[18:19], v[14:15]
	v_add_co_u32 v3, vcc_lo, v14, v8
	s_delay_alu instid0(VALU_DEP_2) | instskip(SKIP_1) | instid1(VALU_DEP_1)
	v_add_co_ci_u32_e32 v4, vcc_lo, v15, v9, vcc_lo
	v_add_co_ci_u32_e32 v17, vcc_lo, 0, v17, vcc_lo
	v_add_nc_u64_e32 v[4:5], v[4:5], v[16:17]
	s_delay_alu instid0(VALU_DEP_1) | instskip(NEXT) | instid1(VALU_DEP_1)
	v_mul_u64_e32 v[8:9], s[20:21], v[4:5]
	v_sub_nc_u32_e32 v3, v12, v9
	s_delay_alu instid0(VALU_DEP_2) | instskip(NEXT) | instid1(VALU_DEP_1)
	v_sub_co_u32 v8, vcc_lo, v10, v8
	v_sub_co_ci_u32_e64 v12, null, v12, v9, vcc_lo
	s_delay_alu instid0(VALU_DEP_3) | instskip(NEXT) | instid1(VALU_DEP_3)
	v_subrev_co_ci_u32_e64 v3, null, s21, v3, vcc_lo
	v_sub_co_u32 v10, s2, v8, s20
	s_delay_alu instid0(VALU_DEP_1) | instskip(NEXT) | instid1(VALU_DEP_2)
	v_subrev_co_ci_u32_e64 v3, null, 0, v3, s2
	v_cmp_le_u32_e32 vcc_lo, s20, v10
	v_cndmask_b32_e64 v9, 0, -1, vcc_lo
	s_delay_alu instid0(VALU_DEP_3)
	v_cmp_le_u32_e32 vcc_lo, s21, v3
	v_cndmask_b32_e64 v10, 0, -1, vcc_lo
	v_cmp_le_u32_e32 vcc_lo, s20, v8
	v_cndmask_b32_e64 v13, 0, -1, vcc_lo
	;; [unrolled: 2-line block ×3, first 2 shown]
	v_cmp_eq_u32_e32 vcc_lo, s21, v3
	v_cndmask_b32_e32 v3, v10, v9, vcc_lo
	v_cmp_eq_u32_e32 vcc_lo, s21, v12
	v_add_nc_u64_e32 v[8:9], 2, v[4:5]
	v_add_nc_u64_e32 v[10:11], 1, v[4:5]
	v_cndmask_b32_e32 v12, v14, v13, vcc_lo
	v_cmp_ne_u32_e32 vcc_lo, 0, v3
	s_delay_alu instid0(VALU_DEP_2) | instskip(NEXT) | instid1(VALU_DEP_4)
	v_cmp_ne_u32_e64 s2, 0, v12
	v_dual_cndmask_b32 v8, v10, v8 :: v_dual_cndmask_b32 v3, v11, v9
	s_delay_alu instid0(VALU_DEP_1) | instskip(NEXT) | instid1(VALU_DEP_1)
	v_dual_cndmask_b32 v4, v4, v8, s2 :: v_dual_cndmask_b32 v5, v5, v3, s2
	v_dual_mov_b32 v3, v2 :: v_dual_bitop2_b32 v4, v4, v2 bitop3:0x14
	s_delay_alu instid0(VALU_DEP_2) | instskip(NEXT) | instid1(VALU_DEP_1)
	v_xor_b32_e32 v5, v5, v2
	v_sub_nc_u64_e32 v[2:3], v[4:5], v[2:3]
.LBB110_7:
	s_and_not1_saveexec_b32 s2, s3
	s_cbranch_execz .LBB110_9
; %bb.8:
	v_cvt_f32_u32_e32 v2, s28
	s_sub_co_i32 s3, 0, s28
	s_delay_alu instid0(VALU_DEP_1) | instskip(SKIP_1) | instid1(TRANS32_DEP_1)
	v_rcp_iflag_f32_e32 v2, v2
	v_nop
	v_mul_f32_e32 v2, 0x4f7ffffe, v2
	s_delay_alu instid0(VALU_DEP_1) | instskip(NEXT) | instid1(VALU_DEP_1)
	v_cvt_u32_f32_e32 v2, v2
	v_mul_lo_u32 v3, s3, v2
	s_delay_alu instid0(VALU_DEP_1) | instskip(NEXT) | instid1(VALU_DEP_1)
	v_mul_hi_u32 v3, v2, v3
	v_add_nc_u32_e32 v2, v2, v3
	s_delay_alu instid0(VALU_DEP_1) | instskip(NEXT) | instid1(VALU_DEP_1)
	v_mul_hi_u32 v2, v6, v2
	v_mul_lo_u32 v3, v2, s28
	s_delay_alu instid0(VALU_DEP_1) | instskip(NEXT) | instid1(VALU_DEP_1)
	v_dual_add_nc_u32 v4, 1, v2 :: v_dual_sub_nc_u32 v3, v6, v3
	v_subrev_nc_u32_e32 v5, s28, v3
	v_cmp_le_u32_e32 vcc_lo, s28, v3
	s_delay_alu instid0(VALU_DEP_2) | instskip(NEXT) | instid1(VALU_DEP_1)
	v_dual_cndmask_b32 v3, v3, v5 :: v_dual_cndmask_b32 v2, v2, v4
	v_cmp_le_u32_e32 vcc_lo, s28, v3
	s_delay_alu instid0(VALU_DEP_2) | instskip(NEXT) | instid1(VALU_DEP_1)
	v_dual_mov_b32 v3, 0 :: v_dual_add_nc_u32 v4, 1, v2
	v_cndmask_b32_e32 v2, v2, v4, vcc_lo
.LBB110_9:
	s_or_b32 exec_lo, exec_lo, s2
	s_add_nc_u64 s[2:3], s[28:29], 1
	s_delay_alu instid0(VALU_DEP_1) | instskip(SKIP_2) | instid1(SALU_CYCLE_1)
	v_mul_u64_e32 v[8:9], s[28:29], v[2:3]
	s_wait_kmcnt 0x0
	s_mul_u64 s[2:3], s[16:17], s[2:3]
	v_mul_u64_e32 v[10:11], s[2:3], v[2:3]
	s_delay_alu instid0(VALU_DEP_2) | instskip(SKIP_1) | instid1(VALU_DEP_3)
	v_sub_nc_u64_e32 v[4:5], v[6:7], v[8:9]
	v_mul_u64_e32 v[6:7], s[22:23], v[6:7]
	v_lshl_add_u64 v[10:11], v[10:11], 2, s[10:11]
	s_delay_alu instid0(VALU_DEP_1)
	v_lshl_add_u64 v[10:11], v[4:5], 2, v[10:11]
	global_load_b64 v[10:11], v[10:11], off
	s_clause 0x1
	s_load_b32 s11, s[0:1], 0x38
	s_load_b32 s10, s[0:1], 0x0
	s_wait_xcnt 0x0
	s_mov_b32 s1, exec_lo
	s_wait_kmcnt 0x0
	s_lshr_b32 s0, s11, 16
	s_delay_alu instid0(SALU_CYCLE_1)
	v_mov_b32_e32 v14, s0
	s_wait_loadcnt 0x0
	v_cmpx_lt_i32_e64 v10, v11
	s_cbranch_execz .LBB110_28
; %bb.10:
	v_mul_u64_e32 v[12:13], s[26:27], v[2:3]
	v_dual_mov_b32 v14, v10 :: v_dual_ashrrev_i32 v15, 31, v10
	v_lshlrev_b64_e32 v[16:17], 1, v[0:1]
	s_cmp_lg_u32 s10, 0
	s_cselect_b32 s16, -1, 0
	s_delay_alu instid0(VALU_DEP_2) | instskip(NEXT) | instid1(VALU_DEP_1)
	v_lshlrev_b64_e32 v[14:15], 1, v[14:15]
	v_lshl_add_u64 v[12:13], v[12:13], 1, v[14:15]
	s_delay_alu instid0(VALU_DEP_1) | instskip(NEXT) | instid1(VALU_DEP_1)
	v_mad_nc_u64_u32 v[14:15], s24, v12, v[16:17]
	v_mad_u32 v12, s25, v12, v15
	s_delay_alu instid0(VALU_DEP_1) | instskip(SKIP_1) | instid1(VALU_DEP_1)
	v_mad_u32 v15, s24, v13, v12
	v_lshlrev_b64_e32 v[12:13], 1, v[6:7]
	v_sub_nc_u64_e32 v[12:13], v[14:15], v[12:13]
	v_mov_b32_e32 v15, s0
	s_and_b32 s0, s10, -3
	s_delay_alu instid0(SALU_CYCLE_1) | instskip(NEXT) | instid1(VALU_DEP_1)
	s_cmp_lg_u32 s0, 1
	v_mov_b32_e32 v16, v15
	s_delay_alu instid0(VALU_DEP_3)
	v_add_nc_u64_e32 v[12:13], s[6:7], v[12:13]
	s_mov_b32 s6, 0
	s_cselect_b32 s7, -1, 0
	s_lshl_b64 s[2:3], s[24:25], 1
	s_branch .LBB110_12
.LBB110_11:                             ;   in Loop: Header=BB110_12 Depth=1
	s_delay_alu instid0(VALU_DEP_1) | instskip(SKIP_3) | instid1(VALU_DEP_3)
	v_dual_mov_b32 v15, v14 :: v_dual_add_nc_u32 v10, 1, v10
	s_wait_xcnt 0x0
	v_add_nc_u64_e32 v[12:13], s[2:3], v[12:13]
	v_mov_b32_e32 v16, v18
	v_cmp_ge_i32_e32 vcc_lo, v10, v11
	s_or_b32 s6, vcc_lo, s6
	s_delay_alu instid0(SALU_CYCLE_1)
	s_and_not1_b32 exec_lo, exec_lo, s6
	s_cbranch_execz .LBB110_27
.LBB110_12:                             ; =>This Inner Loop Header: Depth=1
	s_wait_loadcnt 0x0
	global_load_u16 v17, v[12:13], off
	s_and_b32 vcc_lo, exec_lo, s16
	s_cbranch_vccz .LBB110_25
; %bb.13:                               ;   in Loop: Header=BB110_12 Depth=1
	s_and_b32 vcc_lo, exec_lo, s7
	s_mov_b32 s0, -1
                                        ; implicit-def: $vgpr18
                                        ; implicit-def: $vgpr14
	s_cbranch_vccz .LBB110_22
; %bb.14:                               ;   in Loop: Header=BB110_12 Depth=1
	s_cmp_lt_i32 s10, 4
                                        ; implicit-def: $vgpr18
                                        ; implicit-def: $vgpr14
	s_cbranch_scc1 .LBB110_18
; %bb.15:                               ;   in Loop: Header=BB110_12 Depth=1
	v_dual_mov_b32 v18, v16 :: v_dual_mov_b32 v14, v15
	s_cmp_eq_u32 s10, 4
	s_cbranch_scc0 .LBB110_17
; %bb.16:                               ;   in Loop: Header=BB110_12 Depth=1
	s_wait_loadcnt 0x0
	v_dual_lshlrev_b32 v14, 16, v17 :: v_dual_lshlrev_b32 v18, 16, v16
	s_delay_alu instid0(VALU_DEP_1) | instskip(NEXT) | instid1(VALU_DEP_1)
	v_mul_f32_e32 v14, v18, v14
	v_bfe_u32 v18, v14, 16, 1
	v_cmp_o_f32_e32 vcc_lo, v14, v14
	s_delay_alu instid0(VALU_DEP_2) | instskip(NEXT) | instid1(VALU_DEP_1)
	v_add3_u32 v18, v14, v18, 0x7fff
	v_lshrrev_b32_e32 v18, 16, v18
	s_delay_alu instid0(VALU_DEP_1) | instskip(NEXT) | instid1(VALU_DEP_1)
	v_cndmask_b32_e32 v18, 0x7fc0, v18, vcc_lo
	v_mov_b32_e32 v14, v18
.LBB110_17:                             ;   in Loop: Header=BB110_12 Depth=1
	s_mov_b32 s0, 0
.LBB110_18:                             ;   in Loop: Header=BB110_12 Depth=1
	s_delay_alu instid0(SALU_CYCLE_1)
	s_and_not1_b32 vcc_lo, exec_lo, s0
	s_cbranch_vccnz .LBB110_21
; %bb.19:                               ;   in Loop: Header=BB110_12 Depth=1
	v_dual_mov_b32 v18, v16 :: v_dual_mov_b32 v14, v15
	s_cmp_lg_u32 s10, 2
	s_cbranch_scc1 .LBB110_21
; %bb.20:                               ;   in Loop: Header=BB110_12 Depth=1
	s_wait_loadcnt 0x0
	v_dual_lshlrev_b32 v14, 16, v17 :: v_dual_lshlrev_b32 v18, 16, v16
	s_delay_alu instid0(VALU_DEP_1) | instskip(NEXT) | instid1(VALU_DEP_2)
	v_cmp_u_f32_e32 vcc_lo, v14, v14
	v_cmp_lt_f32_e64 s0, v14, v18
	s_or_b32 vcc_lo, vcc_lo, s0
	v_cndmask_b32_e32 v18, v15, v17, vcc_lo
	s_delay_alu instid0(VALU_DEP_1)
	v_mov_b32_e32 v14, v18
.LBB110_21:                             ;   in Loop: Header=BB110_12 Depth=1
	s_mov_b32 s0, 0
.LBB110_22:                             ;   in Loop: Header=BB110_12 Depth=1
	s_delay_alu instid0(SALU_CYCLE_1)
	s_and_b32 vcc_lo, exec_lo, s0
	s_cbranch_vccz .LBB110_24
; %bb.23:                               ;   in Loop: Header=BB110_12 Depth=1
	s_wait_loadcnt 0x0
	v_dual_lshlrev_b32 v14, 16, v17 :: v_dual_lshlrev_b32 v18, 16, v16
	s_delay_alu instid0(VALU_DEP_1) | instskip(NEXT) | instid1(VALU_DEP_1)
	v_add_f32_e32 v14, v18, v14
	v_bfe_u32 v18, v14, 16, 1
	v_cmp_o_f32_e32 vcc_lo, v14, v14
	s_delay_alu instid0(VALU_DEP_2) | instskip(NEXT) | instid1(VALU_DEP_1)
	v_add3_u32 v18, v14, v18, 0x7fff
	v_lshrrev_b32_e32 v18, 16, v18
	s_delay_alu instid0(VALU_DEP_1) | instskip(NEXT) | instid1(VALU_DEP_1)
	v_cndmask_b32_e32 v18, 0x7fc0, v18, vcc_lo
	v_mov_b32_e32 v14, v18
.LBB110_24:                             ;   in Loop: Header=BB110_12 Depth=1
	s_cbranch_execnz .LBB110_11
	s_branch .LBB110_26
.LBB110_25:                             ;   in Loop: Header=BB110_12 Depth=1
                                        ; implicit-def: $vgpr18
                                        ; implicit-def: $vgpr14
.LBB110_26:                             ;   in Loop: Header=BB110_12 Depth=1
	s_wait_loadcnt 0x0
	v_dual_lshlrev_b32 v14, 16, v17 :: v_dual_lshlrev_b32 v16, 16, v16
	s_delay_alu instid0(VALU_DEP_1) | instskip(NEXT) | instid1(VALU_DEP_2)
	v_cmp_u_f32_e32 vcc_lo, v14, v14
	v_cmp_lt_f32_e64 s0, v16, v14
	s_or_b32 vcc_lo, vcc_lo, s0
	v_cndmask_b32_e32 v14, v15, v17, vcc_lo
	s_delay_alu instid0(VALU_DEP_1)
	v_mov_b32_e32 v18, v14
	s_branch .LBB110_11
.LBB110_27:
	s_or_b32 exec_lo, exec_lo, s6
.LBB110_28:
	s_delay_alu instid0(SALU_CYCLE_1) | instskip(SKIP_2) | instid1(VALU_DEP_1)
	s_or_b32 exec_lo, exec_lo, s1
	v_mul_u64_e32 v[8:9], s[30:31], v[8:9]
	s_mov_b32 s0, exec_lo
	v_lshl_add_u64 v[8:9], v[8:9], 2, s[8:9]
	s_delay_alu instid0(VALU_DEP_1)
	v_lshl_add_u64 v[8:9], v[4:5], 2, v[8:9]
	global_load_b32 v8, v[8:9], off
	s_wait_loadcnt 0x0
	v_cmpx_lt_i32_e32 -1, v8
	s_xor_b32 s0, exec_lo, s0
	s_cbranch_execz .LBB110_36
; %bb.29:
	v_cmp_ne_u32_e32 vcc_lo, 0, v8
	s_bitcmp1_b32 s11, 0
	v_mov_b32_e32 v9, 0x7fc0
	s_cselect_b32 s1, -1, 0
	s_delay_alu instid0(SALU_CYCLE_1) | instskip(SKIP_2) | instid1(SALU_CYCLE_1)
	s_or_b32 s1, s1, vcc_lo
	s_cmp_lg_u32 s10, 1
	s_cselect_b32 s2, -1, 0
	s_or_b32 s3, s2, s1
	s_delay_alu instid0(SALU_CYCLE_1)
	s_and_saveexec_b32 s1, s3
	s_cbranch_execz .LBB110_35
; %bb.30:
	v_cmp_ne_u32_e32 vcc_lo, 0, v8
	s_xor_b32 s2, s2, -1
	s_delay_alu instid0(SALU_CYCLE_1) | instskip(NEXT) | instid1(SALU_CYCLE_1)
	s_and_b32 s3, s2, vcc_lo
	s_and_saveexec_b32 s2, s3
	s_cbranch_execz .LBB110_34
; %bb.31:
	v_lshlrev_b32_e32 v9, 16, v14
	s_mov_b32 s3, exec_lo
	s_delay_alu instid0(VALU_DEP_1)
	v_cmpx_o_f32_e32 v9, v9
	s_cbranch_execz .LBB110_33
; %bb.32:
	v_cvt_f32_u32_e32 v8, v8
	s_delay_alu instid0(VALU_DEP_1) | instskip(NEXT) | instid1(VALU_DEP_1)
	v_bfe_u32 v10, v8, 16, 1
	v_add3_u32 v8, v8, v10, 0x7fff
	s_delay_alu instid0(VALU_DEP_1) | instskip(NEXT) | instid1(VALU_DEP_1)
	v_and_b32_e32 v8, 0xffff0000, v8
	v_div_scale_f32 v10, null, v8, v8, v9
	s_delay_alu instid0(VALU_DEP_1) | instskip(SKIP_1) | instid1(TRANS32_DEP_1)
	v_rcp_f32_e32 v11, v10
	v_nop
	v_fma_f32 v12, -v10, v11, 1.0
	s_delay_alu instid0(VALU_DEP_1) | instskip(SKIP_1) | instid1(VALU_DEP_1)
	v_fmac_f32_e32 v11, v12, v11
	v_div_scale_f32 v12, vcc_lo, v9, v8, v9
	v_mul_f32_e32 v13, v12, v11
	s_delay_alu instid0(VALU_DEP_1) | instskip(NEXT) | instid1(VALU_DEP_1)
	v_fma_f32 v14, -v10, v13, v12
	v_fmac_f32_e32 v13, v14, v11
	s_delay_alu instid0(VALU_DEP_1) | instskip(NEXT) | instid1(VALU_DEP_1)
	v_fma_f32 v10, -v10, v13, v12
	v_div_fmas_f32 v10, v10, v11, v13
	s_delay_alu instid0(VALU_DEP_1) | instskip(NEXT) | instid1(VALU_DEP_1)
	v_div_fixup_f32 v8, v10, v8, v9
	v_bfe_u32 v9, v8, 16, 1
	v_cmp_o_f32_e32 vcc_lo, v8, v8
	s_delay_alu instid0(VALU_DEP_2) | instskip(NEXT) | instid1(VALU_DEP_1)
	v_add3_u32 v9, v8, v9, 0x7fff
	v_lshrrev_b32_e32 v9, 16, v9
	s_delay_alu instid0(VALU_DEP_1)
	v_cndmask_b32_e32 v14, 0x7fc0, v9, vcc_lo
.LBB110_33:
	s_or_b32 exec_lo, exec_lo, s3
.LBB110_34:
	s_delay_alu instid0(SALU_CYCLE_1) | instskip(NEXT) | instid1(VALU_DEP_1)
	s_or_b32 exec_lo, exec_lo, s2
	v_mov_b32_e32 v9, v14
.LBB110_35:
	s_or_b32 exec_lo, exec_lo, s1
	s_mul_u64 s[2:3], s[14:15], s[12:13]
	v_mul_u64_e32 v[4:5], s[12:13], v[4:5]
	v_mul_u64_e32 v[2:3], s[2:3], v[2:3]
	v_sub_nc_u64_e32 v[0:1], v[0:1], v[6:7]
	s_delay_alu instid0(VALU_DEP_2) | instskip(NEXT) | instid1(VALU_DEP_1)
	v_lshl_add_u64 v[2:3], v[2:3], 1, s[4:5]
	v_lshl_add_u64 v[2:3], v[4:5], 1, v[2:3]
	s_delay_alu instid0(VALU_DEP_1)
	v_lshl_add_u64 v[0:1], v[0:1], 1, v[2:3]
	global_store_b16 v[0:1], v9, off
.LBB110_36:
	s_wait_xcnt 0x0
	s_and_not1_saveexec_b32 s0, s0
	s_cbranch_execnz .LBB110_38
.LBB110_37:
	s_endpgm
.LBB110_38:
	s_trap 2
	; divergent unreachable
	s_endpgm
	.section	.rodata,"a",@progbits
	.p2align	6, 0x0
	.amdhsa_kernel _ZN2at6native12_GLOBAL__N_129segment_reduce_forward_kernelIN3c108BFloat16EiEEvNS0_13ReductionTypeEPT_PKS6_PKT0_SC_llbS6_lllllll
		.amdhsa_group_segment_fixed_size 0
		.amdhsa_private_segment_fixed_size 0
		.amdhsa_kernarg_size 376
		.amdhsa_user_sgpr_count 2
		.amdhsa_user_sgpr_dispatch_ptr 0
		.amdhsa_user_sgpr_queue_ptr 0
		.amdhsa_user_sgpr_kernarg_segment_ptr 1
		.amdhsa_user_sgpr_dispatch_id 0
		.amdhsa_user_sgpr_kernarg_preload_length 0
		.amdhsa_user_sgpr_kernarg_preload_offset 0
		.amdhsa_user_sgpr_private_segment_size 0
		.amdhsa_wavefront_size32 1
		.amdhsa_uses_dynamic_stack 0
		.amdhsa_enable_private_segment 0
		.amdhsa_system_sgpr_workgroup_id_x 1
		.amdhsa_system_sgpr_workgroup_id_y 0
		.amdhsa_system_sgpr_workgroup_id_z 0
		.amdhsa_system_sgpr_workgroup_info 0
		.amdhsa_system_vgpr_workitem_id 0
		.amdhsa_next_free_vgpr 20
		.amdhsa_next_free_sgpr 44
		.amdhsa_named_barrier_count 0
		.amdhsa_reserve_vcc 1
		.amdhsa_float_round_mode_32 0
		.amdhsa_float_round_mode_16_64 0
		.amdhsa_float_denorm_mode_32 3
		.amdhsa_float_denorm_mode_16_64 3
		.amdhsa_fp16_overflow 0
		.amdhsa_memory_ordered 1
		.amdhsa_forward_progress 1
		.amdhsa_inst_pref_size 22
		.amdhsa_round_robin_scheduling 0
		.amdhsa_exception_fp_ieee_invalid_op 0
		.amdhsa_exception_fp_denorm_src 0
		.amdhsa_exception_fp_ieee_div_zero 0
		.amdhsa_exception_fp_ieee_overflow 0
		.amdhsa_exception_fp_ieee_underflow 0
		.amdhsa_exception_fp_ieee_inexact 0
		.amdhsa_exception_int_div_zero 0
	.end_amdhsa_kernel
	.section	.text._ZN2at6native12_GLOBAL__N_129segment_reduce_forward_kernelIN3c108BFloat16EiEEvNS0_13ReductionTypeEPT_PKS6_PKT0_SC_llbS6_lllllll,"axG",@progbits,_ZN2at6native12_GLOBAL__N_129segment_reduce_forward_kernelIN3c108BFloat16EiEEvNS0_13ReductionTypeEPT_PKS6_PKT0_SC_llbS6_lllllll,comdat
.Lfunc_end110:
	.size	_ZN2at6native12_GLOBAL__N_129segment_reduce_forward_kernelIN3c108BFloat16EiEEvNS0_13ReductionTypeEPT_PKS6_PKT0_SC_llbS6_lllllll, .Lfunc_end110-_ZN2at6native12_GLOBAL__N_129segment_reduce_forward_kernelIN3c108BFloat16EiEEvNS0_13ReductionTypeEPT_PKS6_PKT0_SC_llbS6_lllllll
                                        ; -- End function
	.set _ZN2at6native12_GLOBAL__N_129segment_reduce_forward_kernelIN3c108BFloat16EiEEvNS0_13ReductionTypeEPT_PKS6_PKT0_SC_llbS6_lllllll.num_vgpr, 20
	.set _ZN2at6native12_GLOBAL__N_129segment_reduce_forward_kernelIN3c108BFloat16EiEEvNS0_13ReductionTypeEPT_PKS6_PKT0_SC_llbS6_lllllll.num_agpr, 0
	.set _ZN2at6native12_GLOBAL__N_129segment_reduce_forward_kernelIN3c108BFloat16EiEEvNS0_13ReductionTypeEPT_PKS6_PKT0_SC_llbS6_lllllll.numbered_sgpr, 44
	.set _ZN2at6native12_GLOBAL__N_129segment_reduce_forward_kernelIN3c108BFloat16EiEEvNS0_13ReductionTypeEPT_PKS6_PKT0_SC_llbS6_lllllll.num_named_barrier, 0
	.set _ZN2at6native12_GLOBAL__N_129segment_reduce_forward_kernelIN3c108BFloat16EiEEvNS0_13ReductionTypeEPT_PKS6_PKT0_SC_llbS6_lllllll.private_seg_size, 0
	.set _ZN2at6native12_GLOBAL__N_129segment_reduce_forward_kernelIN3c108BFloat16EiEEvNS0_13ReductionTypeEPT_PKS6_PKT0_SC_llbS6_lllllll.uses_vcc, 1
	.set _ZN2at6native12_GLOBAL__N_129segment_reduce_forward_kernelIN3c108BFloat16EiEEvNS0_13ReductionTypeEPT_PKS6_PKT0_SC_llbS6_lllllll.uses_flat_scratch, 0
	.set _ZN2at6native12_GLOBAL__N_129segment_reduce_forward_kernelIN3c108BFloat16EiEEvNS0_13ReductionTypeEPT_PKS6_PKT0_SC_llbS6_lllllll.has_dyn_sized_stack, 0
	.set _ZN2at6native12_GLOBAL__N_129segment_reduce_forward_kernelIN3c108BFloat16EiEEvNS0_13ReductionTypeEPT_PKS6_PKT0_SC_llbS6_lllllll.has_recursion, 0
	.set _ZN2at6native12_GLOBAL__N_129segment_reduce_forward_kernelIN3c108BFloat16EiEEvNS0_13ReductionTypeEPT_PKS6_PKT0_SC_llbS6_lllllll.has_indirect_call, 0
	.section	.AMDGPU.csdata,"",@progbits
; Kernel info:
; codeLenInByte = 2760
; TotalNumSgprs: 46
; NumVgprs: 20
; ScratchSize: 0
; MemoryBound: 0
; FloatMode: 240
; IeeeMode: 1
; LDSByteSize: 0 bytes/workgroup (compile time only)
; SGPRBlocks: 0
; VGPRBlocks: 1
; NumSGPRsForWavesPerEU: 46
; NumVGPRsForWavesPerEU: 20
; NamedBarCnt: 0
; Occupancy: 16
; WaveLimiterHint : 0
; COMPUTE_PGM_RSRC2:SCRATCH_EN: 0
; COMPUTE_PGM_RSRC2:USER_SGPR: 2
; COMPUTE_PGM_RSRC2:TRAP_HANDLER: 0
; COMPUTE_PGM_RSRC2:TGID_X_EN: 1
; COMPUTE_PGM_RSRC2:TGID_Y_EN: 0
; COMPUTE_PGM_RSRC2:TGID_Z_EN: 0
; COMPUTE_PGM_RSRC2:TIDIG_COMP_CNT: 0
	.section	.text._ZN7rocprim17ROCPRIM_400000_NS6detail17trampoline_kernelINS0_14default_configENS1_32segmented_reduce_config_selectorIN3c108BFloat16EEEZNS1_21segmented_reduce_implIS3_PKS6_PS6_PKiS6_N6hipcub16HIPCUB_304000_NS6detail27convert_result_type_wrapperISA_SB_N2at6native12_GLOBAL__N_19CustomMaxEEEEE10hipError_tPvRmT0_T1_jT2_SS_T4_T3_P12ihipStream_tbEUlT_E_NS1_11comp_targetILNS1_3genE0ELNS1_11target_archE4294967295ELNS1_3gpuE0ELNS1_3repE0EEENS1_30default_config_static_selectorELNS0_4arch9wavefront6targetE0EEEvSR_,"axG",@progbits,_ZN7rocprim17ROCPRIM_400000_NS6detail17trampoline_kernelINS0_14default_configENS1_32segmented_reduce_config_selectorIN3c108BFloat16EEEZNS1_21segmented_reduce_implIS3_PKS6_PS6_PKiS6_N6hipcub16HIPCUB_304000_NS6detail27convert_result_type_wrapperISA_SB_N2at6native12_GLOBAL__N_19CustomMaxEEEEE10hipError_tPvRmT0_T1_jT2_SS_T4_T3_P12ihipStream_tbEUlT_E_NS1_11comp_targetILNS1_3genE0ELNS1_11target_archE4294967295ELNS1_3gpuE0ELNS1_3repE0EEENS1_30default_config_static_selectorELNS0_4arch9wavefront6targetE0EEEvSR_,comdat
	.globl	_ZN7rocprim17ROCPRIM_400000_NS6detail17trampoline_kernelINS0_14default_configENS1_32segmented_reduce_config_selectorIN3c108BFloat16EEEZNS1_21segmented_reduce_implIS3_PKS6_PS6_PKiS6_N6hipcub16HIPCUB_304000_NS6detail27convert_result_type_wrapperISA_SB_N2at6native12_GLOBAL__N_19CustomMaxEEEEE10hipError_tPvRmT0_T1_jT2_SS_T4_T3_P12ihipStream_tbEUlT_E_NS1_11comp_targetILNS1_3genE0ELNS1_11target_archE4294967295ELNS1_3gpuE0ELNS1_3repE0EEENS1_30default_config_static_selectorELNS0_4arch9wavefront6targetE0EEEvSR_ ; -- Begin function _ZN7rocprim17ROCPRIM_400000_NS6detail17trampoline_kernelINS0_14default_configENS1_32segmented_reduce_config_selectorIN3c108BFloat16EEEZNS1_21segmented_reduce_implIS3_PKS6_PS6_PKiS6_N6hipcub16HIPCUB_304000_NS6detail27convert_result_type_wrapperISA_SB_N2at6native12_GLOBAL__N_19CustomMaxEEEEE10hipError_tPvRmT0_T1_jT2_SS_T4_T3_P12ihipStream_tbEUlT_E_NS1_11comp_targetILNS1_3genE0ELNS1_11target_archE4294967295ELNS1_3gpuE0ELNS1_3repE0EEENS1_30default_config_static_selectorELNS0_4arch9wavefront6targetE0EEEvSR_
	.p2align	8
	.type	_ZN7rocprim17ROCPRIM_400000_NS6detail17trampoline_kernelINS0_14default_configENS1_32segmented_reduce_config_selectorIN3c108BFloat16EEEZNS1_21segmented_reduce_implIS3_PKS6_PS6_PKiS6_N6hipcub16HIPCUB_304000_NS6detail27convert_result_type_wrapperISA_SB_N2at6native12_GLOBAL__N_19CustomMaxEEEEE10hipError_tPvRmT0_T1_jT2_SS_T4_T3_P12ihipStream_tbEUlT_E_NS1_11comp_targetILNS1_3genE0ELNS1_11target_archE4294967295ELNS1_3gpuE0ELNS1_3repE0EEENS1_30default_config_static_selectorELNS0_4arch9wavefront6targetE0EEEvSR_,@function
_ZN7rocprim17ROCPRIM_400000_NS6detail17trampoline_kernelINS0_14default_configENS1_32segmented_reduce_config_selectorIN3c108BFloat16EEEZNS1_21segmented_reduce_implIS3_PKS6_PS6_PKiS6_N6hipcub16HIPCUB_304000_NS6detail27convert_result_type_wrapperISA_SB_N2at6native12_GLOBAL__N_19CustomMaxEEEEE10hipError_tPvRmT0_T1_jT2_SS_T4_T3_P12ihipStream_tbEUlT_E_NS1_11comp_targetILNS1_3genE0ELNS1_11target_archE4294967295ELNS1_3gpuE0ELNS1_3repE0EEENS1_30default_config_static_selectorELNS0_4arch9wavefront6targetE0EEEvSR_: ; @_ZN7rocprim17ROCPRIM_400000_NS6detail17trampoline_kernelINS0_14default_configENS1_32segmented_reduce_config_selectorIN3c108BFloat16EEEZNS1_21segmented_reduce_implIS3_PKS6_PS6_PKiS6_N6hipcub16HIPCUB_304000_NS6detail27convert_result_type_wrapperISA_SB_N2at6native12_GLOBAL__N_19CustomMaxEEEEE10hipError_tPvRmT0_T1_jT2_SS_T4_T3_P12ihipStream_tbEUlT_E_NS1_11comp_targetILNS1_3genE0ELNS1_11target_archE4294967295ELNS1_3gpuE0ELNS1_3repE0EEENS1_30default_config_static_selectorELNS0_4arch9wavefront6targetE0EEEvSR_
; %bb.0:
	v_mov_b32_e32 v1, 0
	s_clause 0x1
	s_load_b256 s[16:23], s[0:1], 0x0
	s_load_b64 s[2:3], s[0:1], 0x20
	s_bfe_u32 s4, ttmp6, 0x4000c
	s_and_b32 s5, ttmp6, 15
	s_add_co_i32 s4, s4, 1
	global_load_u16 v1, v1, s[0:1] offset:42
	s_mul_i32 s4, ttmp9, s4
	s_getreg_b32 s6, hwreg(HW_REG_IB_STS2, 6, 4)
	s_add_co_i32 s7, s5, s4
	s_mov_b32 s15, 0
	v_cmp_eq_u32_e32 vcc_lo, 0, v0
	s_wait_kmcnt 0x0
	s_lshl_b64 s[0:1], s[20:21], 2
	s_cmp_eq_u32 s6, 0
	s_add_nc_u64 s[4:5], s[22:23], s[0:1]
	s_cselect_b32 s22, ttmp9, s7
	s_add_nc_u64 s[0:1], s[2:3], s[0:1]
	s_load_b32 s24, s[4:5], s22 offset:0x0 scale_offset
	s_load_b32 s28, s[0:1], s22 offset:0x0 scale_offset
	s_mov_b32 s23, 0
	s_wait_xcnt 0x0
	s_mov_b32 s0, -1
	s_wait_kmcnt 0x0
	s_cmp_gt_i32 s28, s24
	s_cbranch_scc0 .LBB111_4
; %bb.1:
	s_and_not1_b32 vcc_lo, exec_lo, s0
	s_cbranch_vccz .LBB111_5
.LBB111_2:
	s_and_saveexec_b32 s0, s15
	s_cbranch_execnz .LBB111_408
.LBB111_3:
	s_endpgm
.LBB111_4:
	s_and_b32 s15, vcc_lo, exec_lo
	s_cbranch_execnz .LBB111_2
.LBB111_5:
	s_add_co_i32 s0, s24, 0x1000
	s_delay_alu instid0(SALU_CYCLE_1)
	s_cmp_le_i32 s0, s28
	s_cbranch_scc0 .LBB111_133
; %bb.6:
	s_ashr_i32 s25, s24, 31
	s_mov_b32 s1, exec_lo
	s_lshl_b64 s[2:3], s[24:25], 1
	s_delay_alu instid0(SALU_CYCLE_1)
	s_add_nc_u64 s[2:3], s[16:17], s[2:3]
	s_clause 0xf
	global_load_u16 v20, v0, s[2:3] scale_offset
	global_load_u16 v19, v0, s[2:3] offset:512 scale_offset
	global_load_u16 v18, v0, s[2:3] offset:1024 scale_offset
	;; [unrolled: 1-line block ×15, first 2 shown]
	s_wait_loadcnt 0xf
	v_dual_lshlrev_b32 v2, 16, v20 :: v_dual_mov_b32 v12, v20
	s_wait_xcnt 0x0
	s_delay_alu instid0(VALU_DEP_1)
	v_cmpx_o_f32_e32 v2, v2
	s_cbranch_execz .LBB111_10
; %bb.7:
	s_wait_loadcnt 0xe
	v_dual_mov_b32 v12, v19 :: v_dual_lshlrev_b32 v3, 16, v19
	s_mov_b32 s2, exec_lo
	s_delay_alu instid0(VALU_DEP_1)
	v_cmpx_o_f32_e32 v3, v3
; %bb.8:
	v_cmp_lt_f32_e32 vcc_lo, v2, v3
	v_cndmask_b32_e32 v12, v20, v19, vcc_lo
	s_delay_alu instid0(VALU_DEP_1)
	v_lshlrev_b32_e32 v3, 16, v12
; %bb.9:
	s_or_b32 exec_lo, exec_lo, s2
	s_delay_alu instid0(VALU_DEP_1)
	v_mov_b32_e32 v2, v3
.LBB111_10:
	s_or_b32 exec_lo, exec_lo, s1
	s_delay_alu instid0(SALU_CYCLE_1) | instskip(NEXT) | instid1(VALU_DEP_1)
	s_mov_b32 s1, exec_lo
	v_cmpx_o_f32_e32 v2, v2
	s_cbranch_execz .LBB111_14
; %bb.11:
	s_wait_loadcnt 0xd
	v_dual_lshlrev_b32 v3, 16, v18 :: v_dual_mov_b32 v21, v18
	s_mov_b32 s2, exec_lo
	s_delay_alu instid0(VALU_DEP_1)
	v_cmpx_o_f32_e32 v3, v3
; %bb.12:
	v_cmp_lt_f32_e32 vcc_lo, v2, v3
	v_cndmask_b32_e32 v21, v12, v18, vcc_lo
	s_delay_alu instid0(VALU_DEP_1)
	v_lshlrev_b32_e32 v3, 16, v21
; %bb.13:
	s_or_b32 exec_lo, exec_lo, s2
	s_delay_alu instid0(VALU_DEP_1)
	v_dual_mov_b32 v2, v3 :: v_dual_mov_b32 v12, v21
.LBB111_14:
	s_or_b32 exec_lo, exec_lo, s1
	s_delay_alu instid0(SALU_CYCLE_1) | instskip(NEXT) | instid1(VALU_DEP_1)
	s_mov_b32 s1, exec_lo
	v_cmpx_o_f32_e32 v2, v2
	s_cbranch_execz .LBB111_18
; %bb.15:
	s_wait_loadcnt 0xc
	v_dual_lshlrev_b32 v3, 16, v17 :: v_dual_mov_b32 v21, v17
	s_mov_b32 s2, exec_lo
	s_delay_alu instid0(VALU_DEP_1)
	v_cmpx_o_f32_e32 v3, v3
; %bb.16:
	v_cmp_lt_f32_e32 vcc_lo, v2, v3
	v_cndmask_b32_e32 v21, v12, v17, vcc_lo
	s_delay_alu instid0(VALU_DEP_1)
	v_lshlrev_b32_e32 v3, 16, v21
; %bb.17:
	s_or_b32 exec_lo, exec_lo, s2
	s_delay_alu instid0(VALU_DEP_1)
	v_dual_mov_b32 v2, v3 :: v_dual_mov_b32 v12, v21
.LBB111_18:
	s_or_b32 exec_lo, exec_lo, s1
	s_delay_alu instid0(SALU_CYCLE_1) | instskip(NEXT) | instid1(VALU_DEP_1)
	s_mov_b32 s1, exec_lo
	v_cmpx_o_f32_e32 v2, v2
	s_cbranch_execz .LBB111_22
; %bb.19:
	s_wait_loadcnt 0xb
	v_dual_lshlrev_b32 v3, 16, v16 :: v_dual_mov_b32 v21, v16
	s_mov_b32 s2, exec_lo
	s_delay_alu instid0(VALU_DEP_1)
	v_cmpx_o_f32_e32 v3, v3
; %bb.20:
	v_cmp_lt_f32_e32 vcc_lo, v2, v3
	v_cndmask_b32_e32 v21, v12, v16, vcc_lo
	s_delay_alu instid0(VALU_DEP_1)
	v_lshlrev_b32_e32 v3, 16, v21
; %bb.21:
	s_or_b32 exec_lo, exec_lo, s2
	s_delay_alu instid0(VALU_DEP_1)
	v_dual_mov_b32 v2, v3 :: v_dual_mov_b32 v12, v21
.LBB111_22:
	s_or_b32 exec_lo, exec_lo, s1
	s_delay_alu instid0(SALU_CYCLE_1) | instskip(NEXT) | instid1(VALU_DEP_1)
	s_mov_b32 s1, exec_lo
	v_cmpx_o_f32_e32 v2, v2
	s_cbranch_execz .LBB111_26
; %bb.23:
	s_wait_loadcnt 0xa
	v_dual_lshlrev_b32 v3, 16, v15 :: v_dual_mov_b32 v21, v15
	s_mov_b32 s2, exec_lo
	s_delay_alu instid0(VALU_DEP_1)
	v_cmpx_o_f32_e32 v3, v3
; %bb.24:
	v_cmp_lt_f32_e32 vcc_lo, v2, v3
	v_cndmask_b32_e32 v21, v12, v15, vcc_lo
	s_delay_alu instid0(VALU_DEP_1)
	v_lshlrev_b32_e32 v3, 16, v21
; %bb.25:
	s_or_b32 exec_lo, exec_lo, s2
	s_delay_alu instid0(VALU_DEP_1)
	v_dual_mov_b32 v2, v3 :: v_dual_mov_b32 v12, v21
.LBB111_26:
	s_or_b32 exec_lo, exec_lo, s1
	s_delay_alu instid0(SALU_CYCLE_1) | instskip(NEXT) | instid1(VALU_DEP_1)
	s_mov_b32 s1, exec_lo
	v_cmpx_o_f32_e32 v2, v2
	s_cbranch_execz .LBB111_30
; %bb.27:
	s_wait_loadcnt 0x9
	v_dual_lshlrev_b32 v3, 16, v14 :: v_dual_mov_b32 v21, v14
	s_mov_b32 s2, exec_lo
	s_delay_alu instid0(VALU_DEP_1)
	v_cmpx_o_f32_e32 v3, v3
; %bb.28:
	v_cmp_lt_f32_e32 vcc_lo, v2, v3
	v_cndmask_b32_e32 v21, v12, v14, vcc_lo
	s_delay_alu instid0(VALU_DEP_1)
	v_lshlrev_b32_e32 v3, 16, v21
; %bb.29:
	s_or_b32 exec_lo, exec_lo, s2
	s_delay_alu instid0(VALU_DEP_1)
	v_dual_mov_b32 v2, v3 :: v_dual_mov_b32 v12, v21
.LBB111_30:
	s_or_b32 exec_lo, exec_lo, s1
	s_delay_alu instid0(SALU_CYCLE_1) | instskip(NEXT) | instid1(VALU_DEP_1)
	s_mov_b32 s1, exec_lo
	v_cmpx_o_f32_e32 v2, v2
	s_cbranch_execz .LBB111_34
; %bb.31:
	s_wait_loadcnt 0x8
	v_dual_lshlrev_b32 v3, 16, v13 :: v_dual_mov_b32 v21, v13
	s_mov_b32 s2, exec_lo
	s_delay_alu instid0(VALU_DEP_1)
	v_cmpx_o_f32_e32 v3, v3
; %bb.32:
	v_cmp_lt_f32_e32 vcc_lo, v2, v3
	v_cndmask_b32_e32 v21, v12, v13, vcc_lo
	s_delay_alu instid0(VALU_DEP_1)
	v_lshlrev_b32_e32 v3, 16, v21
; %bb.33:
	s_or_b32 exec_lo, exec_lo, s2
	s_delay_alu instid0(VALU_DEP_1)
	v_dual_mov_b32 v2, v3 :: v_dual_mov_b32 v12, v21
.LBB111_34:
	s_or_b32 exec_lo, exec_lo, s1
	s_delay_alu instid0(SALU_CYCLE_1) | instskip(NEXT) | instid1(VALU_DEP_1)
	s_mov_b32 s1, exec_lo
	v_cmpx_o_f32_e32 v2, v2
	s_cbranch_execz .LBB111_38
; %bb.35:
	s_wait_loadcnt 0x7
	v_dual_lshlrev_b32 v3, 16, v11 :: v_dual_mov_b32 v21, v11
	s_mov_b32 s2, exec_lo
	s_delay_alu instid0(VALU_DEP_1)
	v_cmpx_o_f32_e32 v3, v3
; %bb.36:
	v_cmp_lt_f32_e32 vcc_lo, v2, v3
	v_cndmask_b32_e32 v21, v12, v11, vcc_lo
	s_delay_alu instid0(VALU_DEP_1)
	v_lshlrev_b32_e32 v3, 16, v21
; %bb.37:
	s_or_b32 exec_lo, exec_lo, s2
	s_delay_alu instid0(VALU_DEP_1)
	v_dual_mov_b32 v2, v3 :: v_dual_mov_b32 v12, v21
.LBB111_38:
	s_or_b32 exec_lo, exec_lo, s1
	s_delay_alu instid0(SALU_CYCLE_1) | instskip(NEXT) | instid1(VALU_DEP_1)
	s_mov_b32 s1, exec_lo
	v_cmpx_o_f32_e32 v2, v2
	s_cbranch_execz .LBB111_42
; %bb.39:
	s_wait_loadcnt 0x6
	v_dual_lshlrev_b32 v3, 16, v10 :: v_dual_mov_b32 v21, v10
	s_mov_b32 s2, exec_lo
	s_delay_alu instid0(VALU_DEP_1)
	v_cmpx_o_f32_e32 v3, v3
; %bb.40:
	v_cmp_lt_f32_e32 vcc_lo, v2, v3
	v_cndmask_b32_e32 v21, v12, v10, vcc_lo
	s_delay_alu instid0(VALU_DEP_1)
	v_lshlrev_b32_e32 v3, 16, v21
; %bb.41:
	s_or_b32 exec_lo, exec_lo, s2
	s_delay_alu instid0(VALU_DEP_1)
	v_dual_mov_b32 v2, v3 :: v_dual_mov_b32 v12, v21
.LBB111_42:
	s_or_b32 exec_lo, exec_lo, s1
	s_delay_alu instid0(SALU_CYCLE_1) | instskip(NEXT) | instid1(VALU_DEP_1)
	s_mov_b32 s1, exec_lo
	v_cmpx_o_f32_e32 v2, v2
	s_cbranch_execz .LBB111_46
; %bb.43:
	s_wait_loadcnt 0x5
	v_dual_lshlrev_b32 v3, 16, v9 :: v_dual_mov_b32 v21, v9
	s_mov_b32 s2, exec_lo
	s_delay_alu instid0(VALU_DEP_1)
	v_cmpx_o_f32_e32 v3, v3
; %bb.44:
	v_cmp_lt_f32_e32 vcc_lo, v2, v3
	v_cndmask_b32_e32 v21, v12, v9, vcc_lo
	s_delay_alu instid0(VALU_DEP_1)
	v_lshlrev_b32_e32 v3, 16, v21
; %bb.45:
	s_or_b32 exec_lo, exec_lo, s2
	s_delay_alu instid0(VALU_DEP_1)
	v_dual_mov_b32 v2, v3 :: v_dual_mov_b32 v12, v21
.LBB111_46:
	s_or_b32 exec_lo, exec_lo, s1
	s_delay_alu instid0(SALU_CYCLE_1) | instskip(NEXT) | instid1(VALU_DEP_1)
	s_mov_b32 s1, exec_lo
	v_cmpx_o_f32_e32 v2, v2
	s_cbranch_execz .LBB111_50
; %bb.47:
	s_wait_loadcnt 0x4
	v_dual_lshlrev_b32 v3, 16, v8 :: v_dual_mov_b32 v21, v8
	s_mov_b32 s2, exec_lo
	s_delay_alu instid0(VALU_DEP_1)
	v_cmpx_o_f32_e32 v3, v3
; %bb.48:
	v_cmp_lt_f32_e32 vcc_lo, v2, v3
	v_cndmask_b32_e32 v21, v12, v8, vcc_lo
	s_delay_alu instid0(VALU_DEP_1)
	v_lshlrev_b32_e32 v3, 16, v21
; %bb.49:
	s_or_b32 exec_lo, exec_lo, s2
	s_delay_alu instid0(VALU_DEP_1)
	v_dual_mov_b32 v2, v3 :: v_dual_mov_b32 v12, v21
.LBB111_50:
	s_or_b32 exec_lo, exec_lo, s1
	s_delay_alu instid0(SALU_CYCLE_1) | instskip(NEXT) | instid1(VALU_DEP_1)
	s_mov_b32 s1, exec_lo
	v_cmpx_o_f32_e32 v2, v2
	s_cbranch_execz .LBB111_54
; %bb.51:
	s_wait_loadcnt 0x3
	v_dual_lshlrev_b32 v3, 16, v7 :: v_dual_mov_b32 v21, v7
	s_mov_b32 s2, exec_lo
	s_delay_alu instid0(VALU_DEP_1)
	v_cmpx_o_f32_e32 v3, v3
; %bb.52:
	v_cmp_lt_f32_e32 vcc_lo, v2, v3
	v_cndmask_b32_e32 v21, v12, v7, vcc_lo
	s_delay_alu instid0(VALU_DEP_1)
	v_lshlrev_b32_e32 v3, 16, v21
; %bb.53:
	s_or_b32 exec_lo, exec_lo, s2
	s_delay_alu instid0(VALU_DEP_1)
	v_dual_mov_b32 v2, v3 :: v_dual_mov_b32 v12, v21
.LBB111_54:
	s_or_b32 exec_lo, exec_lo, s1
	s_delay_alu instid0(SALU_CYCLE_1) | instskip(NEXT) | instid1(VALU_DEP_1)
	s_mov_b32 s1, exec_lo
	v_cmpx_o_f32_e32 v2, v2
	s_cbranch_execz .LBB111_58
; %bb.55:
	s_wait_loadcnt 0x2
	v_dual_lshlrev_b32 v3, 16, v6 :: v_dual_mov_b32 v21, v6
	s_mov_b32 s2, exec_lo
	s_delay_alu instid0(VALU_DEP_1)
	v_cmpx_o_f32_e32 v3, v3
; %bb.56:
	v_cmp_lt_f32_e32 vcc_lo, v2, v3
	v_cndmask_b32_e32 v21, v12, v6, vcc_lo
	s_delay_alu instid0(VALU_DEP_1)
	v_lshlrev_b32_e32 v3, 16, v21
; %bb.57:
	s_or_b32 exec_lo, exec_lo, s2
	s_delay_alu instid0(VALU_DEP_1)
	v_dual_mov_b32 v2, v3 :: v_dual_mov_b32 v12, v21
.LBB111_58:
	s_or_b32 exec_lo, exec_lo, s1
	s_delay_alu instid0(SALU_CYCLE_1) | instskip(NEXT) | instid1(VALU_DEP_1)
	s_mov_b32 s1, exec_lo
	v_cmpx_o_f32_e32 v2, v2
	s_cbranch_execz .LBB111_62
; %bb.59:
	s_wait_loadcnt 0x1
	v_dual_lshlrev_b32 v3, 16, v5 :: v_dual_mov_b32 v21, v5
	s_mov_b32 s2, exec_lo
	s_delay_alu instid0(VALU_DEP_1)
	v_cmpx_o_f32_e32 v3, v3
; %bb.60:
	v_cmp_lt_f32_e32 vcc_lo, v2, v3
	v_cndmask_b32_e32 v21, v12, v5, vcc_lo
	s_delay_alu instid0(VALU_DEP_1)
	v_lshlrev_b32_e32 v3, 16, v21
; %bb.61:
	s_or_b32 exec_lo, exec_lo, s2
	s_delay_alu instid0(VALU_DEP_1)
	v_dual_mov_b32 v2, v3 :: v_dual_mov_b32 v12, v21
.LBB111_62:
	s_or_b32 exec_lo, exec_lo, s1
	s_delay_alu instid0(SALU_CYCLE_1) | instskip(NEXT) | instid1(VALU_DEP_1)
	s_mov_b32 s1, exec_lo
	v_cmpx_o_f32_e32 v2, v2
	s_cbranch_execz .LBB111_66
; %bb.63:
	s_wait_loadcnt 0x0
	v_dual_lshlrev_b32 v21, 16, v4 :: v_dual_mov_b32 v3, v4
	s_mov_b32 s2, exec_lo
	s_delay_alu instid0(VALU_DEP_1)
	v_cmpx_o_f32_e32 v21, v21
; %bb.64:
	v_cmp_lt_f32_e32 vcc_lo, v2, v21
	v_cndmask_b32_e32 v3, v12, v4, vcc_lo
; %bb.65:
	s_or_b32 exec_lo, exec_lo, s2
	s_delay_alu instid0(VALU_DEP_1)
	v_mov_b32_e32 v12, v3
.LBB111_66:
	s_or_b32 exec_lo, exec_lo, s1
	s_add_co_i32 s1, s24, 0x2000
	s_delay_alu instid0(SALU_CYCLE_1)
	s_cmp_ge_i32 s1, s28
	s_cbranch_scc1 .LBB111_134
; %bb.67:
	v_dual_mov_b32 v3, 0 :: v_dual_lshlrev_b32 v2, 1, v0
	s_delay_alu instid0(VALU_DEP_1)
	v_add_nc_u64_e32 v[2:3], s[16:17], v[2:3]
	s_branch .LBB111_70
.LBB111_68:                             ;   in Loop: Header=BB111_70 Depth=1
	s_or_b32 exec_lo, exec_lo, s2
	s_delay_alu instid0(VALU_DEP_1)
	v_mov_b32_e32 v12, v22
.LBB111_69:                             ;   in Loop: Header=BB111_70 Depth=1
	s_or_b32 exec_lo, exec_lo, s1
	s_add_co_i32 s1, s0, 0x2000
	s_addk_co_i32 s0, 0x1000
	s_cmp_lt_i32 s1, s28
	s_cbranch_scc0 .LBB111_134
.LBB111_70:                             ; =>This Inner Loop Header: Depth=1
	s_ashr_i32 s1, s0, 31
	v_lshlrev_b32_e32 v21, 16, v12
	s_delay_alu instid0(VALU_DEP_2)
	v_lshl_add_u64 v[22:23], s[0:1], 1, v[2:3]
	s_mov_b32 s1, exec_lo
	s_wait_loadcnt 0xf
	global_load_u16 v20, v[22:23], off
	s_wait_loadcnt 0xf
	global_load_u16 v19, v[22:23], off offset:512
	s_wait_loadcnt 0xf
	global_load_u16 v18, v[22:23], off offset:1024
	;; [unrolled: 2-line block ×15, first 2 shown]
	s_wait_xcnt 0x0
	v_cmpx_o_f32_e32 v21, v21
	s_cbranch_execz .LBB111_74
; %bb.71:                               ;   in Loop: Header=BB111_70 Depth=1
	s_wait_loadcnt 0xf
	v_dual_mov_b32 v23, v20 :: v_dual_lshlrev_b32 v22, 16, v20
	s_mov_b32 s2, exec_lo
	s_delay_alu instid0(VALU_DEP_1)
	v_cmpx_o_f32_e32 v22, v22
; %bb.72:                               ;   in Loop: Header=BB111_70 Depth=1
	v_cmp_lt_f32_e32 vcc_lo, v21, v22
	v_cndmask_b32_e32 v23, v12, v20, vcc_lo
	s_delay_alu instid0(VALU_DEP_1)
	v_lshlrev_b32_e32 v22, 16, v23
; %bb.73:                               ;   in Loop: Header=BB111_70 Depth=1
	s_or_b32 exec_lo, exec_lo, s2
	s_delay_alu instid0(VALU_DEP_1)
	v_dual_mov_b32 v21, v22 :: v_dual_mov_b32 v12, v23
.LBB111_74:                             ;   in Loop: Header=BB111_70 Depth=1
	s_or_b32 exec_lo, exec_lo, s1
	s_delay_alu instid0(SALU_CYCLE_1) | instskip(NEXT) | instid1(VALU_DEP_1)
	s_mov_b32 s1, exec_lo
	v_cmpx_o_f32_e32 v21, v21
	s_cbranch_execz .LBB111_78
; %bb.75:                               ;   in Loop: Header=BB111_70 Depth=1
	s_wait_loadcnt 0xe
	v_dual_mov_b32 v23, v19 :: v_dual_lshlrev_b32 v22, 16, v19
	s_mov_b32 s2, exec_lo
	s_delay_alu instid0(VALU_DEP_1)
	v_cmpx_o_f32_e32 v22, v22
; %bb.76:                               ;   in Loop: Header=BB111_70 Depth=1
	v_cmp_lt_f32_e32 vcc_lo, v21, v22
	v_cndmask_b32_e32 v23, v12, v19, vcc_lo
	s_delay_alu instid0(VALU_DEP_1)
	v_lshlrev_b32_e32 v22, 16, v23
; %bb.77:                               ;   in Loop: Header=BB111_70 Depth=1
	s_or_b32 exec_lo, exec_lo, s2
	s_delay_alu instid0(VALU_DEP_1)
	v_dual_mov_b32 v21, v22 :: v_dual_mov_b32 v12, v23
.LBB111_78:                             ;   in Loop: Header=BB111_70 Depth=1
	s_or_b32 exec_lo, exec_lo, s1
	s_delay_alu instid0(SALU_CYCLE_1) | instskip(NEXT) | instid1(VALU_DEP_1)
	s_mov_b32 s1, exec_lo
	;; [unrolled: 21-line block ×7, first 2 shown]
	v_cmpx_o_f32_e32 v21, v21
	s_cbranch_execz .LBB111_102
; %bb.99:                               ;   in Loop: Header=BB111_70 Depth=1
	s_wait_loadcnt 0x8
	v_dual_mov_b32 v23, v13 :: v_dual_lshlrev_b32 v22, 16, v13
	s_mov_b32 s2, exec_lo
	s_delay_alu instid0(VALU_DEP_1)
	v_cmpx_o_f32_e32 v22, v22
; %bb.100:                              ;   in Loop: Header=BB111_70 Depth=1
	v_cmp_lt_f32_e32 vcc_lo, v21, v22
	v_cndmask_b32_e32 v23, v12, v13, vcc_lo
	s_delay_alu instid0(VALU_DEP_1)
	v_lshlrev_b32_e32 v22, 16, v23
; %bb.101:                              ;   in Loop: Header=BB111_70 Depth=1
	s_or_b32 exec_lo, exec_lo, s2
	s_delay_alu instid0(VALU_DEP_1)
	v_dual_mov_b32 v21, v22 :: v_dual_mov_b32 v12, v23
.LBB111_102:                            ;   in Loop: Header=BB111_70 Depth=1
	s_or_b32 exec_lo, exec_lo, s1
	s_delay_alu instid0(SALU_CYCLE_1) | instskip(NEXT) | instid1(VALU_DEP_1)
	s_mov_b32 s1, exec_lo
	v_cmpx_o_f32_e32 v21, v21
	s_cbranch_execz .LBB111_106
; %bb.103:                              ;   in Loop: Header=BB111_70 Depth=1
	s_wait_loadcnt 0x7
	v_dual_mov_b32 v23, v11 :: v_dual_lshlrev_b32 v22, 16, v11
	s_mov_b32 s2, exec_lo
	s_delay_alu instid0(VALU_DEP_1)
	v_cmpx_o_f32_e32 v22, v22
; %bb.104:                              ;   in Loop: Header=BB111_70 Depth=1
	v_cmp_lt_f32_e32 vcc_lo, v21, v22
	v_cndmask_b32_e32 v23, v12, v11, vcc_lo
	s_delay_alu instid0(VALU_DEP_1)
	v_lshlrev_b32_e32 v22, 16, v23
; %bb.105:                              ;   in Loop: Header=BB111_70 Depth=1
	s_or_b32 exec_lo, exec_lo, s2
	s_delay_alu instid0(VALU_DEP_1)
	v_dual_mov_b32 v21, v22 :: v_dual_mov_b32 v12, v23
.LBB111_106:                            ;   in Loop: Header=BB111_70 Depth=1
	s_or_b32 exec_lo, exec_lo, s1
	s_delay_alu instid0(SALU_CYCLE_1) | instskip(NEXT) | instid1(VALU_DEP_1)
	s_mov_b32 s1, exec_lo
	v_cmpx_o_f32_e32 v21, v21
	s_cbranch_execz .LBB111_110
; %bb.107:                              ;   in Loop: Header=BB111_70 Depth=1
	s_wait_loadcnt 0x6
	v_dual_mov_b32 v23, v10 :: v_dual_lshlrev_b32 v22, 16, v10
	s_mov_b32 s2, exec_lo
	s_delay_alu instid0(VALU_DEP_1)
	v_cmpx_o_f32_e32 v22, v22
; %bb.108:                              ;   in Loop: Header=BB111_70 Depth=1
	v_cmp_lt_f32_e32 vcc_lo, v21, v22
	v_cndmask_b32_e32 v23, v12, v10, vcc_lo
	s_delay_alu instid0(VALU_DEP_1)
	v_lshlrev_b32_e32 v22, 16, v23
; %bb.109:                              ;   in Loop: Header=BB111_70 Depth=1
	s_or_b32 exec_lo, exec_lo, s2
	s_delay_alu instid0(VALU_DEP_1)
	v_dual_mov_b32 v21, v22 :: v_dual_mov_b32 v12, v23
.LBB111_110:                            ;   in Loop: Header=BB111_70 Depth=1
	;; [unrolled: 21-line block ×7, first 2 shown]
	s_or_b32 exec_lo, exec_lo, s1
	s_delay_alu instid0(SALU_CYCLE_1) | instskip(NEXT) | instid1(VALU_DEP_1)
	s_mov_b32 s1, exec_lo
	v_cmpx_o_f32_e32 v21, v21
	s_cbranch_execz .LBB111_69
; %bb.131:                              ;   in Loop: Header=BB111_70 Depth=1
	s_wait_loadcnt 0x0
	v_dual_mov_b32 v22, v4 :: v_dual_lshlrev_b32 v23, 16, v4
	s_mov_b32 s2, exec_lo
	s_delay_alu instid0(VALU_DEP_1)
	v_cmpx_o_f32_e32 v23, v23
	s_cbranch_execz .LBB111_68
; %bb.132:                              ;   in Loop: Header=BB111_70 Depth=1
	v_cmp_lt_f32_e32 vcc_lo, v21, v23
	v_cndmask_b32_e32 v22, v12, v4, vcc_lo
	s_branch .LBB111_68
.LBB111_133:
                                        ; implicit-def: $vgpr3
	s_cbranch_execnz .LBB111_299
	s_branch .LBB111_401
.LBB111_134:
	s_sub_co_i32 s25, s28, s0
	s_ashr_i32 s1, s0, 31
	v_cmp_gt_u32_e64 s14, s25, v0
	s_lshl_b64 s[0:1], s[0:1], 1
	s_delay_alu instid0(SALU_CYCLE_1)
	s_add_nc_u64 s[26:27], s[16:17], s[0:1]
	s_and_saveexec_b32 s0, s14
	s_cbranch_execz .LBB111_136
; %bb.135:
	s_wait_loadcnt 0xf
	global_load_u16 v20, v0, s[26:27] scale_offset
.LBB111_136:
	s_wait_xcnt 0x0
	s_or_b32 exec_lo, exec_lo, s0
	v_or_b32_e32 v2, 0x100, v0
	s_delay_alu instid0(VALU_DEP_1)
	v_cmp_gt_u32_e64 s13, s25, v2
	s_and_saveexec_b32 s0, s13
	s_cbranch_execz .LBB111_138
; %bb.137:
	s_wait_loadcnt 0xe
	global_load_u16 v19, v0, s[26:27] offset:512 scale_offset
.LBB111_138:
	s_wait_xcnt 0x0
	s_or_b32 exec_lo, exec_lo, s0
	v_or_b32_e32 v2, 0x200, v0
	s_delay_alu instid0(VALU_DEP_1)
	v_cmp_gt_u32_e64 s12, s25, v2
	s_and_saveexec_b32 s0, s12
	s_cbranch_execz .LBB111_140
; %bb.139:
	s_wait_loadcnt 0xd
	global_load_u16 v18, v0, s[26:27] offset:1024 scale_offset
.LBB111_140:
	;; [unrolled: 11-line block ×14, first 2 shown]
	s_wait_xcnt 0x0
	s_or_b32 exec_lo, exec_lo, s29
	v_or_b32_e32 v2, 0xf00, v0
	s_delay_alu instid0(VALU_DEP_1)
	v_cmp_gt_u32_e32 vcc_lo, s25, v2
	s_and_saveexec_b32 s25, vcc_lo
	s_cbranch_execnz .LBB111_181
; %bb.165:
	s_or_b32 exec_lo, exec_lo, s25
	s_and_saveexec_b32 s25, s14
	s_cbranch_execnz .LBB111_182
.LBB111_166:
	s_or_b32 exec_lo, exec_lo, s25
	s_and_saveexec_b32 s14, s13
	s_cbranch_execnz .LBB111_187
.LBB111_167:
	s_or_b32 exec_lo, exec_lo, s14
	s_and_saveexec_b32 s13, s12
	s_cbranch_execnz .LBB111_192
.LBB111_168:
	s_or_b32 exec_lo, exec_lo, s13
	s_and_saveexec_b32 s12, s11
	s_cbranch_execnz .LBB111_197
.LBB111_169:
	s_or_b32 exec_lo, exec_lo, s12
	s_and_saveexec_b32 s11, s10
	s_cbranch_execnz .LBB111_202
.LBB111_170:
	s_or_b32 exec_lo, exec_lo, s11
	s_and_saveexec_b32 s10, s9
	s_cbranch_execnz .LBB111_207
.LBB111_171:
	s_or_b32 exec_lo, exec_lo, s10
	s_and_saveexec_b32 s9, s8
	s_cbranch_execnz .LBB111_212
.LBB111_172:
	s_or_b32 exec_lo, exec_lo, s9
	s_and_saveexec_b32 s8, s7
	s_cbranch_execnz .LBB111_217
.LBB111_173:
	s_or_b32 exec_lo, exec_lo, s8
	s_and_saveexec_b32 s7, s6
	s_cbranch_execnz .LBB111_222
.LBB111_174:
	s_or_b32 exec_lo, exec_lo, s7
	s_and_saveexec_b32 s6, s5
	s_cbranch_execnz .LBB111_227
.LBB111_175:
	s_or_b32 exec_lo, exec_lo, s6
	s_and_saveexec_b32 s5, s4
	s_cbranch_execnz .LBB111_232
.LBB111_176:
	s_or_b32 exec_lo, exec_lo, s5
	s_and_saveexec_b32 s4, s3
	s_cbranch_execnz .LBB111_237
.LBB111_177:
	s_or_b32 exec_lo, exec_lo, s4
	s_and_saveexec_b32 s3, s2
	s_cbranch_execnz .LBB111_242
.LBB111_178:
	s_or_b32 exec_lo, exec_lo, s3
	s_and_saveexec_b32 s2, s1
	s_cbranch_execnz .LBB111_247
.LBB111_179:
	s_or_b32 exec_lo, exec_lo, s2
	s_and_saveexec_b32 s1, s0
	s_cbranch_execnz .LBB111_252
.LBB111_180:
	s_or_b32 exec_lo, exec_lo, s1
	s_and_saveexec_b32 s0, vcc_lo
	s_cbranch_execnz .LBB111_257
	s_branch .LBB111_262
.LBB111_181:
	s_wait_loadcnt 0x0
	global_load_u16 v4, v0, s[26:27] offset:7680 scale_offset
	s_wait_xcnt 0x0
	s_or_b32 exec_lo, exec_lo, s25
	s_and_saveexec_b32 s25, s14
	s_cbranch_execz .LBB111_166
.LBB111_182:
	v_lshlrev_b32_e32 v2, 16, v12
	s_mov_b32 s26, exec_lo
	s_delay_alu instid0(VALU_DEP_1)
	v_cmpx_o_f32_e32 v2, v2
	s_cbranch_execz .LBB111_186
; %bb.183:
	s_wait_loadcnt 0x0
	v_lshlrev_b32_e32 v3, 16, v20
	s_mov_b32 s27, exec_lo
	s_delay_alu instid0(VALU_DEP_1)
	v_cmpx_o_f32_e32 v3, v3
; %bb.184:
	v_cmp_lt_f32_e64 s14, v2, v3
	s_delay_alu instid0(VALU_DEP_1)
	v_cndmask_b32_e64 v20, v12, v20, s14
; %bb.185:
	s_or_b32 exec_lo, exec_lo, s27
	s_delay_alu instid0(VALU_DEP_1)
	v_mov_b32_e32 v12, v20
.LBB111_186:
	s_or_b32 exec_lo, exec_lo, s26
	s_delay_alu instid0(SALU_CYCLE_1)
	s_or_b32 exec_lo, exec_lo, s25
	s_and_saveexec_b32 s14, s13
	s_cbranch_execz .LBB111_167
.LBB111_187:
	v_lshlrev_b32_e32 v2, 16, v12
	s_mov_b32 s25, exec_lo
	s_delay_alu instid0(VALU_DEP_1)
	v_cmpx_o_f32_e32 v2, v2
	s_cbranch_execz .LBB111_191
; %bb.188:
	s_wait_loadcnt 0x0
	v_lshlrev_b32_e32 v3, 16, v19
	s_mov_b32 s26, exec_lo
	s_delay_alu instid0(VALU_DEP_1)
	v_cmpx_o_f32_e32 v3, v3
; %bb.189:
	v_cmp_lt_f32_e64 s13, v2, v3
	s_delay_alu instid0(VALU_DEP_1)
	v_cndmask_b32_e64 v19, v12, v19, s13
; %bb.190:
	s_or_b32 exec_lo, exec_lo, s26
	s_delay_alu instid0(VALU_DEP_1)
	v_mov_b32_e32 v12, v19
.LBB111_191:
	s_or_b32 exec_lo, exec_lo, s25
	s_delay_alu instid0(SALU_CYCLE_1)
	s_or_b32 exec_lo, exec_lo, s14
	s_and_saveexec_b32 s13, s12
	s_cbranch_execz .LBB111_168
.LBB111_192:
	v_lshlrev_b32_e32 v2, 16, v12
	s_mov_b32 s14, exec_lo
	s_delay_alu instid0(VALU_DEP_1)
	v_cmpx_o_f32_e32 v2, v2
	s_cbranch_execz .LBB111_196
; %bb.193:
	s_wait_loadcnt 0x0
	v_lshlrev_b32_e32 v3, 16, v18
	s_mov_b32 s25, exec_lo
	s_delay_alu instid0(VALU_DEP_1)
	v_cmpx_o_f32_e32 v3, v3
; %bb.194:
	v_cmp_lt_f32_e64 s12, v2, v3
	s_delay_alu instid0(VALU_DEP_1)
	v_cndmask_b32_e64 v18, v12, v18, s12
; %bb.195:
	s_or_b32 exec_lo, exec_lo, s25
	s_delay_alu instid0(VALU_DEP_1)
	v_mov_b32_e32 v12, v18
.LBB111_196:
	s_or_b32 exec_lo, exec_lo, s14
	s_delay_alu instid0(SALU_CYCLE_1)
	s_or_b32 exec_lo, exec_lo, s13
	s_and_saveexec_b32 s12, s11
	s_cbranch_execz .LBB111_169
.LBB111_197:
	v_lshlrev_b32_e32 v2, 16, v12
	s_mov_b32 s13, exec_lo
	s_delay_alu instid0(VALU_DEP_1)
	v_cmpx_o_f32_e32 v2, v2
	s_cbranch_execz .LBB111_201
; %bb.198:
	s_wait_loadcnt 0x0
	v_lshlrev_b32_e32 v3, 16, v17
	s_mov_b32 s14, exec_lo
	s_delay_alu instid0(VALU_DEP_1)
	v_cmpx_o_f32_e32 v3, v3
; %bb.199:
	v_cmp_lt_f32_e64 s11, v2, v3
	s_delay_alu instid0(VALU_DEP_1)
	v_cndmask_b32_e64 v17, v12, v17, s11
; %bb.200:
	s_or_b32 exec_lo, exec_lo, s14
	s_delay_alu instid0(VALU_DEP_1)
	v_mov_b32_e32 v12, v17
.LBB111_201:
	s_or_b32 exec_lo, exec_lo, s13
	s_delay_alu instid0(SALU_CYCLE_1)
	s_or_b32 exec_lo, exec_lo, s12
	s_and_saveexec_b32 s11, s10
	s_cbranch_execz .LBB111_170
.LBB111_202:
	v_lshlrev_b32_e32 v2, 16, v12
	s_mov_b32 s12, exec_lo
	s_delay_alu instid0(VALU_DEP_1)
	v_cmpx_o_f32_e32 v2, v2
	s_cbranch_execz .LBB111_206
; %bb.203:
	s_wait_loadcnt 0x0
	v_lshlrev_b32_e32 v3, 16, v16
	s_mov_b32 s13, exec_lo
	s_delay_alu instid0(VALU_DEP_1)
	v_cmpx_o_f32_e32 v3, v3
; %bb.204:
	v_cmp_lt_f32_e64 s10, v2, v3
	s_delay_alu instid0(VALU_DEP_1)
	v_cndmask_b32_e64 v16, v12, v16, s10
; %bb.205:
	s_or_b32 exec_lo, exec_lo, s13
	s_delay_alu instid0(VALU_DEP_1)
	v_mov_b32_e32 v12, v16
.LBB111_206:
	s_or_b32 exec_lo, exec_lo, s12
	s_delay_alu instid0(SALU_CYCLE_1)
	s_or_b32 exec_lo, exec_lo, s11
	s_and_saveexec_b32 s10, s9
	s_cbranch_execz .LBB111_171
.LBB111_207:
	v_lshlrev_b32_e32 v2, 16, v12
	s_mov_b32 s11, exec_lo
	s_delay_alu instid0(VALU_DEP_1)
	v_cmpx_o_f32_e32 v2, v2
	s_cbranch_execz .LBB111_211
; %bb.208:
	s_wait_loadcnt 0x0
	v_lshlrev_b32_e32 v3, 16, v15
	s_mov_b32 s12, exec_lo
	s_delay_alu instid0(VALU_DEP_1)
	v_cmpx_o_f32_e32 v3, v3
; %bb.209:
	v_cmp_lt_f32_e64 s9, v2, v3
	s_delay_alu instid0(VALU_DEP_1)
	v_cndmask_b32_e64 v15, v12, v15, s9
; %bb.210:
	s_or_b32 exec_lo, exec_lo, s12
	s_delay_alu instid0(VALU_DEP_1)
	v_mov_b32_e32 v12, v15
.LBB111_211:
	s_or_b32 exec_lo, exec_lo, s11
	s_delay_alu instid0(SALU_CYCLE_1)
	s_or_b32 exec_lo, exec_lo, s10
	s_and_saveexec_b32 s9, s8
	s_cbranch_execz .LBB111_172
.LBB111_212:
	v_lshlrev_b32_e32 v2, 16, v12
	s_mov_b32 s10, exec_lo
	s_delay_alu instid0(VALU_DEP_1)
	v_cmpx_o_f32_e32 v2, v2
	s_cbranch_execz .LBB111_216
; %bb.213:
	s_wait_loadcnt 0x0
	v_lshlrev_b32_e32 v3, 16, v14
	s_mov_b32 s11, exec_lo
	s_delay_alu instid0(VALU_DEP_1)
	v_cmpx_o_f32_e32 v3, v3
; %bb.214:
	v_cmp_lt_f32_e64 s8, v2, v3
	s_delay_alu instid0(VALU_DEP_1)
	v_cndmask_b32_e64 v14, v12, v14, s8
; %bb.215:
	s_or_b32 exec_lo, exec_lo, s11
	s_delay_alu instid0(VALU_DEP_1)
	v_mov_b32_e32 v12, v14
.LBB111_216:
	s_or_b32 exec_lo, exec_lo, s10
	s_delay_alu instid0(SALU_CYCLE_1)
	s_or_b32 exec_lo, exec_lo, s9
	s_and_saveexec_b32 s8, s7
	s_cbranch_execz .LBB111_173
.LBB111_217:
	v_lshlrev_b32_e32 v2, 16, v12
	s_mov_b32 s9, exec_lo
	s_delay_alu instid0(VALU_DEP_1)
	v_cmpx_o_f32_e32 v2, v2
	s_cbranch_execz .LBB111_221
; %bb.218:
	s_wait_loadcnt 0x0
	v_lshlrev_b32_e32 v3, 16, v13
	s_mov_b32 s10, exec_lo
	s_delay_alu instid0(VALU_DEP_1)
	v_cmpx_o_f32_e32 v3, v3
; %bb.219:
	v_cmp_lt_f32_e64 s7, v2, v3
	s_delay_alu instid0(VALU_DEP_1)
	v_cndmask_b32_e64 v13, v12, v13, s7
; %bb.220:
	s_or_b32 exec_lo, exec_lo, s10
	s_delay_alu instid0(VALU_DEP_1)
	v_mov_b32_e32 v12, v13
.LBB111_221:
	s_or_b32 exec_lo, exec_lo, s9
	s_delay_alu instid0(SALU_CYCLE_1)
	s_or_b32 exec_lo, exec_lo, s8
	s_and_saveexec_b32 s7, s6
	s_cbranch_execz .LBB111_174
.LBB111_222:
	v_lshlrev_b32_e32 v2, 16, v12
	s_mov_b32 s8, exec_lo
	s_delay_alu instid0(VALU_DEP_1)
	v_cmpx_o_f32_e32 v2, v2
	s_cbranch_execz .LBB111_226
; %bb.223:
	s_wait_loadcnt 0x0
	v_lshlrev_b32_e32 v3, 16, v11
	s_mov_b32 s9, exec_lo
	s_delay_alu instid0(VALU_DEP_1)
	v_cmpx_o_f32_e32 v3, v3
; %bb.224:
	v_cmp_lt_f32_e64 s6, v2, v3
	s_delay_alu instid0(VALU_DEP_1)
	v_cndmask_b32_e64 v11, v12, v11, s6
; %bb.225:
	s_or_b32 exec_lo, exec_lo, s9
	s_delay_alu instid0(VALU_DEP_1)
	v_mov_b32_e32 v12, v11
.LBB111_226:
	s_or_b32 exec_lo, exec_lo, s8
	s_delay_alu instid0(SALU_CYCLE_1)
	s_or_b32 exec_lo, exec_lo, s7
	s_and_saveexec_b32 s6, s5
	s_cbranch_execz .LBB111_175
.LBB111_227:
	v_lshlrev_b32_e32 v2, 16, v12
	s_mov_b32 s7, exec_lo
	s_delay_alu instid0(VALU_DEP_1)
	v_cmpx_o_f32_e32 v2, v2
	s_cbranch_execz .LBB111_231
; %bb.228:
	s_wait_loadcnt 0x0
	v_lshlrev_b32_e32 v3, 16, v10
	s_mov_b32 s8, exec_lo
	s_delay_alu instid0(VALU_DEP_1)
	v_cmpx_o_f32_e32 v3, v3
; %bb.229:
	v_cmp_lt_f32_e64 s5, v2, v3
	s_delay_alu instid0(VALU_DEP_1)
	v_cndmask_b32_e64 v10, v12, v10, s5
; %bb.230:
	s_or_b32 exec_lo, exec_lo, s8
	s_delay_alu instid0(VALU_DEP_1)
	v_mov_b32_e32 v12, v10
.LBB111_231:
	s_or_b32 exec_lo, exec_lo, s7
	s_delay_alu instid0(SALU_CYCLE_1)
	s_or_b32 exec_lo, exec_lo, s6
	s_and_saveexec_b32 s5, s4
	s_cbranch_execz .LBB111_176
.LBB111_232:
	v_lshlrev_b32_e32 v2, 16, v12
	s_mov_b32 s6, exec_lo
	s_delay_alu instid0(VALU_DEP_1)
	v_cmpx_o_f32_e32 v2, v2
	s_cbranch_execz .LBB111_236
; %bb.233:
	s_wait_loadcnt 0x0
	v_lshlrev_b32_e32 v3, 16, v9
	s_mov_b32 s7, exec_lo
	s_delay_alu instid0(VALU_DEP_1)
	v_cmpx_o_f32_e32 v3, v3
; %bb.234:
	v_cmp_lt_f32_e64 s4, v2, v3
	s_delay_alu instid0(VALU_DEP_1)
	v_cndmask_b32_e64 v9, v12, v9, s4
; %bb.235:
	s_or_b32 exec_lo, exec_lo, s7
	s_delay_alu instid0(VALU_DEP_1)
	v_mov_b32_e32 v12, v9
.LBB111_236:
	s_or_b32 exec_lo, exec_lo, s6
	s_delay_alu instid0(SALU_CYCLE_1)
	s_or_b32 exec_lo, exec_lo, s5
	s_and_saveexec_b32 s4, s3
	s_cbranch_execz .LBB111_177
.LBB111_237:
	v_lshlrev_b32_e32 v2, 16, v12
	s_mov_b32 s5, exec_lo
	s_delay_alu instid0(VALU_DEP_1)
	v_cmpx_o_f32_e32 v2, v2
	s_cbranch_execz .LBB111_241
; %bb.238:
	s_wait_loadcnt 0x0
	v_lshlrev_b32_e32 v3, 16, v8
	s_mov_b32 s6, exec_lo
	s_delay_alu instid0(VALU_DEP_1)
	v_cmpx_o_f32_e32 v3, v3
; %bb.239:
	v_cmp_lt_f32_e64 s3, v2, v3
	s_delay_alu instid0(VALU_DEP_1)
	v_cndmask_b32_e64 v8, v12, v8, s3
; %bb.240:
	s_or_b32 exec_lo, exec_lo, s6
	s_delay_alu instid0(VALU_DEP_1)
	v_mov_b32_e32 v12, v8
.LBB111_241:
	s_or_b32 exec_lo, exec_lo, s5
	s_delay_alu instid0(SALU_CYCLE_1)
	s_or_b32 exec_lo, exec_lo, s4
	s_and_saveexec_b32 s3, s2
	s_cbranch_execz .LBB111_178
.LBB111_242:
	v_lshlrev_b32_e32 v2, 16, v12
	s_mov_b32 s4, exec_lo
	s_delay_alu instid0(VALU_DEP_1)
	v_cmpx_o_f32_e32 v2, v2
	s_cbranch_execz .LBB111_246
; %bb.243:
	s_wait_loadcnt 0x0
	v_lshlrev_b32_e32 v3, 16, v7
	s_mov_b32 s5, exec_lo
	s_delay_alu instid0(VALU_DEP_1)
	v_cmpx_o_f32_e32 v3, v3
; %bb.244:
	v_cmp_lt_f32_e64 s2, v2, v3
	s_delay_alu instid0(VALU_DEP_1)
	v_cndmask_b32_e64 v7, v12, v7, s2
; %bb.245:
	s_or_b32 exec_lo, exec_lo, s5
	s_delay_alu instid0(VALU_DEP_1)
	v_mov_b32_e32 v12, v7
.LBB111_246:
	s_or_b32 exec_lo, exec_lo, s4
	s_delay_alu instid0(SALU_CYCLE_1)
	s_or_b32 exec_lo, exec_lo, s3
	s_and_saveexec_b32 s2, s1
	s_cbranch_execz .LBB111_179
.LBB111_247:
	v_lshlrev_b32_e32 v2, 16, v12
	s_mov_b32 s3, exec_lo
	s_delay_alu instid0(VALU_DEP_1)
	v_cmpx_o_f32_e32 v2, v2
	s_cbranch_execz .LBB111_251
; %bb.248:
	s_wait_loadcnt 0x0
	v_lshlrev_b32_e32 v3, 16, v6
	s_mov_b32 s4, exec_lo
	s_delay_alu instid0(VALU_DEP_1)
	v_cmpx_o_f32_e32 v3, v3
; %bb.249:
	v_cmp_lt_f32_e64 s1, v2, v3
	s_delay_alu instid0(VALU_DEP_1)
	v_cndmask_b32_e64 v6, v12, v6, s1
; %bb.250:
	s_or_b32 exec_lo, exec_lo, s4
	s_delay_alu instid0(VALU_DEP_1)
	v_mov_b32_e32 v12, v6
.LBB111_251:
	s_or_b32 exec_lo, exec_lo, s3
	s_delay_alu instid0(SALU_CYCLE_1)
	s_or_b32 exec_lo, exec_lo, s2
	s_and_saveexec_b32 s1, s0
	s_cbranch_execz .LBB111_180
.LBB111_252:
	v_lshlrev_b32_e32 v2, 16, v12
	s_mov_b32 s2, exec_lo
	s_delay_alu instid0(VALU_DEP_1)
	v_cmpx_o_f32_e32 v2, v2
	s_cbranch_execz .LBB111_256
; %bb.253:
	s_wait_loadcnt 0x0
	v_lshlrev_b32_e32 v3, 16, v5
	s_mov_b32 s3, exec_lo
	s_delay_alu instid0(VALU_DEP_1)
	v_cmpx_o_f32_e32 v3, v3
; %bb.254:
	v_cmp_lt_f32_e64 s0, v2, v3
	s_delay_alu instid0(VALU_DEP_1)
	v_cndmask_b32_e64 v5, v12, v5, s0
; %bb.255:
	s_or_b32 exec_lo, exec_lo, s3
	s_delay_alu instid0(VALU_DEP_1)
	v_mov_b32_e32 v12, v5
.LBB111_256:
	s_or_b32 exec_lo, exec_lo, s2
	s_delay_alu instid0(SALU_CYCLE_1)
	s_or_b32 exec_lo, exec_lo, s1
	s_and_saveexec_b32 s0, vcc_lo
	s_cbranch_execz .LBB111_262
.LBB111_257:
	v_lshlrev_b32_e32 v2, 16, v12
	s_mov_b32 s1, exec_lo
	s_delay_alu instid0(VALU_DEP_1)
	v_cmpx_o_f32_e32 v2, v2
	s_cbranch_execz .LBB111_261
; %bb.258:
	s_wait_loadcnt 0x0
	v_lshlrev_b32_e32 v3, 16, v4
	s_mov_b32 s2, exec_lo
	s_delay_alu instid0(VALU_DEP_1)
	v_cmpx_o_f32_e32 v3, v3
; %bb.259:
	v_cmp_lt_f32_e32 vcc_lo, v2, v3
	v_cndmask_b32_e32 v4, v12, v4, vcc_lo
; %bb.260:
	s_or_b32 exec_lo, exec_lo, s2
	s_delay_alu instid0(VALU_DEP_1)
	v_mov_b32_e32 v12, v4
.LBB111_261:
	s_or_b32 exec_lo, exec_lo, s1
.LBB111_262:
	s_delay_alu instid0(SALU_CYCLE_1) | instskip(SKIP_1) | instid1(VALU_DEP_1)
	s_or_b32 exec_lo, exec_lo, s0
	s_wait_loadcnt 0x0
	v_and_b32_e32 v4, 0xffff, v12
	s_mov_b32 s0, exec_lo
	s_delay_alu instid0(VALU_DEP_1) | instskip(NEXT) | instid1(VALU_DEP_1)
	v_mov_b32_dpp v2, v4 quad_perm:[1,0,3,2] row_mask:0xf bank_mask:0xf
	v_lshlrev_b32_e32 v3, 16, v2
	s_delay_alu instid0(VALU_DEP_1)
	v_cmpx_o_f32_e32 v3, v3
	s_xor_b32 s0, exec_lo, s0
	s_cbranch_execz .LBB111_266
; %bb.263:
	v_lshlrev_b32_e32 v4, 16, v4
	s_mov_b32 s1, exec_lo
	s_delay_alu instid0(VALU_DEP_1)
	v_cmpx_o_f32_e32 v4, v4
; %bb.264:
	v_cmp_lt_f32_e32 vcc_lo, v3, v4
	v_cndmask_b32_e32 v12, v2, v12, vcc_lo
; %bb.265:
	s_or_b32 exec_lo, exec_lo, s1
	s_delay_alu instid0(VALU_DEP_1)
	v_mov_b32_e32 v2, v12
.LBB111_266:
	s_or_b32 exec_lo, exec_lo, s0
	s_delay_alu instid0(VALU_DEP_1) | instskip(SKIP_1) | instid1(VALU_DEP_1)
	v_and_b32_e32 v5, 0xffff, v2
	s_mov_b32 s0, exec_lo
	v_mov_b32_dpp v3, v5 quad_perm:[2,3,0,1] row_mask:0xf bank_mask:0xf
	s_delay_alu instid0(VALU_DEP_1) | instskip(NEXT) | instid1(VALU_DEP_1)
	v_lshlrev_b32_e32 v4, 16, v3
	v_cmpx_o_f32_e32 v4, v4
	s_cbranch_execz .LBB111_270
; %bb.267:
	v_lshlrev_b32_e32 v5, 16, v5
	s_mov_b32 s1, exec_lo
	s_delay_alu instid0(VALU_DEP_1)
	v_cmpx_o_f32_e32 v5, v5
; %bb.268:
	v_cmp_lt_f32_e32 vcc_lo, v4, v5
	v_cndmask_b32_e32 v2, v3, v2, vcc_lo
; %bb.269:
	s_or_b32 exec_lo, exec_lo, s1
	s_delay_alu instid0(VALU_DEP_1)
	v_mov_b32_e32 v3, v2
.LBB111_270:
	s_or_b32 exec_lo, exec_lo, s0
	s_delay_alu instid0(VALU_DEP_1) | instskip(SKIP_1) | instid1(VALU_DEP_1)
	v_and_b32_e32 v5, 0xffff, v3
	s_mov_b32 s0, exec_lo
	v_mov_b32_dpp v2, v5 row_ror:4 row_mask:0xf bank_mask:0xf
	s_delay_alu instid0(VALU_DEP_1) | instskip(NEXT) | instid1(VALU_DEP_1)
	v_lshlrev_b32_e32 v4, 16, v2
	v_cmpx_o_f32_e32 v4, v4
	s_cbranch_execz .LBB111_274
; %bb.271:
	v_lshlrev_b32_e32 v5, 16, v5
	s_mov_b32 s1, exec_lo
	s_delay_alu instid0(VALU_DEP_1)
	v_cmpx_o_f32_e32 v5, v5
; %bb.272:
	v_cmp_lt_f32_e32 vcc_lo, v4, v5
	v_cndmask_b32_e32 v3, v2, v3, vcc_lo
; %bb.273:
	s_or_b32 exec_lo, exec_lo, s1
	s_delay_alu instid0(VALU_DEP_1)
	v_mov_b32_e32 v2, v3
.LBB111_274:
	s_or_b32 exec_lo, exec_lo, s0
	s_delay_alu instid0(VALU_DEP_1) | instskip(SKIP_1) | instid1(VALU_DEP_1)
	v_and_b32_e32 v5, 0xffff, v2
	s_mov_b32 s0, exec_lo
	v_mov_b32_dpp v3, v5 row_ror:8 row_mask:0xf bank_mask:0xf
	s_delay_alu instid0(VALU_DEP_1) | instskip(NEXT) | instid1(VALU_DEP_1)
	v_lshlrev_b32_e32 v4, 16, v3
	v_cmpx_o_f32_e32 v4, v4
	s_cbranch_execz .LBB111_278
; %bb.275:
	v_lshlrev_b32_e32 v5, 16, v5
	s_mov_b32 s1, exec_lo
	s_delay_alu instid0(VALU_DEP_1)
	v_cmpx_o_f32_e32 v5, v5
; %bb.276:
	v_cmp_lt_f32_e32 vcc_lo, v4, v5
	v_cndmask_b32_e32 v2, v3, v2, vcc_lo
; %bb.277:
	s_or_b32 exec_lo, exec_lo, s1
	s_delay_alu instid0(VALU_DEP_1)
	v_mov_b32_e32 v3, v2
.LBB111_278:
	s_or_b32 exec_lo, exec_lo, s0
	s_delay_alu instid0(VALU_DEP_1) | instskip(SKIP_4) | instid1(VALU_DEP_1)
	v_and_b32_e32 v5, 0xffff, v3
	s_mov_b32 s0, exec_lo
	ds_swizzle_b32 v2, v5 offset:swizzle(BROADCAST,32,15)
	s_wait_dscnt 0x0
	v_lshlrev_b32_e32 v4, 16, v2
	v_cmpx_o_f32_e32 v4, v4
	s_cbranch_execz .LBB111_282
; %bb.279:
	v_lshlrev_b32_e32 v5, 16, v5
	s_mov_b32 s1, exec_lo
	s_delay_alu instid0(VALU_DEP_1)
	v_cmpx_o_f32_e32 v5, v5
; %bb.280:
	v_cmp_lt_f32_e32 vcc_lo, v4, v5
	v_cndmask_b32_e32 v3, v2, v3, vcc_lo
; %bb.281:
	s_or_b32 exec_lo, exec_lo, s1
	s_delay_alu instid0(VALU_DEP_1)
	v_mov_b32_e32 v2, v3
.LBB111_282:
	s_or_b32 exec_lo, exec_lo, s0
	s_delay_alu instid0(VALU_DEP_1) | instskip(SKIP_4) | instid1(VALU_DEP_1)
	v_and_b32_e32 v2, 0xffff, v2
	v_mov_b32_e32 v3, 0
	s_mov_b32 s0, exec_lo
	ds_bpermute_b32 v3, v3, v2 offset:124
	v_mbcnt_lo_u32_b32 v2, -1, 0
	v_cmpx_eq_u32_e32 0, v2
	s_cbranch_execz .LBB111_284
; %bb.283:
	v_lshrrev_b32_e32 v4, 4, v0
	s_delay_alu instid0(VALU_DEP_1)
	v_and_b32_e32 v4, 14, v4
	s_wait_dscnt 0x0
	ds_store_b16 v4, v3
.LBB111_284:
	s_or_b32 exec_lo, exec_lo, s0
	s_delay_alu instid0(SALU_CYCLE_1)
	s_mov_b32 s0, exec_lo
	s_wait_dscnt 0x0
	s_barrier_signal -1
	s_barrier_wait -1
	v_cmpx_gt_u32_e32 32, v0
	s_cbranch_execz .LBB111_298
; %bb.285:
	v_and_b32_e32 v4, 7, v2
	s_mov_b32 s1, exec_lo
	s_delay_alu instid0(VALU_DEP_1) | instskip(SKIP_1) | instid1(VALU_DEP_1)
	v_cmp_ne_u32_e32 vcc_lo, 7, v4
	v_add_co_ci_u32_e64 v5, null, 0, v2, vcc_lo
	v_dual_lshlrev_b32 v5, 2, v5 :: v_dual_lshlrev_b32 v3, 1, v4
	ds_load_u16 v3, v3
	s_wait_dscnt 0x0
	v_and_b32_e32 v6, 0xffff, v3
	ds_bpermute_b32 v5, v5, v6
	v_lshlrev_b32_e32 v6, 16, v3
	s_delay_alu instid0(VALU_DEP_1)
	v_cmpx_o_f32_e32 v6, v6
	s_cbranch_execz .LBB111_289
; %bb.286:
	s_wait_dscnt 0x0
	v_lshlrev_b32_e32 v7, 16, v5
	s_mov_b32 s2, exec_lo
	s_delay_alu instid0(VALU_DEP_1)
	v_cmpx_o_f32_e32 v7, v7
; %bb.287:
	v_cmp_lt_f32_e32 vcc_lo, v6, v7
	v_cndmask_b32_e32 v5, v3, v5, vcc_lo
; %bb.288:
	s_or_b32 exec_lo, exec_lo, s2
	s_delay_alu instid0(VALU_DEP_1)
	v_mov_b32_e32 v3, v5
.LBB111_289:
	s_or_b32 exec_lo, exec_lo, s1
	v_cmp_gt_u32_e32 vcc_lo, 6, v4
	s_wait_dscnt 0x0
	s_delay_alu instid0(VALU_DEP_2) | instskip(SKIP_2) | instid1(VALU_DEP_1)
	v_and_b32_e32 v5, 0xffff, v3
	s_mov_b32 s1, exec_lo
	v_cndmask_b32_e64 v4, 0, 2, vcc_lo
	v_add_lshl_u32 v4, v4, v2, 2
	v_lshlrev_b32_e32 v2, 2, v2
	ds_bpermute_b32 v4, v4, v5
	v_lshlrev_b32_e32 v5, 16, v3
	s_delay_alu instid0(VALU_DEP_1)
	v_cmpx_o_f32_e32 v5, v5
	s_cbranch_execz .LBB111_293
; %bb.290:
	s_wait_dscnt 0x0
	v_lshlrev_b32_e32 v6, 16, v4
	s_mov_b32 s2, exec_lo
	s_delay_alu instid0(VALU_DEP_1)
	v_cmpx_o_f32_e32 v6, v6
; %bb.291:
	v_cmp_lt_f32_e32 vcc_lo, v5, v6
	v_cndmask_b32_e32 v4, v3, v4, vcc_lo
; %bb.292:
	s_or_b32 exec_lo, exec_lo, s2
	s_delay_alu instid0(VALU_DEP_1)
	v_mov_b32_e32 v3, v4
.LBB111_293:
	s_or_b32 exec_lo, exec_lo, s1
	v_or_b32_e32 v2, 16, v2
	s_wait_dscnt 0x0
	s_delay_alu instid0(VALU_DEP_2) | instskip(SKIP_3) | instid1(VALU_DEP_1)
	v_and_b32_e32 v4, 0xffff, v3
	s_mov_b32 s1, exec_lo
	ds_bpermute_b32 v2, v2, v4
	v_lshlrev_b32_e32 v4, 16, v3
	v_cmpx_o_f32_e32 v4, v4
	s_cbranch_execz .LBB111_297
; %bb.294:
	s_wait_dscnt 0x0
	v_lshlrev_b32_e32 v5, 16, v2
	s_mov_b32 s2, exec_lo
	s_delay_alu instid0(VALU_DEP_1)
	v_cmpx_o_f32_e32 v5, v5
; %bb.295:
	v_cmp_lt_f32_e32 vcc_lo, v4, v5
	v_cndmask_b32_e32 v2, v3, v2, vcc_lo
; %bb.296:
	s_or_b32 exec_lo, exec_lo, s2
	s_delay_alu instid0(VALU_DEP_1)
	v_mov_b32_e32 v3, v2
.LBB111_297:
	s_or_b32 exec_lo, exec_lo, s1
.LBB111_298:
	s_delay_alu instid0(SALU_CYCLE_1)
	s_or_b32 exec_lo, exec_lo, s0
	s_branch .LBB111_401
.LBB111_299:
	s_sub_co_i32 s0, s28, s24
	s_mov_b32 s1, exec_lo
                                        ; implicit-def: $vgpr5
	v_cmpx_gt_u32_e64 s0, v0
	s_cbranch_execz .LBB111_309
; %bb.300:
	s_wait_dscnt 0x0
	v_add_nc_u32_e32 v2, s24, v0
	s_mov_b32 s2, exec_lo
	global_load_u16 v5, v2, s[16:17] scale_offset
	s_wait_xcnt 0x0
	v_add_nc_u32_e32 v2, 0x100, v2
	s_delay_alu instid0(VALU_DEP_1)
	v_cmpx_gt_i32_e64 s28, v2
	s_cbranch_execz .LBB111_308
; %bb.301:
	s_mov_b32 s3, 0
	s_branch .LBB111_304
.LBB111_302:                            ;   in Loop: Header=BB111_304 Depth=1
	s_or_b32 exec_lo, exec_lo, s5
	s_delay_alu instid0(VALU_DEP_1)
	v_mov_b32_e32 v5, v4
.LBB111_303:                            ;   in Loop: Header=BB111_304 Depth=1
	s_or_b32 exec_lo, exec_lo, s4
	v_add_nc_u32_e32 v2, 0x100, v2
	s_delay_alu instid0(VALU_DEP_1) | instskip(SKIP_1) | instid1(SALU_CYCLE_1)
	v_cmp_le_i32_e32 vcc_lo, s28, v2
	s_or_b32 s3, vcc_lo, s3
	s_and_not1_b32 exec_lo, exec_lo, s3
	s_cbranch_execz .LBB111_307
.LBB111_304:                            ; =>This Inner Loop Header: Depth=1
	s_wait_loadcnt 0x0
	v_lshlrev_b32_e32 v3, 16, v5
	s_mov_b32 s4, exec_lo
	s_delay_alu instid0(VALU_DEP_1)
	v_cmpx_o_f32_e32 v3, v3
	s_cbranch_execz .LBB111_303
; %bb.305:                              ;   in Loop: Header=BB111_304 Depth=1
	global_load_u16 v4, v2, s[16:17] scale_offset
	s_mov_b32 s5, exec_lo
	s_wait_loadcnt 0x0
	v_lshlrev_b32_e32 v6, 16, v4
	s_delay_alu instid0(VALU_DEP_1)
	v_cmpx_o_f32_e32 v6, v6
	s_cbranch_execz .LBB111_302
; %bb.306:                              ;   in Loop: Header=BB111_304 Depth=1
	v_cmp_lt_f32_e32 vcc_lo, v3, v6
	v_cndmask_b32_e32 v4, v5, v4, vcc_lo
	s_branch .LBB111_302
.LBB111_307:
	s_or_b32 exec_lo, exec_lo, s3
.LBB111_308:
	s_delay_alu instid0(SALU_CYCLE_1)
	s_or_b32 exec_lo, exec_lo, s2
.LBB111_309:
	s_delay_alu instid0(SALU_CYCLE_1)
	s_or_b32 exec_lo, exec_lo, s1
	v_lshrrev_b32_e32 v4, 5, v0
	s_wait_dscnt 0x0
	v_mbcnt_lo_u32_b32 v2, -1, 0
	s_wait_loadcnt 0x0
	v_and_b32_e32 v6, 0xffff, v5
	s_cmp_lt_u32 s0, 0x100
	s_mov_b32 s1, -1
                                        ; implicit-def: $vgpr3
	s_cbranch_scc0 .LBB111_363
; %bb.310:
	v_cmp_ne_u32_e32 vcc_lo, 31, v2
	v_mov_b32_e32 v9, v6
	v_add_co_ci_u32_e64 v3, null, 0, v2, vcc_lo
	s_delay_alu instid0(VALU_DEP_1) | instskip(SKIP_2) | instid1(VALU_DEP_1)
	v_lshlrev_b32_e32 v3, 2, v3
	ds_bpermute_b32 v8, v3, v6
	v_and_b32_e32 v3, 0xe0, v0
	v_sub_nc_u32_e64 v7, s0, v3 clamp
	v_add_nc_u32_e32 v3, 1, v2
	s_delay_alu instid0(VALU_DEP_1)
	v_cmp_lt_u32_e32 vcc_lo, v3, v7
	v_mov_b32_e32 v3, v5
	s_and_saveexec_b32 s1, vcc_lo
	s_cbranch_execz .LBB111_316
; %bb.311:
	v_dual_lshlrev_b32 v9, 16, v6 :: v_dual_mov_b32 v3, v5
	s_mov_b32 s2, exec_lo
	s_delay_alu instid0(VALU_DEP_1)
	v_cmpx_o_f32_e32 v9, v9
	s_cbranch_execz .LBB111_315
; %bb.312:
	s_wait_dscnt 0x0
	v_lshlrev_b32_e32 v3, 16, v8
	s_mov_b32 s3, exec_lo
	s_delay_alu instid0(VALU_DEP_1)
	v_cmpx_o_f32_e32 v3, v3
; %bb.313:
	v_cmp_lt_f32_e32 vcc_lo, v9, v3
	v_cndmask_b32_e32 v8, v5, v8, vcc_lo
; %bb.314:
	s_or_b32 exec_lo, exec_lo, s3
	s_delay_alu instid0(VALU_DEP_1)
	v_mov_b32_e32 v3, v8
.LBB111_315:
	s_or_b32 exec_lo, exec_lo, s2
	s_delay_alu instid0(VALU_DEP_1)
	v_and_b32_e32 v9, 0xffff, v3
.LBB111_316:
	s_or_b32 exec_lo, exec_lo, s1
	v_cmp_gt_u32_e32 vcc_lo, 30, v2
	v_add_nc_u32_e32 v10, 2, v2
	s_mov_b32 s1, exec_lo
	s_wait_dscnt 0x0
	v_cndmask_b32_e64 v8, 0, 2, vcc_lo
	s_delay_alu instid0(VALU_DEP_1)
	v_add_lshl_u32 v8, v8, v2, 2
	ds_bpermute_b32 v8, v8, v9
	v_cmpx_lt_u32_e64 v10, v7
	s_cbranch_execz .LBB111_322
; %bb.317:
	v_lshlrev_b32_e32 v9, 16, v9
	s_mov_b32 s2, exec_lo
	s_delay_alu instid0(VALU_DEP_1)
	v_cmpx_o_f32_e32 v9, v9
	s_cbranch_execz .LBB111_321
; %bb.318:
	s_wait_dscnt 0x0
	v_lshlrev_b32_e32 v10, 16, v8
	s_mov_b32 s3, exec_lo
	s_delay_alu instid0(VALU_DEP_1)
	v_cmpx_o_f32_e32 v10, v10
; %bb.319:
	v_cmp_lt_f32_e32 vcc_lo, v9, v10
	v_cndmask_b32_e32 v8, v3, v8, vcc_lo
; %bb.320:
	s_or_b32 exec_lo, exec_lo, s3
	s_delay_alu instid0(VALU_DEP_1)
	v_mov_b32_e32 v3, v8
.LBB111_321:
	s_or_b32 exec_lo, exec_lo, s2
	s_delay_alu instid0(VALU_DEP_1)
	v_and_b32_e32 v9, 0xffff, v3
.LBB111_322:
	s_or_b32 exec_lo, exec_lo, s1
	v_cmp_gt_u32_e32 vcc_lo, 28, v2
	v_add_nc_u32_e32 v10, 4, v2
	s_mov_b32 s1, exec_lo
	s_wait_dscnt 0x0
	v_cndmask_b32_e64 v8, 0, 4, vcc_lo
	s_delay_alu instid0(VALU_DEP_1)
	v_add_lshl_u32 v8, v8, v2, 2
	ds_bpermute_b32 v8, v8, v9
	v_cmpx_lt_u32_e64 v10, v7
	s_cbranch_execz .LBB111_328
; %bb.323:
	v_lshlrev_b32_e32 v9, 16, v9
	s_mov_b32 s2, exec_lo
	s_delay_alu instid0(VALU_DEP_1)
	v_cmpx_o_f32_e32 v9, v9
	s_cbranch_execz .LBB111_327
; %bb.324:
	s_wait_dscnt 0x0
	v_lshlrev_b32_e32 v10, 16, v8
	s_mov_b32 s3, exec_lo
	s_delay_alu instid0(VALU_DEP_1)
	v_cmpx_o_f32_e32 v10, v10
; %bb.325:
	v_cmp_lt_f32_e32 vcc_lo, v9, v10
	v_cndmask_b32_e32 v8, v3, v8, vcc_lo
; %bb.326:
	s_or_b32 exec_lo, exec_lo, s3
	s_delay_alu instid0(VALU_DEP_1)
	v_mov_b32_e32 v3, v8
.LBB111_327:
	s_or_b32 exec_lo, exec_lo, s2
	s_delay_alu instid0(VALU_DEP_1)
	v_and_b32_e32 v9, 0xffff, v3
.LBB111_328:
	;; [unrolled: 35-line block ×3, first 2 shown]
	s_or_b32 exec_lo, exec_lo, s1
	s_wait_dscnt 0x0
	v_dual_lshlrev_b32 v8, 2, v2 :: v_dual_add_nc_u32 v11, 16, v2
	s_mov_b32 s1, exec_lo
	s_delay_alu instid0(VALU_DEP_1)
	v_or_b32_e32 v10, 64, v8
	ds_bpermute_b32 v10, v10, v9
	v_cmpx_lt_u32_e64 v11, v7
	s_cbranch_execz .LBB111_340
; %bb.335:
	v_lshlrev_b32_e32 v7, 16, v9
	s_mov_b32 s2, exec_lo
	s_delay_alu instid0(VALU_DEP_1)
	v_cmpx_o_f32_e32 v7, v7
	s_cbranch_execz .LBB111_339
; %bb.336:
	s_wait_dscnt 0x0
	v_lshlrev_b32_e32 v9, 16, v10
	s_mov_b32 s3, exec_lo
	s_delay_alu instid0(VALU_DEP_1)
	v_cmpx_o_f32_e32 v9, v9
; %bb.337:
	v_cmp_lt_f32_e32 vcc_lo, v7, v9
	v_cndmask_b32_e32 v10, v3, v10, vcc_lo
; %bb.338:
	s_or_b32 exec_lo, exec_lo, s3
	s_delay_alu instid0(VALU_DEP_1)
	v_mov_b32_e32 v3, v10
.LBB111_339:
	s_or_b32 exec_lo, exec_lo, s2
.LBB111_340:
	s_delay_alu instid0(SALU_CYCLE_1) | instskip(NEXT) | instid1(SALU_CYCLE_1)
	s_or_b32 exec_lo, exec_lo, s1
	s_mov_b32 s1, exec_lo
	v_cmpx_eq_u32_e32 0, v2
; %bb.341:
	v_lshlrev_b32_e32 v7, 1, v4
	ds_store_b16 v7, v3
; %bb.342:
	s_or_b32 exec_lo, exec_lo, s1
	s_delay_alu instid0(SALU_CYCLE_1)
	s_mov_b32 s1, exec_lo
	s_wait_dscnt 0x0
	s_barrier_signal -1
	s_barrier_wait -1
	v_cmpx_gt_u32_e32 8, v0
	s_cbranch_execz .LBB111_362
; %bb.343:
	v_dual_lshlrev_b32 v3, 1, v2 :: v_dual_bitop2_b32 v7, 7, v2 bitop3:0x40
	s_add_co_i32 s0, s0, 31
	s_mov_b32 s2, exec_lo
	s_lshr_b32 s0, s0, 5
	ds_load_u16 v3, v3
	v_cmp_ne_u32_e32 vcc_lo, 7, v7
	v_add_nc_u32_e32 v11, 1, v7
	v_add_co_ci_u32_e64 v9, null, 0, v2, vcc_lo
	s_delay_alu instid0(VALU_DEP_1)
	v_lshlrev_b32_e32 v10, 2, v9
	s_wait_dscnt 0x0
	v_and_b32_e32 v9, 0xffff, v3
	ds_bpermute_b32 v10, v10, v9
	v_cmpx_gt_u32_e64 s0, v11
	s_cbranch_execz .LBB111_349
; %bb.344:
	v_lshlrev_b32_e32 v9, 16, v9
	s_mov_b32 s3, exec_lo
	s_delay_alu instid0(VALU_DEP_1)
	v_cmpx_o_f32_e32 v9, v9
	s_cbranch_execz .LBB111_348
; %bb.345:
	s_wait_dscnt 0x0
	v_lshlrev_b32_e32 v11, 16, v10
	s_mov_b32 s4, exec_lo
	s_delay_alu instid0(VALU_DEP_1)
	v_cmpx_o_f32_e32 v11, v11
; %bb.346:
	v_cmp_lt_f32_e32 vcc_lo, v9, v11
	v_cndmask_b32_e32 v10, v3, v10, vcc_lo
; %bb.347:
	s_or_b32 exec_lo, exec_lo, s4
	s_delay_alu instid0(VALU_DEP_1)
	v_mov_b32_e32 v3, v10
.LBB111_348:
	s_or_b32 exec_lo, exec_lo, s3
	s_delay_alu instid0(VALU_DEP_1)
	v_and_b32_e32 v9, 0xffff, v3
.LBB111_349:
	s_or_b32 exec_lo, exec_lo, s2
	v_cmp_gt_u32_e32 vcc_lo, 6, v7
	v_add_nc_u32_e32 v11, 2, v7
	s_mov_b32 s2, exec_lo
	s_wait_dscnt 0x0
	v_cndmask_b32_e64 v10, 0, 2, vcc_lo
	s_delay_alu instid0(VALU_DEP_1)
	v_add_lshl_u32 v10, v10, v2, 2
	ds_bpermute_b32 v10, v10, v9
	v_cmpx_gt_u32_e64 s0, v11
	s_cbranch_execz .LBB111_355
; %bb.350:
	v_lshlrev_b32_e32 v9, 16, v9
	s_mov_b32 s3, exec_lo
	s_delay_alu instid0(VALU_DEP_1)
	v_cmpx_o_f32_e32 v9, v9
	s_cbranch_execz .LBB111_354
; %bb.351:
	s_wait_dscnt 0x0
	v_lshlrev_b32_e32 v11, 16, v10
	s_mov_b32 s4, exec_lo
	s_delay_alu instid0(VALU_DEP_1)
	v_cmpx_o_f32_e32 v11, v11
; %bb.352:
	v_cmp_lt_f32_e32 vcc_lo, v9, v11
	v_cndmask_b32_e32 v10, v3, v10, vcc_lo
; %bb.353:
	s_or_b32 exec_lo, exec_lo, s4
	s_delay_alu instid0(VALU_DEP_1)
	v_mov_b32_e32 v3, v10
.LBB111_354:
	s_or_b32 exec_lo, exec_lo, s3
	s_delay_alu instid0(VALU_DEP_1)
	v_and_b32_e32 v9, 0xffff, v3
.LBB111_355:
	s_or_b32 exec_lo, exec_lo, s2
	v_dual_add_nc_u32 v7, 4, v7 :: v_dual_bitop2_b32 v8, 16, v8 bitop3:0x54
	ds_bpermute_b32 v8, v8, v9
	v_cmp_gt_u32_e32 vcc_lo, s0, v7
	s_and_saveexec_b32 s0, vcc_lo
	s_cbranch_execz .LBB111_361
; %bb.356:
	v_lshlrev_b32_e32 v7, 16, v9
	s_mov_b32 s2, exec_lo
	s_delay_alu instid0(VALU_DEP_1)
	v_cmpx_o_f32_e32 v7, v7
	s_cbranch_execz .LBB111_360
; %bb.357:
	s_wait_dscnt 0x0
	v_lshlrev_b32_e32 v9, 16, v8
	s_mov_b32 s3, exec_lo
	s_delay_alu instid0(VALU_DEP_1)
	v_cmpx_o_f32_e32 v9, v9
; %bb.358:
	v_cmp_lt_f32_e32 vcc_lo, v7, v9
	v_cndmask_b32_e32 v8, v3, v8, vcc_lo
; %bb.359:
	s_or_b32 exec_lo, exec_lo, s3
	s_delay_alu instid0(VALU_DEP_1)
	v_mov_b32_e32 v3, v8
.LBB111_360:
	s_or_b32 exec_lo, exec_lo, s2
.LBB111_361:
	s_delay_alu instid0(SALU_CYCLE_1)
	s_or_b32 exec_lo, exec_lo, s0
.LBB111_362:
	s_delay_alu instid0(SALU_CYCLE_1)
	s_or_b32 exec_lo, exec_lo, s1
	s_mov_b32 s1, 0
.LBB111_363:
	s_delay_alu instid0(SALU_CYCLE_1)
	s_and_b32 vcc_lo, exec_lo, s1
	s_cbranch_vccz .LBB111_401
; %bb.364:
	v_mov_b32_dpp v3, v6 quad_perm:[1,0,3,2] row_mask:0xf bank_mask:0xf
	s_mov_b32 s0, exec_lo
	s_delay_alu instid0(VALU_DEP_1) | instskip(NEXT) | instid1(VALU_DEP_1)
	v_lshlrev_b32_e32 v7, 16, v3
	v_cmpx_o_f32_e32 v7, v7
	s_cbranch_execz .LBB111_368
; %bb.365:
	v_lshlrev_b32_e32 v6, 16, v6
	s_mov_b32 s1, exec_lo
	s_delay_alu instid0(VALU_DEP_1)
	v_cmpx_o_f32_e32 v6, v6
; %bb.366:
	v_cmp_lt_f32_e32 vcc_lo, v7, v6
	v_cndmask_b32_e32 v5, v3, v5, vcc_lo
; %bb.367:
	s_or_b32 exec_lo, exec_lo, s1
	s_delay_alu instid0(VALU_DEP_1)
	v_mov_b32_e32 v3, v5
.LBB111_368:
	s_or_b32 exec_lo, exec_lo, s0
	s_delay_alu instid0(VALU_DEP_1) | instskip(SKIP_1) | instid1(VALU_DEP_1)
	v_and_b32_e32 v7, 0xffff, v3
	s_mov_b32 s0, exec_lo
	v_mov_b32_dpp v5, v7 quad_perm:[2,3,0,1] row_mask:0xf bank_mask:0xf
	s_delay_alu instid0(VALU_DEP_1) | instskip(NEXT) | instid1(VALU_DEP_1)
	v_lshlrev_b32_e32 v6, 16, v5
	v_cmpx_o_f32_e32 v6, v6
	s_cbranch_execz .LBB111_372
; %bb.369:
	v_lshlrev_b32_e32 v7, 16, v7
	s_mov_b32 s1, exec_lo
	s_delay_alu instid0(VALU_DEP_1)
	v_cmpx_o_f32_e32 v7, v7
; %bb.370:
	v_cmp_lt_f32_e32 vcc_lo, v6, v7
	v_cndmask_b32_e32 v3, v5, v3, vcc_lo
; %bb.371:
	s_or_b32 exec_lo, exec_lo, s1
	s_delay_alu instid0(VALU_DEP_1)
	v_mov_b32_e32 v5, v3
.LBB111_372:
	s_or_b32 exec_lo, exec_lo, s0
	s_delay_alu instid0(VALU_DEP_1) | instskip(SKIP_1) | instid1(VALU_DEP_1)
	v_and_b32_e32 v7, 0xffff, v5
	s_mov_b32 s0, exec_lo
	v_mov_b32_dpp v3, v7 row_ror:4 row_mask:0xf bank_mask:0xf
	s_delay_alu instid0(VALU_DEP_1) | instskip(NEXT) | instid1(VALU_DEP_1)
	v_lshlrev_b32_e32 v6, 16, v3
	v_cmpx_o_f32_e32 v6, v6
	s_cbranch_execz .LBB111_376
; %bb.373:
	v_lshlrev_b32_e32 v7, 16, v7
	s_mov_b32 s1, exec_lo
	s_delay_alu instid0(VALU_DEP_1)
	v_cmpx_o_f32_e32 v7, v7
; %bb.374:
	v_cmp_lt_f32_e32 vcc_lo, v6, v7
	v_cndmask_b32_e32 v5, v3, v5, vcc_lo
; %bb.375:
	s_or_b32 exec_lo, exec_lo, s1
	s_delay_alu instid0(VALU_DEP_1)
	v_mov_b32_e32 v3, v5
.LBB111_376:
	s_or_b32 exec_lo, exec_lo, s0
	s_delay_alu instid0(VALU_DEP_1) | instskip(SKIP_1) | instid1(VALU_DEP_1)
	v_and_b32_e32 v7, 0xffff, v3
	s_mov_b32 s0, exec_lo
	v_mov_b32_dpp v5, v7 row_ror:8 row_mask:0xf bank_mask:0xf
	s_delay_alu instid0(VALU_DEP_1) | instskip(NEXT) | instid1(VALU_DEP_1)
	v_lshlrev_b32_e32 v6, 16, v5
	v_cmpx_o_f32_e32 v6, v6
	s_cbranch_execz .LBB111_380
; %bb.377:
	v_lshlrev_b32_e32 v7, 16, v7
	s_mov_b32 s1, exec_lo
	s_delay_alu instid0(VALU_DEP_1)
	v_cmpx_o_f32_e32 v7, v7
; %bb.378:
	v_cmp_lt_f32_e32 vcc_lo, v6, v7
	v_cndmask_b32_e32 v3, v5, v3, vcc_lo
; %bb.379:
	s_or_b32 exec_lo, exec_lo, s1
	s_delay_alu instid0(VALU_DEP_1)
	v_mov_b32_e32 v5, v3
.LBB111_380:
	s_or_b32 exec_lo, exec_lo, s0
	s_delay_alu instid0(VALU_DEP_1) | instskip(SKIP_4) | instid1(VALU_DEP_1)
	v_and_b32_e32 v7, 0xffff, v5
	s_mov_b32 s0, exec_lo
	ds_swizzle_b32 v3, v7 offset:swizzle(BROADCAST,32,15)
	s_wait_dscnt 0x0
	v_lshlrev_b32_e32 v6, 16, v3
	v_cmpx_o_f32_e32 v6, v6
	s_cbranch_execz .LBB111_384
; %bb.381:
	v_lshlrev_b32_e32 v7, 16, v7
	s_mov_b32 s1, exec_lo
	s_delay_alu instid0(VALU_DEP_1)
	v_cmpx_o_f32_e32 v7, v7
; %bb.382:
	v_cmp_lt_f32_e32 vcc_lo, v6, v7
	v_cndmask_b32_e32 v5, v3, v5, vcc_lo
; %bb.383:
	s_or_b32 exec_lo, exec_lo, s1
	s_delay_alu instid0(VALU_DEP_1)
	v_mov_b32_e32 v3, v5
.LBB111_384:
	s_or_b32 exec_lo, exec_lo, s0
	s_delay_alu instid0(VALU_DEP_1)
	v_and_b32_e32 v3, 0xffff, v3
	v_mov_b32_e32 v5, 0
	s_mov_b32 s0, exec_lo
	ds_bpermute_b32 v3, v5, v3 offset:124
	v_cmpx_eq_u32_e32 0, v2
	s_cbranch_execz .LBB111_386
; %bb.385:
	v_lshlrev_b32_e32 v4, 1, v4
	s_wait_dscnt 0x0
	ds_store_b16 v4, v3
.LBB111_386:
	s_or_b32 exec_lo, exec_lo, s0
	s_delay_alu instid0(SALU_CYCLE_1)
	s_mov_b32 s0, exec_lo
	s_wait_dscnt 0x0
	s_barrier_signal -1
	s_barrier_wait -1
	v_cmpx_gt_u32_e32 32, v0
	s_cbranch_execz .LBB111_400
; %bb.387:
	v_and_b32_e32 v4, 7, v2
	s_mov_b32 s1, exec_lo
	s_delay_alu instid0(VALU_DEP_1) | instskip(SKIP_1) | instid1(VALU_DEP_1)
	v_cmp_ne_u32_e32 vcc_lo, 7, v4
	v_add_co_ci_u32_e64 v5, null, 0, v2, vcc_lo
	v_dual_lshlrev_b32 v5, 2, v5 :: v_dual_lshlrev_b32 v3, 1, v4
	ds_load_u16 v3, v3
	s_wait_dscnt 0x0
	v_and_b32_e32 v6, 0xffff, v3
	ds_bpermute_b32 v5, v5, v6
	v_lshlrev_b32_e32 v6, 16, v3
	s_delay_alu instid0(VALU_DEP_1)
	v_cmpx_o_f32_e32 v6, v6
	s_cbranch_execz .LBB111_391
; %bb.388:
	s_wait_dscnt 0x0
	v_lshlrev_b32_e32 v7, 16, v5
	s_mov_b32 s2, exec_lo
	s_delay_alu instid0(VALU_DEP_1)
	v_cmpx_o_f32_e32 v7, v7
; %bb.389:
	v_cmp_lt_f32_e32 vcc_lo, v6, v7
	v_cndmask_b32_e32 v5, v3, v5, vcc_lo
; %bb.390:
	s_or_b32 exec_lo, exec_lo, s2
	s_delay_alu instid0(VALU_DEP_1)
	v_mov_b32_e32 v3, v5
.LBB111_391:
	s_or_b32 exec_lo, exec_lo, s1
	v_cmp_gt_u32_e32 vcc_lo, 6, v4
	s_wait_dscnt 0x0
	s_delay_alu instid0(VALU_DEP_2) | instskip(SKIP_2) | instid1(VALU_DEP_1)
	v_and_b32_e32 v5, 0xffff, v3
	s_mov_b32 s1, exec_lo
	v_cndmask_b32_e64 v4, 0, 2, vcc_lo
	v_add_lshl_u32 v4, v4, v2, 2
	v_lshlrev_b32_e32 v2, 2, v2
	ds_bpermute_b32 v4, v4, v5
	v_lshlrev_b32_e32 v5, 16, v3
	s_delay_alu instid0(VALU_DEP_1)
	v_cmpx_o_f32_e32 v5, v5
	s_cbranch_execz .LBB111_395
; %bb.392:
	s_wait_dscnt 0x0
	v_lshlrev_b32_e32 v6, 16, v4
	s_mov_b32 s2, exec_lo
	s_delay_alu instid0(VALU_DEP_1)
	v_cmpx_o_f32_e32 v6, v6
; %bb.393:
	v_cmp_lt_f32_e32 vcc_lo, v5, v6
	v_cndmask_b32_e32 v4, v3, v4, vcc_lo
; %bb.394:
	s_or_b32 exec_lo, exec_lo, s2
	s_delay_alu instid0(VALU_DEP_1)
	v_mov_b32_e32 v3, v4
.LBB111_395:
	s_or_b32 exec_lo, exec_lo, s1
	v_or_b32_e32 v2, 16, v2
	s_wait_dscnt 0x0
	s_delay_alu instid0(VALU_DEP_2) | instskip(SKIP_3) | instid1(VALU_DEP_1)
	v_and_b32_e32 v4, 0xffff, v3
	s_mov_b32 s1, exec_lo
	ds_bpermute_b32 v2, v2, v4
	v_lshlrev_b32_e32 v4, 16, v3
	v_cmpx_o_f32_e32 v4, v4
	s_cbranch_execz .LBB111_399
; %bb.396:
	s_wait_dscnt 0x0
	v_lshlrev_b32_e32 v5, 16, v2
	s_mov_b32 s2, exec_lo
	s_delay_alu instid0(VALU_DEP_1)
	v_cmpx_o_f32_e32 v5, v5
; %bb.397:
	v_cmp_lt_f32_e32 vcc_lo, v4, v5
	v_cndmask_b32_e32 v2, v3, v2, vcc_lo
; %bb.398:
	s_or_b32 exec_lo, exec_lo, s2
	s_delay_alu instid0(VALU_DEP_1)
	v_mov_b32_e32 v3, v2
.LBB111_399:
	s_or_b32 exec_lo, exec_lo, s1
.LBB111_400:
	s_delay_alu instid0(SALU_CYCLE_1)
	s_or_b32 exec_lo, exec_lo, s0
.LBB111_401:
	s_delay_alu instid0(SALU_CYCLE_1)
	s_mov_b32 s0, exec_lo
	v_cmpx_eq_u32_e32 0, v0
	s_cbranch_execz .LBB111_407
; %bb.402:
	s_wait_loadcnt 0x0
	v_lshlrev_b32_e32 v0, 16, v1
	s_delay_alu instid0(VALU_DEP_1)
	v_cmp_u_f32_e32 vcc_lo, v0, v0
	s_cbranch_vccnz .LBB111_406
; %bb.403:
	s_wait_dscnt 0x0
	v_lshlrev_b32_e32 v2, 16, v3
	s_mov_b32 s1, exec_lo
	s_delay_alu instid0(VALU_DEP_1)
	v_cmpx_o_f32_e32 v2, v2
; %bb.404:
	v_cmp_lt_f32_e32 vcc_lo, v0, v2
	v_cndmask_b32_e32 v3, v1, v3, vcc_lo
; %bb.405:
	s_or_b32 exec_lo, exec_lo, s1
	s_delay_alu instid0(VALU_DEP_1)
	v_mov_b32_e32 v1, v3
.LBB111_406:
	s_or_b32 s15, s15, exec_lo
.LBB111_407:
	s_or_b32 exec_lo, exec_lo, s0
	s_and_saveexec_b32 s0, s15
	s_cbranch_execz .LBB111_3
.LBB111_408:
	s_lshl_b64 s[0:1], s[20:21], 1
	v_mov_b32_e32 v0, 0
	s_add_nc_u64 s[0:1], s[18:19], s[0:1]
	s_lshl_b64 s[2:3], s[22:23], 1
	s_delay_alu instid0(SALU_CYCLE_1)
	s_add_nc_u64 s[0:1], s[0:1], s[2:3]
	s_wait_loadcnt 0x0
	global_store_b16 v0, v1, s[0:1]
	s_endpgm
	.section	.rodata,"a",@progbits
	.p2align	6, 0x0
	.amdhsa_kernel _ZN7rocprim17ROCPRIM_400000_NS6detail17trampoline_kernelINS0_14default_configENS1_32segmented_reduce_config_selectorIN3c108BFloat16EEEZNS1_21segmented_reduce_implIS3_PKS6_PS6_PKiS6_N6hipcub16HIPCUB_304000_NS6detail27convert_result_type_wrapperISA_SB_N2at6native12_GLOBAL__N_19CustomMaxEEEEE10hipError_tPvRmT0_T1_jT2_SS_T4_T3_P12ihipStream_tbEUlT_E_NS1_11comp_targetILNS1_3genE0ELNS1_11target_archE4294967295ELNS1_3gpuE0ELNS1_3repE0EEENS1_30default_config_static_selectorELNS0_4arch9wavefront6targetE0EEEvSR_
		.amdhsa_group_segment_fixed_size 16
		.amdhsa_private_segment_fixed_size 0
		.amdhsa_kernarg_size 48
		.amdhsa_user_sgpr_count 2
		.amdhsa_user_sgpr_dispatch_ptr 0
		.amdhsa_user_sgpr_queue_ptr 0
		.amdhsa_user_sgpr_kernarg_segment_ptr 1
		.amdhsa_user_sgpr_dispatch_id 0
		.amdhsa_user_sgpr_kernarg_preload_length 0
		.amdhsa_user_sgpr_kernarg_preload_offset 0
		.amdhsa_user_sgpr_private_segment_size 0
		.amdhsa_wavefront_size32 1
		.amdhsa_uses_dynamic_stack 0
		.amdhsa_enable_private_segment 0
		.amdhsa_system_sgpr_workgroup_id_x 1
		.amdhsa_system_sgpr_workgroup_id_y 0
		.amdhsa_system_sgpr_workgroup_id_z 0
		.amdhsa_system_sgpr_workgroup_info 0
		.amdhsa_system_vgpr_workitem_id 0
		.amdhsa_next_free_vgpr 24
		.amdhsa_next_free_sgpr 30
		.amdhsa_named_barrier_count 0
		.amdhsa_reserve_vcc 1
		.amdhsa_float_round_mode_32 0
		.amdhsa_float_round_mode_16_64 0
		.amdhsa_float_denorm_mode_32 3
		.amdhsa_float_denorm_mode_16_64 3
		.amdhsa_fp16_overflow 0
		.amdhsa_memory_ordered 1
		.amdhsa_forward_progress 1
		.amdhsa_inst_pref_size 70
		.amdhsa_round_robin_scheduling 0
		.amdhsa_exception_fp_ieee_invalid_op 0
		.amdhsa_exception_fp_denorm_src 0
		.amdhsa_exception_fp_ieee_div_zero 0
		.amdhsa_exception_fp_ieee_overflow 0
		.amdhsa_exception_fp_ieee_underflow 0
		.amdhsa_exception_fp_ieee_inexact 0
		.amdhsa_exception_int_div_zero 0
	.end_amdhsa_kernel
	.section	.text._ZN7rocprim17ROCPRIM_400000_NS6detail17trampoline_kernelINS0_14default_configENS1_32segmented_reduce_config_selectorIN3c108BFloat16EEEZNS1_21segmented_reduce_implIS3_PKS6_PS6_PKiS6_N6hipcub16HIPCUB_304000_NS6detail27convert_result_type_wrapperISA_SB_N2at6native12_GLOBAL__N_19CustomMaxEEEEE10hipError_tPvRmT0_T1_jT2_SS_T4_T3_P12ihipStream_tbEUlT_E_NS1_11comp_targetILNS1_3genE0ELNS1_11target_archE4294967295ELNS1_3gpuE0ELNS1_3repE0EEENS1_30default_config_static_selectorELNS0_4arch9wavefront6targetE0EEEvSR_,"axG",@progbits,_ZN7rocprim17ROCPRIM_400000_NS6detail17trampoline_kernelINS0_14default_configENS1_32segmented_reduce_config_selectorIN3c108BFloat16EEEZNS1_21segmented_reduce_implIS3_PKS6_PS6_PKiS6_N6hipcub16HIPCUB_304000_NS6detail27convert_result_type_wrapperISA_SB_N2at6native12_GLOBAL__N_19CustomMaxEEEEE10hipError_tPvRmT0_T1_jT2_SS_T4_T3_P12ihipStream_tbEUlT_E_NS1_11comp_targetILNS1_3genE0ELNS1_11target_archE4294967295ELNS1_3gpuE0ELNS1_3repE0EEENS1_30default_config_static_selectorELNS0_4arch9wavefront6targetE0EEEvSR_,comdat
.Lfunc_end111:
	.size	_ZN7rocprim17ROCPRIM_400000_NS6detail17trampoline_kernelINS0_14default_configENS1_32segmented_reduce_config_selectorIN3c108BFloat16EEEZNS1_21segmented_reduce_implIS3_PKS6_PS6_PKiS6_N6hipcub16HIPCUB_304000_NS6detail27convert_result_type_wrapperISA_SB_N2at6native12_GLOBAL__N_19CustomMaxEEEEE10hipError_tPvRmT0_T1_jT2_SS_T4_T3_P12ihipStream_tbEUlT_E_NS1_11comp_targetILNS1_3genE0ELNS1_11target_archE4294967295ELNS1_3gpuE0ELNS1_3repE0EEENS1_30default_config_static_selectorELNS0_4arch9wavefront6targetE0EEEvSR_, .Lfunc_end111-_ZN7rocprim17ROCPRIM_400000_NS6detail17trampoline_kernelINS0_14default_configENS1_32segmented_reduce_config_selectorIN3c108BFloat16EEEZNS1_21segmented_reduce_implIS3_PKS6_PS6_PKiS6_N6hipcub16HIPCUB_304000_NS6detail27convert_result_type_wrapperISA_SB_N2at6native12_GLOBAL__N_19CustomMaxEEEEE10hipError_tPvRmT0_T1_jT2_SS_T4_T3_P12ihipStream_tbEUlT_E_NS1_11comp_targetILNS1_3genE0ELNS1_11target_archE4294967295ELNS1_3gpuE0ELNS1_3repE0EEENS1_30default_config_static_selectorELNS0_4arch9wavefront6targetE0EEEvSR_
                                        ; -- End function
	.set _ZN7rocprim17ROCPRIM_400000_NS6detail17trampoline_kernelINS0_14default_configENS1_32segmented_reduce_config_selectorIN3c108BFloat16EEEZNS1_21segmented_reduce_implIS3_PKS6_PS6_PKiS6_N6hipcub16HIPCUB_304000_NS6detail27convert_result_type_wrapperISA_SB_N2at6native12_GLOBAL__N_19CustomMaxEEEEE10hipError_tPvRmT0_T1_jT2_SS_T4_T3_P12ihipStream_tbEUlT_E_NS1_11comp_targetILNS1_3genE0ELNS1_11target_archE4294967295ELNS1_3gpuE0ELNS1_3repE0EEENS1_30default_config_static_selectorELNS0_4arch9wavefront6targetE0EEEvSR_.num_vgpr, 24
	.set _ZN7rocprim17ROCPRIM_400000_NS6detail17trampoline_kernelINS0_14default_configENS1_32segmented_reduce_config_selectorIN3c108BFloat16EEEZNS1_21segmented_reduce_implIS3_PKS6_PS6_PKiS6_N6hipcub16HIPCUB_304000_NS6detail27convert_result_type_wrapperISA_SB_N2at6native12_GLOBAL__N_19CustomMaxEEEEE10hipError_tPvRmT0_T1_jT2_SS_T4_T3_P12ihipStream_tbEUlT_E_NS1_11comp_targetILNS1_3genE0ELNS1_11target_archE4294967295ELNS1_3gpuE0ELNS1_3repE0EEENS1_30default_config_static_selectorELNS0_4arch9wavefront6targetE0EEEvSR_.num_agpr, 0
	.set _ZN7rocprim17ROCPRIM_400000_NS6detail17trampoline_kernelINS0_14default_configENS1_32segmented_reduce_config_selectorIN3c108BFloat16EEEZNS1_21segmented_reduce_implIS3_PKS6_PS6_PKiS6_N6hipcub16HIPCUB_304000_NS6detail27convert_result_type_wrapperISA_SB_N2at6native12_GLOBAL__N_19CustomMaxEEEEE10hipError_tPvRmT0_T1_jT2_SS_T4_T3_P12ihipStream_tbEUlT_E_NS1_11comp_targetILNS1_3genE0ELNS1_11target_archE4294967295ELNS1_3gpuE0ELNS1_3repE0EEENS1_30default_config_static_selectorELNS0_4arch9wavefront6targetE0EEEvSR_.numbered_sgpr, 30
	.set _ZN7rocprim17ROCPRIM_400000_NS6detail17trampoline_kernelINS0_14default_configENS1_32segmented_reduce_config_selectorIN3c108BFloat16EEEZNS1_21segmented_reduce_implIS3_PKS6_PS6_PKiS6_N6hipcub16HIPCUB_304000_NS6detail27convert_result_type_wrapperISA_SB_N2at6native12_GLOBAL__N_19CustomMaxEEEEE10hipError_tPvRmT0_T1_jT2_SS_T4_T3_P12ihipStream_tbEUlT_E_NS1_11comp_targetILNS1_3genE0ELNS1_11target_archE4294967295ELNS1_3gpuE0ELNS1_3repE0EEENS1_30default_config_static_selectorELNS0_4arch9wavefront6targetE0EEEvSR_.num_named_barrier, 0
	.set _ZN7rocprim17ROCPRIM_400000_NS6detail17trampoline_kernelINS0_14default_configENS1_32segmented_reduce_config_selectorIN3c108BFloat16EEEZNS1_21segmented_reduce_implIS3_PKS6_PS6_PKiS6_N6hipcub16HIPCUB_304000_NS6detail27convert_result_type_wrapperISA_SB_N2at6native12_GLOBAL__N_19CustomMaxEEEEE10hipError_tPvRmT0_T1_jT2_SS_T4_T3_P12ihipStream_tbEUlT_E_NS1_11comp_targetILNS1_3genE0ELNS1_11target_archE4294967295ELNS1_3gpuE0ELNS1_3repE0EEENS1_30default_config_static_selectorELNS0_4arch9wavefront6targetE0EEEvSR_.private_seg_size, 0
	.set _ZN7rocprim17ROCPRIM_400000_NS6detail17trampoline_kernelINS0_14default_configENS1_32segmented_reduce_config_selectorIN3c108BFloat16EEEZNS1_21segmented_reduce_implIS3_PKS6_PS6_PKiS6_N6hipcub16HIPCUB_304000_NS6detail27convert_result_type_wrapperISA_SB_N2at6native12_GLOBAL__N_19CustomMaxEEEEE10hipError_tPvRmT0_T1_jT2_SS_T4_T3_P12ihipStream_tbEUlT_E_NS1_11comp_targetILNS1_3genE0ELNS1_11target_archE4294967295ELNS1_3gpuE0ELNS1_3repE0EEENS1_30default_config_static_selectorELNS0_4arch9wavefront6targetE0EEEvSR_.uses_vcc, 1
	.set _ZN7rocprim17ROCPRIM_400000_NS6detail17trampoline_kernelINS0_14default_configENS1_32segmented_reduce_config_selectorIN3c108BFloat16EEEZNS1_21segmented_reduce_implIS3_PKS6_PS6_PKiS6_N6hipcub16HIPCUB_304000_NS6detail27convert_result_type_wrapperISA_SB_N2at6native12_GLOBAL__N_19CustomMaxEEEEE10hipError_tPvRmT0_T1_jT2_SS_T4_T3_P12ihipStream_tbEUlT_E_NS1_11comp_targetILNS1_3genE0ELNS1_11target_archE4294967295ELNS1_3gpuE0ELNS1_3repE0EEENS1_30default_config_static_selectorELNS0_4arch9wavefront6targetE0EEEvSR_.uses_flat_scratch, 0
	.set _ZN7rocprim17ROCPRIM_400000_NS6detail17trampoline_kernelINS0_14default_configENS1_32segmented_reduce_config_selectorIN3c108BFloat16EEEZNS1_21segmented_reduce_implIS3_PKS6_PS6_PKiS6_N6hipcub16HIPCUB_304000_NS6detail27convert_result_type_wrapperISA_SB_N2at6native12_GLOBAL__N_19CustomMaxEEEEE10hipError_tPvRmT0_T1_jT2_SS_T4_T3_P12ihipStream_tbEUlT_E_NS1_11comp_targetILNS1_3genE0ELNS1_11target_archE4294967295ELNS1_3gpuE0ELNS1_3repE0EEENS1_30default_config_static_selectorELNS0_4arch9wavefront6targetE0EEEvSR_.has_dyn_sized_stack, 0
	.set _ZN7rocprim17ROCPRIM_400000_NS6detail17trampoline_kernelINS0_14default_configENS1_32segmented_reduce_config_selectorIN3c108BFloat16EEEZNS1_21segmented_reduce_implIS3_PKS6_PS6_PKiS6_N6hipcub16HIPCUB_304000_NS6detail27convert_result_type_wrapperISA_SB_N2at6native12_GLOBAL__N_19CustomMaxEEEEE10hipError_tPvRmT0_T1_jT2_SS_T4_T3_P12ihipStream_tbEUlT_E_NS1_11comp_targetILNS1_3genE0ELNS1_11target_archE4294967295ELNS1_3gpuE0ELNS1_3repE0EEENS1_30default_config_static_selectorELNS0_4arch9wavefront6targetE0EEEvSR_.has_recursion, 0
	.set _ZN7rocprim17ROCPRIM_400000_NS6detail17trampoline_kernelINS0_14default_configENS1_32segmented_reduce_config_selectorIN3c108BFloat16EEEZNS1_21segmented_reduce_implIS3_PKS6_PS6_PKiS6_N6hipcub16HIPCUB_304000_NS6detail27convert_result_type_wrapperISA_SB_N2at6native12_GLOBAL__N_19CustomMaxEEEEE10hipError_tPvRmT0_T1_jT2_SS_T4_T3_P12ihipStream_tbEUlT_E_NS1_11comp_targetILNS1_3genE0ELNS1_11target_archE4294967295ELNS1_3gpuE0ELNS1_3repE0EEENS1_30default_config_static_selectorELNS0_4arch9wavefront6targetE0EEEvSR_.has_indirect_call, 0
	.section	.AMDGPU.csdata,"",@progbits
; Kernel info:
; codeLenInByte = 8912
; TotalNumSgprs: 32
; NumVgprs: 24
; ScratchSize: 0
; MemoryBound: 0
; FloatMode: 240
; IeeeMode: 1
; LDSByteSize: 16 bytes/workgroup (compile time only)
; SGPRBlocks: 0
; VGPRBlocks: 1
; NumSGPRsForWavesPerEU: 32
; NumVGPRsForWavesPerEU: 24
; NamedBarCnt: 0
; Occupancy: 16
; WaveLimiterHint : 1
; COMPUTE_PGM_RSRC2:SCRATCH_EN: 0
; COMPUTE_PGM_RSRC2:USER_SGPR: 2
; COMPUTE_PGM_RSRC2:TRAP_HANDLER: 0
; COMPUTE_PGM_RSRC2:TGID_X_EN: 1
; COMPUTE_PGM_RSRC2:TGID_Y_EN: 0
; COMPUTE_PGM_RSRC2:TGID_Z_EN: 0
; COMPUTE_PGM_RSRC2:TIDIG_COMP_CNT: 0
	.section	.text._ZN7rocprim17ROCPRIM_400000_NS6detail17trampoline_kernelINS0_14default_configENS1_32segmented_reduce_config_selectorIN3c108BFloat16EEEZNS1_21segmented_reduce_implIS3_PKS6_PS6_PKiS6_N6hipcub16HIPCUB_304000_NS6detail27convert_result_type_wrapperISA_SB_N2at6native12_GLOBAL__N_19CustomMaxEEEEE10hipError_tPvRmT0_T1_jT2_SS_T4_T3_P12ihipStream_tbEUlT_E_NS1_11comp_targetILNS1_3genE5ELNS1_11target_archE942ELNS1_3gpuE9ELNS1_3repE0EEENS1_30default_config_static_selectorELNS0_4arch9wavefront6targetE0EEEvSR_,"axG",@progbits,_ZN7rocprim17ROCPRIM_400000_NS6detail17trampoline_kernelINS0_14default_configENS1_32segmented_reduce_config_selectorIN3c108BFloat16EEEZNS1_21segmented_reduce_implIS3_PKS6_PS6_PKiS6_N6hipcub16HIPCUB_304000_NS6detail27convert_result_type_wrapperISA_SB_N2at6native12_GLOBAL__N_19CustomMaxEEEEE10hipError_tPvRmT0_T1_jT2_SS_T4_T3_P12ihipStream_tbEUlT_E_NS1_11comp_targetILNS1_3genE5ELNS1_11target_archE942ELNS1_3gpuE9ELNS1_3repE0EEENS1_30default_config_static_selectorELNS0_4arch9wavefront6targetE0EEEvSR_,comdat
	.globl	_ZN7rocprim17ROCPRIM_400000_NS6detail17trampoline_kernelINS0_14default_configENS1_32segmented_reduce_config_selectorIN3c108BFloat16EEEZNS1_21segmented_reduce_implIS3_PKS6_PS6_PKiS6_N6hipcub16HIPCUB_304000_NS6detail27convert_result_type_wrapperISA_SB_N2at6native12_GLOBAL__N_19CustomMaxEEEEE10hipError_tPvRmT0_T1_jT2_SS_T4_T3_P12ihipStream_tbEUlT_E_NS1_11comp_targetILNS1_3genE5ELNS1_11target_archE942ELNS1_3gpuE9ELNS1_3repE0EEENS1_30default_config_static_selectorELNS0_4arch9wavefront6targetE0EEEvSR_ ; -- Begin function _ZN7rocprim17ROCPRIM_400000_NS6detail17trampoline_kernelINS0_14default_configENS1_32segmented_reduce_config_selectorIN3c108BFloat16EEEZNS1_21segmented_reduce_implIS3_PKS6_PS6_PKiS6_N6hipcub16HIPCUB_304000_NS6detail27convert_result_type_wrapperISA_SB_N2at6native12_GLOBAL__N_19CustomMaxEEEEE10hipError_tPvRmT0_T1_jT2_SS_T4_T3_P12ihipStream_tbEUlT_E_NS1_11comp_targetILNS1_3genE5ELNS1_11target_archE942ELNS1_3gpuE9ELNS1_3repE0EEENS1_30default_config_static_selectorELNS0_4arch9wavefront6targetE0EEEvSR_
	.p2align	8
	.type	_ZN7rocprim17ROCPRIM_400000_NS6detail17trampoline_kernelINS0_14default_configENS1_32segmented_reduce_config_selectorIN3c108BFloat16EEEZNS1_21segmented_reduce_implIS3_PKS6_PS6_PKiS6_N6hipcub16HIPCUB_304000_NS6detail27convert_result_type_wrapperISA_SB_N2at6native12_GLOBAL__N_19CustomMaxEEEEE10hipError_tPvRmT0_T1_jT2_SS_T4_T3_P12ihipStream_tbEUlT_E_NS1_11comp_targetILNS1_3genE5ELNS1_11target_archE942ELNS1_3gpuE9ELNS1_3repE0EEENS1_30default_config_static_selectorELNS0_4arch9wavefront6targetE0EEEvSR_,@function
_ZN7rocprim17ROCPRIM_400000_NS6detail17trampoline_kernelINS0_14default_configENS1_32segmented_reduce_config_selectorIN3c108BFloat16EEEZNS1_21segmented_reduce_implIS3_PKS6_PS6_PKiS6_N6hipcub16HIPCUB_304000_NS6detail27convert_result_type_wrapperISA_SB_N2at6native12_GLOBAL__N_19CustomMaxEEEEE10hipError_tPvRmT0_T1_jT2_SS_T4_T3_P12ihipStream_tbEUlT_E_NS1_11comp_targetILNS1_3genE5ELNS1_11target_archE942ELNS1_3gpuE9ELNS1_3repE0EEENS1_30default_config_static_selectorELNS0_4arch9wavefront6targetE0EEEvSR_: ; @_ZN7rocprim17ROCPRIM_400000_NS6detail17trampoline_kernelINS0_14default_configENS1_32segmented_reduce_config_selectorIN3c108BFloat16EEEZNS1_21segmented_reduce_implIS3_PKS6_PS6_PKiS6_N6hipcub16HIPCUB_304000_NS6detail27convert_result_type_wrapperISA_SB_N2at6native12_GLOBAL__N_19CustomMaxEEEEE10hipError_tPvRmT0_T1_jT2_SS_T4_T3_P12ihipStream_tbEUlT_E_NS1_11comp_targetILNS1_3genE5ELNS1_11target_archE942ELNS1_3gpuE9ELNS1_3repE0EEENS1_30default_config_static_selectorELNS0_4arch9wavefront6targetE0EEEvSR_
; %bb.0:
	.section	.rodata,"a",@progbits
	.p2align	6, 0x0
	.amdhsa_kernel _ZN7rocprim17ROCPRIM_400000_NS6detail17trampoline_kernelINS0_14default_configENS1_32segmented_reduce_config_selectorIN3c108BFloat16EEEZNS1_21segmented_reduce_implIS3_PKS6_PS6_PKiS6_N6hipcub16HIPCUB_304000_NS6detail27convert_result_type_wrapperISA_SB_N2at6native12_GLOBAL__N_19CustomMaxEEEEE10hipError_tPvRmT0_T1_jT2_SS_T4_T3_P12ihipStream_tbEUlT_E_NS1_11comp_targetILNS1_3genE5ELNS1_11target_archE942ELNS1_3gpuE9ELNS1_3repE0EEENS1_30default_config_static_selectorELNS0_4arch9wavefront6targetE0EEEvSR_
		.amdhsa_group_segment_fixed_size 0
		.amdhsa_private_segment_fixed_size 0
		.amdhsa_kernarg_size 48
		.amdhsa_user_sgpr_count 2
		.amdhsa_user_sgpr_dispatch_ptr 0
		.amdhsa_user_sgpr_queue_ptr 0
		.amdhsa_user_sgpr_kernarg_segment_ptr 1
		.amdhsa_user_sgpr_dispatch_id 0
		.amdhsa_user_sgpr_kernarg_preload_length 0
		.amdhsa_user_sgpr_kernarg_preload_offset 0
		.amdhsa_user_sgpr_private_segment_size 0
		.amdhsa_wavefront_size32 1
		.amdhsa_uses_dynamic_stack 0
		.amdhsa_enable_private_segment 0
		.amdhsa_system_sgpr_workgroup_id_x 1
		.amdhsa_system_sgpr_workgroup_id_y 0
		.amdhsa_system_sgpr_workgroup_id_z 0
		.amdhsa_system_sgpr_workgroup_info 0
		.amdhsa_system_vgpr_workitem_id 0
		.amdhsa_next_free_vgpr 1
		.amdhsa_next_free_sgpr 1
		.amdhsa_named_barrier_count 0
		.amdhsa_reserve_vcc 0
		.amdhsa_float_round_mode_32 0
		.amdhsa_float_round_mode_16_64 0
		.amdhsa_float_denorm_mode_32 3
		.amdhsa_float_denorm_mode_16_64 3
		.amdhsa_fp16_overflow 0
		.amdhsa_memory_ordered 1
		.amdhsa_forward_progress 1
		.amdhsa_inst_pref_size 0
		.amdhsa_round_robin_scheduling 0
		.amdhsa_exception_fp_ieee_invalid_op 0
		.amdhsa_exception_fp_denorm_src 0
		.amdhsa_exception_fp_ieee_div_zero 0
		.amdhsa_exception_fp_ieee_overflow 0
		.amdhsa_exception_fp_ieee_underflow 0
		.amdhsa_exception_fp_ieee_inexact 0
		.amdhsa_exception_int_div_zero 0
	.end_amdhsa_kernel
	.section	.text._ZN7rocprim17ROCPRIM_400000_NS6detail17trampoline_kernelINS0_14default_configENS1_32segmented_reduce_config_selectorIN3c108BFloat16EEEZNS1_21segmented_reduce_implIS3_PKS6_PS6_PKiS6_N6hipcub16HIPCUB_304000_NS6detail27convert_result_type_wrapperISA_SB_N2at6native12_GLOBAL__N_19CustomMaxEEEEE10hipError_tPvRmT0_T1_jT2_SS_T4_T3_P12ihipStream_tbEUlT_E_NS1_11comp_targetILNS1_3genE5ELNS1_11target_archE942ELNS1_3gpuE9ELNS1_3repE0EEENS1_30default_config_static_selectorELNS0_4arch9wavefront6targetE0EEEvSR_,"axG",@progbits,_ZN7rocprim17ROCPRIM_400000_NS6detail17trampoline_kernelINS0_14default_configENS1_32segmented_reduce_config_selectorIN3c108BFloat16EEEZNS1_21segmented_reduce_implIS3_PKS6_PS6_PKiS6_N6hipcub16HIPCUB_304000_NS6detail27convert_result_type_wrapperISA_SB_N2at6native12_GLOBAL__N_19CustomMaxEEEEE10hipError_tPvRmT0_T1_jT2_SS_T4_T3_P12ihipStream_tbEUlT_E_NS1_11comp_targetILNS1_3genE5ELNS1_11target_archE942ELNS1_3gpuE9ELNS1_3repE0EEENS1_30default_config_static_selectorELNS0_4arch9wavefront6targetE0EEEvSR_,comdat
.Lfunc_end112:
	.size	_ZN7rocprim17ROCPRIM_400000_NS6detail17trampoline_kernelINS0_14default_configENS1_32segmented_reduce_config_selectorIN3c108BFloat16EEEZNS1_21segmented_reduce_implIS3_PKS6_PS6_PKiS6_N6hipcub16HIPCUB_304000_NS6detail27convert_result_type_wrapperISA_SB_N2at6native12_GLOBAL__N_19CustomMaxEEEEE10hipError_tPvRmT0_T1_jT2_SS_T4_T3_P12ihipStream_tbEUlT_E_NS1_11comp_targetILNS1_3genE5ELNS1_11target_archE942ELNS1_3gpuE9ELNS1_3repE0EEENS1_30default_config_static_selectorELNS0_4arch9wavefront6targetE0EEEvSR_, .Lfunc_end112-_ZN7rocprim17ROCPRIM_400000_NS6detail17trampoline_kernelINS0_14default_configENS1_32segmented_reduce_config_selectorIN3c108BFloat16EEEZNS1_21segmented_reduce_implIS3_PKS6_PS6_PKiS6_N6hipcub16HIPCUB_304000_NS6detail27convert_result_type_wrapperISA_SB_N2at6native12_GLOBAL__N_19CustomMaxEEEEE10hipError_tPvRmT0_T1_jT2_SS_T4_T3_P12ihipStream_tbEUlT_E_NS1_11comp_targetILNS1_3genE5ELNS1_11target_archE942ELNS1_3gpuE9ELNS1_3repE0EEENS1_30default_config_static_selectorELNS0_4arch9wavefront6targetE0EEEvSR_
                                        ; -- End function
	.set _ZN7rocprim17ROCPRIM_400000_NS6detail17trampoline_kernelINS0_14default_configENS1_32segmented_reduce_config_selectorIN3c108BFloat16EEEZNS1_21segmented_reduce_implIS3_PKS6_PS6_PKiS6_N6hipcub16HIPCUB_304000_NS6detail27convert_result_type_wrapperISA_SB_N2at6native12_GLOBAL__N_19CustomMaxEEEEE10hipError_tPvRmT0_T1_jT2_SS_T4_T3_P12ihipStream_tbEUlT_E_NS1_11comp_targetILNS1_3genE5ELNS1_11target_archE942ELNS1_3gpuE9ELNS1_3repE0EEENS1_30default_config_static_selectorELNS0_4arch9wavefront6targetE0EEEvSR_.num_vgpr, 0
	.set _ZN7rocprim17ROCPRIM_400000_NS6detail17trampoline_kernelINS0_14default_configENS1_32segmented_reduce_config_selectorIN3c108BFloat16EEEZNS1_21segmented_reduce_implIS3_PKS6_PS6_PKiS6_N6hipcub16HIPCUB_304000_NS6detail27convert_result_type_wrapperISA_SB_N2at6native12_GLOBAL__N_19CustomMaxEEEEE10hipError_tPvRmT0_T1_jT2_SS_T4_T3_P12ihipStream_tbEUlT_E_NS1_11comp_targetILNS1_3genE5ELNS1_11target_archE942ELNS1_3gpuE9ELNS1_3repE0EEENS1_30default_config_static_selectorELNS0_4arch9wavefront6targetE0EEEvSR_.num_agpr, 0
	.set _ZN7rocprim17ROCPRIM_400000_NS6detail17trampoline_kernelINS0_14default_configENS1_32segmented_reduce_config_selectorIN3c108BFloat16EEEZNS1_21segmented_reduce_implIS3_PKS6_PS6_PKiS6_N6hipcub16HIPCUB_304000_NS6detail27convert_result_type_wrapperISA_SB_N2at6native12_GLOBAL__N_19CustomMaxEEEEE10hipError_tPvRmT0_T1_jT2_SS_T4_T3_P12ihipStream_tbEUlT_E_NS1_11comp_targetILNS1_3genE5ELNS1_11target_archE942ELNS1_3gpuE9ELNS1_3repE0EEENS1_30default_config_static_selectorELNS0_4arch9wavefront6targetE0EEEvSR_.numbered_sgpr, 0
	.set _ZN7rocprim17ROCPRIM_400000_NS6detail17trampoline_kernelINS0_14default_configENS1_32segmented_reduce_config_selectorIN3c108BFloat16EEEZNS1_21segmented_reduce_implIS3_PKS6_PS6_PKiS6_N6hipcub16HIPCUB_304000_NS6detail27convert_result_type_wrapperISA_SB_N2at6native12_GLOBAL__N_19CustomMaxEEEEE10hipError_tPvRmT0_T1_jT2_SS_T4_T3_P12ihipStream_tbEUlT_E_NS1_11comp_targetILNS1_3genE5ELNS1_11target_archE942ELNS1_3gpuE9ELNS1_3repE0EEENS1_30default_config_static_selectorELNS0_4arch9wavefront6targetE0EEEvSR_.num_named_barrier, 0
	.set _ZN7rocprim17ROCPRIM_400000_NS6detail17trampoline_kernelINS0_14default_configENS1_32segmented_reduce_config_selectorIN3c108BFloat16EEEZNS1_21segmented_reduce_implIS3_PKS6_PS6_PKiS6_N6hipcub16HIPCUB_304000_NS6detail27convert_result_type_wrapperISA_SB_N2at6native12_GLOBAL__N_19CustomMaxEEEEE10hipError_tPvRmT0_T1_jT2_SS_T4_T3_P12ihipStream_tbEUlT_E_NS1_11comp_targetILNS1_3genE5ELNS1_11target_archE942ELNS1_3gpuE9ELNS1_3repE0EEENS1_30default_config_static_selectorELNS0_4arch9wavefront6targetE0EEEvSR_.private_seg_size, 0
	.set _ZN7rocprim17ROCPRIM_400000_NS6detail17trampoline_kernelINS0_14default_configENS1_32segmented_reduce_config_selectorIN3c108BFloat16EEEZNS1_21segmented_reduce_implIS3_PKS6_PS6_PKiS6_N6hipcub16HIPCUB_304000_NS6detail27convert_result_type_wrapperISA_SB_N2at6native12_GLOBAL__N_19CustomMaxEEEEE10hipError_tPvRmT0_T1_jT2_SS_T4_T3_P12ihipStream_tbEUlT_E_NS1_11comp_targetILNS1_3genE5ELNS1_11target_archE942ELNS1_3gpuE9ELNS1_3repE0EEENS1_30default_config_static_selectorELNS0_4arch9wavefront6targetE0EEEvSR_.uses_vcc, 0
	.set _ZN7rocprim17ROCPRIM_400000_NS6detail17trampoline_kernelINS0_14default_configENS1_32segmented_reduce_config_selectorIN3c108BFloat16EEEZNS1_21segmented_reduce_implIS3_PKS6_PS6_PKiS6_N6hipcub16HIPCUB_304000_NS6detail27convert_result_type_wrapperISA_SB_N2at6native12_GLOBAL__N_19CustomMaxEEEEE10hipError_tPvRmT0_T1_jT2_SS_T4_T3_P12ihipStream_tbEUlT_E_NS1_11comp_targetILNS1_3genE5ELNS1_11target_archE942ELNS1_3gpuE9ELNS1_3repE0EEENS1_30default_config_static_selectorELNS0_4arch9wavefront6targetE0EEEvSR_.uses_flat_scratch, 0
	.set _ZN7rocprim17ROCPRIM_400000_NS6detail17trampoline_kernelINS0_14default_configENS1_32segmented_reduce_config_selectorIN3c108BFloat16EEEZNS1_21segmented_reduce_implIS3_PKS6_PS6_PKiS6_N6hipcub16HIPCUB_304000_NS6detail27convert_result_type_wrapperISA_SB_N2at6native12_GLOBAL__N_19CustomMaxEEEEE10hipError_tPvRmT0_T1_jT2_SS_T4_T3_P12ihipStream_tbEUlT_E_NS1_11comp_targetILNS1_3genE5ELNS1_11target_archE942ELNS1_3gpuE9ELNS1_3repE0EEENS1_30default_config_static_selectorELNS0_4arch9wavefront6targetE0EEEvSR_.has_dyn_sized_stack, 0
	.set _ZN7rocprim17ROCPRIM_400000_NS6detail17trampoline_kernelINS0_14default_configENS1_32segmented_reduce_config_selectorIN3c108BFloat16EEEZNS1_21segmented_reduce_implIS3_PKS6_PS6_PKiS6_N6hipcub16HIPCUB_304000_NS6detail27convert_result_type_wrapperISA_SB_N2at6native12_GLOBAL__N_19CustomMaxEEEEE10hipError_tPvRmT0_T1_jT2_SS_T4_T3_P12ihipStream_tbEUlT_E_NS1_11comp_targetILNS1_3genE5ELNS1_11target_archE942ELNS1_3gpuE9ELNS1_3repE0EEENS1_30default_config_static_selectorELNS0_4arch9wavefront6targetE0EEEvSR_.has_recursion, 0
	.set _ZN7rocprim17ROCPRIM_400000_NS6detail17trampoline_kernelINS0_14default_configENS1_32segmented_reduce_config_selectorIN3c108BFloat16EEEZNS1_21segmented_reduce_implIS3_PKS6_PS6_PKiS6_N6hipcub16HIPCUB_304000_NS6detail27convert_result_type_wrapperISA_SB_N2at6native12_GLOBAL__N_19CustomMaxEEEEE10hipError_tPvRmT0_T1_jT2_SS_T4_T3_P12ihipStream_tbEUlT_E_NS1_11comp_targetILNS1_3genE5ELNS1_11target_archE942ELNS1_3gpuE9ELNS1_3repE0EEENS1_30default_config_static_selectorELNS0_4arch9wavefront6targetE0EEEvSR_.has_indirect_call, 0
	.section	.AMDGPU.csdata,"",@progbits
; Kernel info:
; codeLenInByte = 0
; TotalNumSgprs: 0
; NumVgprs: 0
; ScratchSize: 0
; MemoryBound: 0
; FloatMode: 240
; IeeeMode: 1
; LDSByteSize: 0 bytes/workgroup (compile time only)
; SGPRBlocks: 0
; VGPRBlocks: 0
; NumSGPRsForWavesPerEU: 1
; NumVGPRsForWavesPerEU: 1
; NamedBarCnt: 0
; Occupancy: 16
; WaveLimiterHint : 0
; COMPUTE_PGM_RSRC2:SCRATCH_EN: 0
; COMPUTE_PGM_RSRC2:USER_SGPR: 2
; COMPUTE_PGM_RSRC2:TRAP_HANDLER: 0
; COMPUTE_PGM_RSRC2:TGID_X_EN: 1
; COMPUTE_PGM_RSRC2:TGID_Y_EN: 0
; COMPUTE_PGM_RSRC2:TGID_Z_EN: 0
; COMPUTE_PGM_RSRC2:TIDIG_COMP_CNT: 0
	.section	.text._ZN7rocprim17ROCPRIM_400000_NS6detail17trampoline_kernelINS0_14default_configENS1_32segmented_reduce_config_selectorIN3c108BFloat16EEEZNS1_21segmented_reduce_implIS3_PKS6_PS6_PKiS6_N6hipcub16HIPCUB_304000_NS6detail27convert_result_type_wrapperISA_SB_N2at6native12_GLOBAL__N_19CustomMaxEEEEE10hipError_tPvRmT0_T1_jT2_SS_T4_T3_P12ihipStream_tbEUlT_E_NS1_11comp_targetILNS1_3genE10ELNS1_11target_archE1201ELNS1_3gpuE5ELNS1_3repE0EEENS1_30default_config_static_selectorELNS0_4arch9wavefront6targetE0EEEvSR_,"axG",@progbits,_ZN7rocprim17ROCPRIM_400000_NS6detail17trampoline_kernelINS0_14default_configENS1_32segmented_reduce_config_selectorIN3c108BFloat16EEEZNS1_21segmented_reduce_implIS3_PKS6_PS6_PKiS6_N6hipcub16HIPCUB_304000_NS6detail27convert_result_type_wrapperISA_SB_N2at6native12_GLOBAL__N_19CustomMaxEEEEE10hipError_tPvRmT0_T1_jT2_SS_T4_T3_P12ihipStream_tbEUlT_E_NS1_11comp_targetILNS1_3genE10ELNS1_11target_archE1201ELNS1_3gpuE5ELNS1_3repE0EEENS1_30default_config_static_selectorELNS0_4arch9wavefront6targetE0EEEvSR_,comdat
	.globl	_ZN7rocprim17ROCPRIM_400000_NS6detail17trampoline_kernelINS0_14default_configENS1_32segmented_reduce_config_selectorIN3c108BFloat16EEEZNS1_21segmented_reduce_implIS3_PKS6_PS6_PKiS6_N6hipcub16HIPCUB_304000_NS6detail27convert_result_type_wrapperISA_SB_N2at6native12_GLOBAL__N_19CustomMaxEEEEE10hipError_tPvRmT0_T1_jT2_SS_T4_T3_P12ihipStream_tbEUlT_E_NS1_11comp_targetILNS1_3genE10ELNS1_11target_archE1201ELNS1_3gpuE5ELNS1_3repE0EEENS1_30default_config_static_selectorELNS0_4arch9wavefront6targetE0EEEvSR_ ; -- Begin function _ZN7rocprim17ROCPRIM_400000_NS6detail17trampoline_kernelINS0_14default_configENS1_32segmented_reduce_config_selectorIN3c108BFloat16EEEZNS1_21segmented_reduce_implIS3_PKS6_PS6_PKiS6_N6hipcub16HIPCUB_304000_NS6detail27convert_result_type_wrapperISA_SB_N2at6native12_GLOBAL__N_19CustomMaxEEEEE10hipError_tPvRmT0_T1_jT2_SS_T4_T3_P12ihipStream_tbEUlT_E_NS1_11comp_targetILNS1_3genE10ELNS1_11target_archE1201ELNS1_3gpuE5ELNS1_3repE0EEENS1_30default_config_static_selectorELNS0_4arch9wavefront6targetE0EEEvSR_
	.p2align	8
	.type	_ZN7rocprim17ROCPRIM_400000_NS6detail17trampoline_kernelINS0_14default_configENS1_32segmented_reduce_config_selectorIN3c108BFloat16EEEZNS1_21segmented_reduce_implIS3_PKS6_PS6_PKiS6_N6hipcub16HIPCUB_304000_NS6detail27convert_result_type_wrapperISA_SB_N2at6native12_GLOBAL__N_19CustomMaxEEEEE10hipError_tPvRmT0_T1_jT2_SS_T4_T3_P12ihipStream_tbEUlT_E_NS1_11comp_targetILNS1_3genE10ELNS1_11target_archE1201ELNS1_3gpuE5ELNS1_3repE0EEENS1_30default_config_static_selectorELNS0_4arch9wavefront6targetE0EEEvSR_,@function
_ZN7rocprim17ROCPRIM_400000_NS6detail17trampoline_kernelINS0_14default_configENS1_32segmented_reduce_config_selectorIN3c108BFloat16EEEZNS1_21segmented_reduce_implIS3_PKS6_PS6_PKiS6_N6hipcub16HIPCUB_304000_NS6detail27convert_result_type_wrapperISA_SB_N2at6native12_GLOBAL__N_19CustomMaxEEEEE10hipError_tPvRmT0_T1_jT2_SS_T4_T3_P12ihipStream_tbEUlT_E_NS1_11comp_targetILNS1_3genE10ELNS1_11target_archE1201ELNS1_3gpuE5ELNS1_3repE0EEENS1_30default_config_static_selectorELNS0_4arch9wavefront6targetE0EEEvSR_: ; @_ZN7rocprim17ROCPRIM_400000_NS6detail17trampoline_kernelINS0_14default_configENS1_32segmented_reduce_config_selectorIN3c108BFloat16EEEZNS1_21segmented_reduce_implIS3_PKS6_PS6_PKiS6_N6hipcub16HIPCUB_304000_NS6detail27convert_result_type_wrapperISA_SB_N2at6native12_GLOBAL__N_19CustomMaxEEEEE10hipError_tPvRmT0_T1_jT2_SS_T4_T3_P12ihipStream_tbEUlT_E_NS1_11comp_targetILNS1_3genE10ELNS1_11target_archE1201ELNS1_3gpuE5ELNS1_3repE0EEENS1_30default_config_static_selectorELNS0_4arch9wavefront6targetE0EEEvSR_
; %bb.0:
	.section	.rodata,"a",@progbits
	.p2align	6, 0x0
	.amdhsa_kernel _ZN7rocprim17ROCPRIM_400000_NS6detail17trampoline_kernelINS0_14default_configENS1_32segmented_reduce_config_selectorIN3c108BFloat16EEEZNS1_21segmented_reduce_implIS3_PKS6_PS6_PKiS6_N6hipcub16HIPCUB_304000_NS6detail27convert_result_type_wrapperISA_SB_N2at6native12_GLOBAL__N_19CustomMaxEEEEE10hipError_tPvRmT0_T1_jT2_SS_T4_T3_P12ihipStream_tbEUlT_E_NS1_11comp_targetILNS1_3genE10ELNS1_11target_archE1201ELNS1_3gpuE5ELNS1_3repE0EEENS1_30default_config_static_selectorELNS0_4arch9wavefront6targetE0EEEvSR_
		.amdhsa_group_segment_fixed_size 0
		.amdhsa_private_segment_fixed_size 0
		.amdhsa_kernarg_size 48
		.amdhsa_user_sgpr_count 2
		.amdhsa_user_sgpr_dispatch_ptr 0
		.amdhsa_user_sgpr_queue_ptr 0
		.amdhsa_user_sgpr_kernarg_segment_ptr 1
		.amdhsa_user_sgpr_dispatch_id 0
		.amdhsa_user_sgpr_kernarg_preload_length 0
		.amdhsa_user_sgpr_kernarg_preload_offset 0
		.amdhsa_user_sgpr_private_segment_size 0
		.amdhsa_wavefront_size32 1
		.amdhsa_uses_dynamic_stack 0
		.amdhsa_enable_private_segment 0
		.amdhsa_system_sgpr_workgroup_id_x 1
		.amdhsa_system_sgpr_workgroup_id_y 0
		.amdhsa_system_sgpr_workgroup_id_z 0
		.amdhsa_system_sgpr_workgroup_info 0
		.amdhsa_system_vgpr_workitem_id 0
		.amdhsa_next_free_vgpr 1
		.amdhsa_next_free_sgpr 1
		.amdhsa_named_barrier_count 0
		.amdhsa_reserve_vcc 0
		.amdhsa_float_round_mode_32 0
		.amdhsa_float_round_mode_16_64 0
		.amdhsa_float_denorm_mode_32 3
		.amdhsa_float_denorm_mode_16_64 3
		.amdhsa_fp16_overflow 0
		.amdhsa_memory_ordered 1
		.amdhsa_forward_progress 1
		.amdhsa_inst_pref_size 0
		.amdhsa_round_robin_scheduling 0
		.amdhsa_exception_fp_ieee_invalid_op 0
		.amdhsa_exception_fp_denorm_src 0
		.amdhsa_exception_fp_ieee_div_zero 0
		.amdhsa_exception_fp_ieee_overflow 0
		.amdhsa_exception_fp_ieee_underflow 0
		.amdhsa_exception_fp_ieee_inexact 0
		.amdhsa_exception_int_div_zero 0
	.end_amdhsa_kernel
	.section	.text._ZN7rocprim17ROCPRIM_400000_NS6detail17trampoline_kernelINS0_14default_configENS1_32segmented_reduce_config_selectorIN3c108BFloat16EEEZNS1_21segmented_reduce_implIS3_PKS6_PS6_PKiS6_N6hipcub16HIPCUB_304000_NS6detail27convert_result_type_wrapperISA_SB_N2at6native12_GLOBAL__N_19CustomMaxEEEEE10hipError_tPvRmT0_T1_jT2_SS_T4_T3_P12ihipStream_tbEUlT_E_NS1_11comp_targetILNS1_3genE10ELNS1_11target_archE1201ELNS1_3gpuE5ELNS1_3repE0EEENS1_30default_config_static_selectorELNS0_4arch9wavefront6targetE0EEEvSR_,"axG",@progbits,_ZN7rocprim17ROCPRIM_400000_NS6detail17trampoline_kernelINS0_14default_configENS1_32segmented_reduce_config_selectorIN3c108BFloat16EEEZNS1_21segmented_reduce_implIS3_PKS6_PS6_PKiS6_N6hipcub16HIPCUB_304000_NS6detail27convert_result_type_wrapperISA_SB_N2at6native12_GLOBAL__N_19CustomMaxEEEEE10hipError_tPvRmT0_T1_jT2_SS_T4_T3_P12ihipStream_tbEUlT_E_NS1_11comp_targetILNS1_3genE10ELNS1_11target_archE1201ELNS1_3gpuE5ELNS1_3repE0EEENS1_30default_config_static_selectorELNS0_4arch9wavefront6targetE0EEEvSR_,comdat
.Lfunc_end113:
	.size	_ZN7rocprim17ROCPRIM_400000_NS6detail17trampoline_kernelINS0_14default_configENS1_32segmented_reduce_config_selectorIN3c108BFloat16EEEZNS1_21segmented_reduce_implIS3_PKS6_PS6_PKiS6_N6hipcub16HIPCUB_304000_NS6detail27convert_result_type_wrapperISA_SB_N2at6native12_GLOBAL__N_19CustomMaxEEEEE10hipError_tPvRmT0_T1_jT2_SS_T4_T3_P12ihipStream_tbEUlT_E_NS1_11comp_targetILNS1_3genE10ELNS1_11target_archE1201ELNS1_3gpuE5ELNS1_3repE0EEENS1_30default_config_static_selectorELNS0_4arch9wavefront6targetE0EEEvSR_, .Lfunc_end113-_ZN7rocprim17ROCPRIM_400000_NS6detail17trampoline_kernelINS0_14default_configENS1_32segmented_reduce_config_selectorIN3c108BFloat16EEEZNS1_21segmented_reduce_implIS3_PKS6_PS6_PKiS6_N6hipcub16HIPCUB_304000_NS6detail27convert_result_type_wrapperISA_SB_N2at6native12_GLOBAL__N_19CustomMaxEEEEE10hipError_tPvRmT0_T1_jT2_SS_T4_T3_P12ihipStream_tbEUlT_E_NS1_11comp_targetILNS1_3genE10ELNS1_11target_archE1201ELNS1_3gpuE5ELNS1_3repE0EEENS1_30default_config_static_selectorELNS0_4arch9wavefront6targetE0EEEvSR_
                                        ; -- End function
	.set _ZN7rocprim17ROCPRIM_400000_NS6detail17trampoline_kernelINS0_14default_configENS1_32segmented_reduce_config_selectorIN3c108BFloat16EEEZNS1_21segmented_reduce_implIS3_PKS6_PS6_PKiS6_N6hipcub16HIPCUB_304000_NS6detail27convert_result_type_wrapperISA_SB_N2at6native12_GLOBAL__N_19CustomMaxEEEEE10hipError_tPvRmT0_T1_jT2_SS_T4_T3_P12ihipStream_tbEUlT_E_NS1_11comp_targetILNS1_3genE10ELNS1_11target_archE1201ELNS1_3gpuE5ELNS1_3repE0EEENS1_30default_config_static_selectorELNS0_4arch9wavefront6targetE0EEEvSR_.num_vgpr, 0
	.set _ZN7rocprim17ROCPRIM_400000_NS6detail17trampoline_kernelINS0_14default_configENS1_32segmented_reduce_config_selectorIN3c108BFloat16EEEZNS1_21segmented_reduce_implIS3_PKS6_PS6_PKiS6_N6hipcub16HIPCUB_304000_NS6detail27convert_result_type_wrapperISA_SB_N2at6native12_GLOBAL__N_19CustomMaxEEEEE10hipError_tPvRmT0_T1_jT2_SS_T4_T3_P12ihipStream_tbEUlT_E_NS1_11comp_targetILNS1_3genE10ELNS1_11target_archE1201ELNS1_3gpuE5ELNS1_3repE0EEENS1_30default_config_static_selectorELNS0_4arch9wavefront6targetE0EEEvSR_.num_agpr, 0
	.set _ZN7rocprim17ROCPRIM_400000_NS6detail17trampoline_kernelINS0_14default_configENS1_32segmented_reduce_config_selectorIN3c108BFloat16EEEZNS1_21segmented_reduce_implIS3_PKS6_PS6_PKiS6_N6hipcub16HIPCUB_304000_NS6detail27convert_result_type_wrapperISA_SB_N2at6native12_GLOBAL__N_19CustomMaxEEEEE10hipError_tPvRmT0_T1_jT2_SS_T4_T3_P12ihipStream_tbEUlT_E_NS1_11comp_targetILNS1_3genE10ELNS1_11target_archE1201ELNS1_3gpuE5ELNS1_3repE0EEENS1_30default_config_static_selectorELNS0_4arch9wavefront6targetE0EEEvSR_.numbered_sgpr, 0
	.set _ZN7rocprim17ROCPRIM_400000_NS6detail17trampoline_kernelINS0_14default_configENS1_32segmented_reduce_config_selectorIN3c108BFloat16EEEZNS1_21segmented_reduce_implIS3_PKS6_PS6_PKiS6_N6hipcub16HIPCUB_304000_NS6detail27convert_result_type_wrapperISA_SB_N2at6native12_GLOBAL__N_19CustomMaxEEEEE10hipError_tPvRmT0_T1_jT2_SS_T4_T3_P12ihipStream_tbEUlT_E_NS1_11comp_targetILNS1_3genE10ELNS1_11target_archE1201ELNS1_3gpuE5ELNS1_3repE0EEENS1_30default_config_static_selectorELNS0_4arch9wavefront6targetE0EEEvSR_.num_named_barrier, 0
	.set _ZN7rocprim17ROCPRIM_400000_NS6detail17trampoline_kernelINS0_14default_configENS1_32segmented_reduce_config_selectorIN3c108BFloat16EEEZNS1_21segmented_reduce_implIS3_PKS6_PS6_PKiS6_N6hipcub16HIPCUB_304000_NS6detail27convert_result_type_wrapperISA_SB_N2at6native12_GLOBAL__N_19CustomMaxEEEEE10hipError_tPvRmT0_T1_jT2_SS_T4_T3_P12ihipStream_tbEUlT_E_NS1_11comp_targetILNS1_3genE10ELNS1_11target_archE1201ELNS1_3gpuE5ELNS1_3repE0EEENS1_30default_config_static_selectorELNS0_4arch9wavefront6targetE0EEEvSR_.private_seg_size, 0
	.set _ZN7rocprim17ROCPRIM_400000_NS6detail17trampoline_kernelINS0_14default_configENS1_32segmented_reduce_config_selectorIN3c108BFloat16EEEZNS1_21segmented_reduce_implIS3_PKS6_PS6_PKiS6_N6hipcub16HIPCUB_304000_NS6detail27convert_result_type_wrapperISA_SB_N2at6native12_GLOBAL__N_19CustomMaxEEEEE10hipError_tPvRmT0_T1_jT2_SS_T4_T3_P12ihipStream_tbEUlT_E_NS1_11comp_targetILNS1_3genE10ELNS1_11target_archE1201ELNS1_3gpuE5ELNS1_3repE0EEENS1_30default_config_static_selectorELNS0_4arch9wavefront6targetE0EEEvSR_.uses_vcc, 0
	.set _ZN7rocprim17ROCPRIM_400000_NS6detail17trampoline_kernelINS0_14default_configENS1_32segmented_reduce_config_selectorIN3c108BFloat16EEEZNS1_21segmented_reduce_implIS3_PKS6_PS6_PKiS6_N6hipcub16HIPCUB_304000_NS6detail27convert_result_type_wrapperISA_SB_N2at6native12_GLOBAL__N_19CustomMaxEEEEE10hipError_tPvRmT0_T1_jT2_SS_T4_T3_P12ihipStream_tbEUlT_E_NS1_11comp_targetILNS1_3genE10ELNS1_11target_archE1201ELNS1_3gpuE5ELNS1_3repE0EEENS1_30default_config_static_selectorELNS0_4arch9wavefront6targetE0EEEvSR_.uses_flat_scratch, 0
	.set _ZN7rocprim17ROCPRIM_400000_NS6detail17trampoline_kernelINS0_14default_configENS1_32segmented_reduce_config_selectorIN3c108BFloat16EEEZNS1_21segmented_reduce_implIS3_PKS6_PS6_PKiS6_N6hipcub16HIPCUB_304000_NS6detail27convert_result_type_wrapperISA_SB_N2at6native12_GLOBAL__N_19CustomMaxEEEEE10hipError_tPvRmT0_T1_jT2_SS_T4_T3_P12ihipStream_tbEUlT_E_NS1_11comp_targetILNS1_3genE10ELNS1_11target_archE1201ELNS1_3gpuE5ELNS1_3repE0EEENS1_30default_config_static_selectorELNS0_4arch9wavefront6targetE0EEEvSR_.has_dyn_sized_stack, 0
	.set _ZN7rocprim17ROCPRIM_400000_NS6detail17trampoline_kernelINS0_14default_configENS1_32segmented_reduce_config_selectorIN3c108BFloat16EEEZNS1_21segmented_reduce_implIS3_PKS6_PS6_PKiS6_N6hipcub16HIPCUB_304000_NS6detail27convert_result_type_wrapperISA_SB_N2at6native12_GLOBAL__N_19CustomMaxEEEEE10hipError_tPvRmT0_T1_jT2_SS_T4_T3_P12ihipStream_tbEUlT_E_NS1_11comp_targetILNS1_3genE10ELNS1_11target_archE1201ELNS1_3gpuE5ELNS1_3repE0EEENS1_30default_config_static_selectorELNS0_4arch9wavefront6targetE0EEEvSR_.has_recursion, 0
	.set _ZN7rocprim17ROCPRIM_400000_NS6detail17trampoline_kernelINS0_14default_configENS1_32segmented_reduce_config_selectorIN3c108BFloat16EEEZNS1_21segmented_reduce_implIS3_PKS6_PS6_PKiS6_N6hipcub16HIPCUB_304000_NS6detail27convert_result_type_wrapperISA_SB_N2at6native12_GLOBAL__N_19CustomMaxEEEEE10hipError_tPvRmT0_T1_jT2_SS_T4_T3_P12ihipStream_tbEUlT_E_NS1_11comp_targetILNS1_3genE10ELNS1_11target_archE1201ELNS1_3gpuE5ELNS1_3repE0EEENS1_30default_config_static_selectorELNS0_4arch9wavefront6targetE0EEEvSR_.has_indirect_call, 0
	.section	.AMDGPU.csdata,"",@progbits
; Kernel info:
; codeLenInByte = 0
; TotalNumSgprs: 0
; NumVgprs: 0
; ScratchSize: 0
; MemoryBound: 0
; FloatMode: 240
; IeeeMode: 1
; LDSByteSize: 0 bytes/workgroup (compile time only)
; SGPRBlocks: 0
; VGPRBlocks: 0
; NumSGPRsForWavesPerEU: 1
; NumVGPRsForWavesPerEU: 1
; NamedBarCnt: 0
; Occupancy: 16
; WaveLimiterHint : 0
; COMPUTE_PGM_RSRC2:SCRATCH_EN: 0
; COMPUTE_PGM_RSRC2:USER_SGPR: 2
; COMPUTE_PGM_RSRC2:TRAP_HANDLER: 0
; COMPUTE_PGM_RSRC2:TGID_X_EN: 1
; COMPUTE_PGM_RSRC2:TGID_Y_EN: 0
; COMPUTE_PGM_RSRC2:TGID_Z_EN: 0
; COMPUTE_PGM_RSRC2:TIDIG_COMP_CNT: 0
	.section	.text._ZN7rocprim17ROCPRIM_400000_NS6detail17trampoline_kernelINS0_14default_configENS1_32segmented_reduce_config_selectorIN3c108BFloat16EEEZNS1_21segmented_reduce_implIS3_PKS6_PS6_PKiS6_N6hipcub16HIPCUB_304000_NS6detail27convert_result_type_wrapperISA_SB_N2at6native12_GLOBAL__N_19CustomMaxEEEEE10hipError_tPvRmT0_T1_jT2_SS_T4_T3_P12ihipStream_tbEUlT_E_NS1_11comp_targetILNS1_3genE4ELNS1_11target_archE910ELNS1_3gpuE8ELNS1_3repE0EEENS1_30default_config_static_selectorELNS0_4arch9wavefront6targetE0EEEvSR_,"axG",@progbits,_ZN7rocprim17ROCPRIM_400000_NS6detail17trampoline_kernelINS0_14default_configENS1_32segmented_reduce_config_selectorIN3c108BFloat16EEEZNS1_21segmented_reduce_implIS3_PKS6_PS6_PKiS6_N6hipcub16HIPCUB_304000_NS6detail27convert_result_type_wrapperISA_SB_N2at6native12_GLOBAL__N_19CustomMaxEEEEE10hipError_tPvRmT0_T1_jT2_SS_T4_T3_P12ihipStream_tbEUlT_E_NS1_11comp_targetILNS1_3genE4ELNS1_11target_archE910ELNS1_3gpuE8ELNS1_3repE0EEENS1_30default_config_static_selectorELNS0_4arch9wavefront6targetE0EEEvSR_,comdat
	.globl	_ZN7rocprim17ROCPRIM_400000_NS6detail17trampoline_kernelINS0_14default_configENS1_32segmented_reduce_config_selectorIN3c108BFloat16EEEZNS1_21segmented_reduce_implIS3_PKS6_PS6_PKiS6_N6hipcub16HIPCUB_304000_NS6detail27convert_result_type_wrapperISA_SB_N2at6native12_GLOBAL__N_19CustomMaxEEEEE10hipError_tPvRmT0_T1_jT2_SS_T4_T3_P12ihipStream_tbEUlT_E_NS1_11comp_targetILNS1_3genE4ELNS1_11target_archE910ELNS1_3gpuE8ELNS1_3repE0EEENS1_30default_config_static_selectorELNS0_4arch9wavefront6targetE0EEEvSR_ ; -- Begin function _ZN7rocprim17ROCPRIM_400000_NS6detail17trampoline_kernelINS0_14default_configENS1_32segmented_reduce_config_selectorIN3c108BFloat16EEEZNS1_21segmented_reduce_implIS3_PKS6_PS6_PKiS6_N6hipcub16HIPCUB_304000_NS6detail27convert_result_type_wrapperISA_SB_N2at6native12_GLOBAL__N_19CustomMaxEEEEE10hipError_tPvRmT0_T1_jT2_SS_T4_T3_P12ihipStream_tbEUlT_E_NS1_11comp_targetILNS1_3genE4ELNS1_11target_archE910ELNS1_3gpuE8ELNS1_3repE0EEENS1_30default_config_static_selectorELNS0_4arch9wavefront6targetE0EEEvSR_
	.p2align	8
	.type	_ZN7rocprim17ROCPRIM_400000_NS6detail17trampoline_kernelINS0_14default_configENS1_32segmented_reduce_config_selectorIN3c108BFloat16EEEZNS1_21segmented_reduce_implIS3_PKS6_PS6_PKiS6_N6hipcub16HIPCUB_304000_NS6detail27convert_result_type_wrapperISA_SB_N2at6native12_GLOBAL__N_19CustomMaxEEEEE10hipError_tPvRmT0_T1_jT2_SS_T4_T3_P12ihipStream_tbEUlT_E_NS1_11comp_targetILNS1_3genE4ELNS1_11target_archE910ELNS1_3gpuE8ELNS1_3repE0EEENS1_30default_config_static_selectorELNS0_4arch9wavefront6targetE0EEEvSR_,@function
_ZN7rocprim17ROCPRIM_400000_NS6detail17trampoline_kernelINS0_14default_configENS1_32segmented_reduce_config_selectorIN3c108BFloat16EEEZNS1_21segmented_reduce_implIS3_PKS6_PS6_PKiS6_N6hipcub16HIPCUB_304000_NS6detail27convert_result_type_wrapperISA_SB_N2at6native12_GLOBAL__N_19CustomMaxEEEEE10hipError_tPvRmT0_T1_jT2_SS_T4_T3_P12ihipStream_tbEUlT_E_NS1_11comp_targetILNS1_3genE4ELNS1_11target_archE910ELNS1_3gpuE8ELNS1_3repE0EEENS1_30default_config_static_selectorELNS0_4arch9wavefront6targetE0EEEvSR_: ; @_ZN7rocprim17ROCPRIM_400000_NS6detail17trampoline_kernelINS0_14default_configENS1_32segmented_reduce_config_selectorIN3c108BFloat16EEEZNS1_21segmented_reduce_implIS3_PKS6_PS6_PKiS6_N6hipcub16HIPCUB_304000_NS6detail27convert_result_type_wrapperISA_SB_N2at6native12_GLOBAL__N_19CustomMaxEEEEE10hipError_tPvRmT0_T1_jT2_SS_T4_T3_P12ihipStream_tbEUlT_E_NS1_11comp_targetILNS1_3genE4ELNS1_11target_archE910ELNS1_3gpuE8ELNS1_3repE0EEENS1_30default_config_static_selectorELNS0_4arch9wavefront6targetE0EEEvSR_
; %bb.0:
	.section	.rodata,"a",@progbits
	.p2align	6, 0x0
	.amdhsa_kernel _ZN7rocprim17ROCPRIM_400000_NS6detail17trampoline_kernelINS0_14default_configENS1_32segmented_reduce_config_selectorIN3c108BFloat16EEEZNS1_21segmented_reduce_implIS3_PKS6_PS6_PKiS6_N6hipcub16HIPCUB_304000_NS6detail27convert_result_type_wrapperISA_SB_N2at6native12_GLOBAL__N_19CustomMaxEEEEE10hipError_tPvRmT0_T1_jT2_SS_T4_T3_P12ihipStream_tbEUlT_E_NS1_11comp_targetILNS1_3genE4ELNS1_11target_archE910ELNS1_3gpuE8ELNS1_3repE0EEENS1_30default_config_static_selectorELNS0_4arch9wavefront6targetE0EEEvSR_
		.amdhsa_group_segment_fixed_size 0
		.amdhsa_private_segment_fixed_size 0
		.amdhsa_kernarg_size 48
		.amdhsa_user_sgpr_count 2
		.amdhsa_user_sgpr_dispatch_ptr 0
		.amdhsa_user_sgpr_queue_ptr 0
		.amdhsa_user_sgpr_kernarg_segment_ptr 1
		.amdhsa_user_sgpr_dispatch_id 0
		.amdhsa_user_sgpr_kernarg_preload_length 0
		.amdhsa_user_sgpr_kernarg_preload_offset 0
		.amdhsa_user_sgpr_private_segment_size 0
		.amdhsa_wavefront_size32 1
		.amdhsa_uses_dynamic_stack 0
		.amdhsa_enable_private_segment 0
		.amdhsa_system_sgpr_workgroup_id_x 1
		.amdhsa_system_sgpr_workgroup_id_y 0
		.amdhsa_system_sgpr_workgroup_id_z 0
		.amdhsa_system_sgpr_workgroup_info 0
		.amdhsa_system_vgpr_workitem_id 0
		.amdhsa_next_free_vgpr 1
		.amdhsa_next_free_sgpr 1
		.amdhsa_named_barrier_count 0
		.amdhsa_reserve_vcc 0
		.amdhsa_float_round_mode_32 0
		.amdhsa_float_round_mode_16_64 0
		.amdhsa_float_denorm_mode_32 3
		.amdhsa_float_denorm_mode_16_64 3
		.amdhsa_fp16_overflow 0
		.amdhsa_memory_ordered 1
		.amdhsa_forward_progress 1
		.amdhsa_inst_pref_size 0
		.amdhsa_round_robin_scheduling 0
		.amdhsa_exception_fp_ieee_invalid_op 0
		.amdhsa_exception_fp_denorm_src 0
		.amdhsa_exception_fp_ieee_div_zero 0
		.amdhsa_exception_fp_ieee_overflow 0
		.amdhsa_exception_fp_ieee_underflow 0
		.amdhsa_exception_fp_ieee_inexact 0
		.amdhsa_exception_int_div_zero 0
	.end_amdhsa_kernel
	.section	.text._ZN7rocprim17ROCPRIM_400000_NS6detail17trampoline_kernelINS0_14default_configENS1_32segmented_reduce_config_selectorIN3c108BFloat16EEEZNS1_21segmented_reduce_implIS3_PKS6_PS6_PKiS6_N6hipcub16HIPCUB_304000_NS6detail27convert_result_type_wrapperISA_SB_N2at6native12_GLOBAL__N_19CustomMaxEEEEE10hipError_tPvRmT0_T1_jT2_SS_T4_T3_P12ihipStream_tbEUlT_E_NS1_11comp_targetILNS1_3genE4ELNS1_11target_archE910ELNS1_3gpuE8ELNS1_3repE0EEENS1_30default_config_static_selectorELNS0_4arch9wavefront6targetE0EEEvSR_,"axG",@progbits,_ZN7rocprim17ROCPRIM_400000_NS6detail17trampoline_kernelINS0_14default_configENS1_32segmented_reduce_config_selectorIN3c108BFloat16EEEZNS1_21segmented_reduce_implIS3_PKS6_PS6_PKiS6_N6hipcub16HIPCUB_304000_NS6detail27convert_result_type_wrapperISA_SB_N2at6native12_GLOBAL__N_19CustomMaxEEEEE10hipError_tPvRmT0_T1_jT2_SS_T4_T3_P12ihipStream_tbEUlT_E_NS1_11comp_targetILNS1_3genE4ELNS1_11target_archE910ELNS1_3gpuE8ELNS1_3repE0EEENS1_30default_config_static_selectorELNS0_4arch9wavefront6targetE0EEEvSR_,comdat
.Lfunc_end114:
	.size	_ZN7rocprim17ROCPRIM_400000_NS6detail17trampoline_kernelINS0_14default_configENS1_32segmented_reduce_config_selectorIN3c108BFloat16EEEZNS1_21segmented_reduce_implIS3_PKS6_PS6_PKiS6_N6hipcub16HIPCUB_304000_NS6detail27convert_result_type_wrapperISA_SB_N2at6native12_GLOBAL__N_19CustomMaxEEEEE10hipError_tPvRmT0_T1_jT2_SS_T4_T3_P12ihipStream_tbEUlT_E_NS1_11comp_targetILNS1_3genE4ELNS1_11target_archE910ELNS1_3gpuE8ELNS1_3repE0EEENS1_30default_config_static_selectorELNS0_4arch9wavefront6targetE0EEEvSR_, .Lfunc_end114-_ZN7rocprim17ROCPRIM_400000_NS6detail17trampoline_kernelINS0_14default_configENS1_32segmented_reduce_config_selectorIN3c108BFloat16EEEZNS1_21segmented_reduce_implIS3_PKS6_PS6_PKiS6_N6hipcub16HIPCUB_304000_NS6detail27convert_result_type_wrapperISA_SB_N2at6native12_GLOBAL__N_19CustomMaxEEEEE10hipError_tPvRmT0_T1_jT2_SS_T4_T3_P12ihipStream_tbEUlT_E_NS1_11comp_targetILNS1_3genE4ELNS1_11target_archE910ELNS1_3gpuE8ELNS1_3repE0EEENS1_30default_config_static_selectorELNS0_4arch9wavefront6targetE0EEEvSR_
                                        ; -- End function
	.set _ZN7rocprim17ROCPRIM_400000_NS6detail17trampoline_kernelINS0_14default_configENS1_32segmented_reduce_config_selectorIN3c108BFloat16EEEZNS1_21segmented_reduce_implIS3_PKS6_PS6_PKiS6_N6hipcub16HIPCUB_304000_NS6detail27convert_result_type_wrapperISA_SB_N2at6native12_GLOBAL__N_19CustomMaxEEEEE10hipError_tPvRmT0_T1_jT2_SS_T4_T3_P12ihipStream_tbEUlT_E_NS1_11comp_targetILNS1_3genE4ELNS1_11target_archE910ELNS1_3gpuE8ELNS1_3repE0EEENS1_30default_config_static_selectorELNS0_4arch9wavefront6targetE0EEEvSR_.num_vgpr, 0
	.set _ZN7rocprim17ROCPRIM_400000_NS6detail17trampoline_kernelINS0_14default_configENS1_32segmented_reduce_config_selectorIN3c108BFloat16EEEZNS1_21segmented_reduce_implIS3_PKS6_PS6_PKiS6_N6hipcub16HIPCUB_304000_NS6detail27convert_result_type_wrapperISA_SB_N2at6native12_GLOBAL__N_19CustomMaxEEEEE10hipError_tPvRmT0_T1_jT2_SS_T4_T3_P12ihipStream_tbEUlT_E_NS1_11comp_targetILNS1_3genE4ELNS1_11target_archE910ELNS1_3gpuE8ELNS1_3repE0EEENS1_30default_config_static_selectorELNS0_4arch9wavefront6targetE0EEEvSR_.num_agpr, 0
	.set _ZN7rocprim17ROCPRIM_400000_NS6detail17trampoline_kernelINS0_14default_configENS1_32segmented_reduce_config_selectorIN3c108BFloat16EEEZNS1_21segmented_reduce_implIS3_PKS6_PS6_PKiS6_N6hipcub16HIPCUB_304000_NS6detail27convert_result_type_wrapperISA_SB_N2at6native12_GLOBAL__N_19CustomMaxEEEEE10hipError_tPvRmT0_T1_jT2_SS_T4_T3_P12ihipStream_tbEUlT_E_NS1_11comp_targetILNS1_3genE4ELNS1_11target_archE910ELNS1_3gpuE8ELNS1_3repE0EEENS1_30default_config_static_selectorELNS0_4arch9wavefront6targetE0EEEvSR_.numbered_sgpr, 0
	.set _ZN7rocprim17ROCPRIM_400000_NS6detail17trampoline_kernelINS0_14default_configENS1_32segmented_reduce_config_selectorIN3c108BFloat16EEEZNS1_21segmented_reduce_implIS3_PKS6_PS6_PKiS6_N6hipcub16HIPCUB_304000_NS6detail27convert_result_type_wrapperISA_SB_N2at6native12_GLOBAL__N_19CustomMaxEEEEE10hipError_tPvRmT0_T1_jT2_SS_T4_T3_P12ihipStream_tbEUlT_E_NS1_11comp_targetILNS1_3genE4ELNS1_11target_archE910ELNS1_3gpuE8ELNS1_3repE0EEENS1_30default_config_static_selectorELNS0_4arch9wavefront6targetE0EEEvSR_.num_named_barrier, 0
	.set _ZN7rocprim17ROCPRIM_400000_NS6detail17trampoline_kernelINS0_14default_configENS1_32segmented_reduce_config_selectorIN3c108BFloat16EEEZNS1_21segmented_reduce_implIS3_PKS6_PS6_PKiS6_N6hipcub16HIPCUB_304000_NS6detail27convert_result_type_wrapperISA_SB_N2at6native12_GLOBAL__N_19CustomMaxEEEEE10hipError_tPvRmT0_T1_jT2_SS_T4_T3_P12ihipStream_tbEUlT_E_NS1_11comp_targetILNS1_3genE4ELNS1_11target_archE910ELNS1_3gpuE8ELNS1_3repE0EEENS1_30default_config_static_selectorELNS0_4arch9wavefront6targetE0EEEvSR_.private_seg_size, 0
	.set _ZN7rocprim17ROCPRIM_400000_NS6detail17trampoline_kernelINS0_14default_configENS1_32segmented_reduce_config_selectorIN3c108BFloat16EEEZNS1_21segmented_reduce_implIS3_PKS6_PS6_PKiS6_N6hipcub16HIPCUB_304000_NS6detail27convert_result_type_wrapperISA_SB_N2at6native12_GLOBAL__N_19CustomMaxEEEEE10hipError_tPvRmT0_T1_jT2_SS_T4_T3_P12ihipStream_tbEUlT_E_NS1_11comp_targetILNS1_3genE4ELNS1_11target_archE910ELNS1_3gpuE8ELNS1_3repE0EEENS1_30default_config_static_selectorELNS0_4arch9wavefront6targetE0EEEvSR_.uses_vcc, 0
	.set _ZN7rocprim17ROCPRIM_400000_NS6detail17trampoline_kernelINS0_14default_configENS1_32segmented_reduce_config_selectorIN3c108BFloat16EEEZNS1_21segmented_reduce_implIS3_PKS6_PS6_PKiS6_N6hipcub16HIPCUB_304000_NS6detail27convert_result_type_wrapperISA_SB_N2at6native12_GLOBAL__N_19CustomMaxEEEEE10hipError_tPvRmT0_T1_jT2_SS_T4_T3_P12ihipStream_tbEUlT_E_NS1_11comp_targetILNS1_3genE4ELNS1_11target_archE910ELNS1_3gpuE8ELNS1_3repE0EEENS1_30default_config_static_selectorELNS0_4arch9wavefront6targetE0EEEvSR_.uses_flat_scratch, 0
	.set _ZN7rocprim17ROCPRIM_400000_NS6detail17trampoline_kernelINS0_14default_configENS1_32segmented_reduce_config_selectorIN3c108BFloat16EEEZNS1_21segmented_reduce_implIS3_PKS6_PS6_PKiS6_N6hipcub16HIPCUB_304000_NS6detail27convert_result_type_wrapperISA_SB_N2at6native12_GLOBAL__N_19CustomMaxEEEEE10hipError_tPvRmT0_T1_jT2_SS_T4_T3_P12ihipStream_tbEUlT_E_NS1_11comp_targetILNS1_3genE4ELNS1_11target_archE910ELNS1_3gpuE8ELNS1_3repE0EEENS1_30default_config_static_selectorELNS0_4arch9wavefront6targetE0EEEvSR_.has_dyn_sized_stack, 0
	.set _ZN7rocprim17ROCPRIM_400000_NS6detail17trampoline_kernelINS0_14default_configENS1_32segmented_reduce_config_selectorIN3c108BFloat16EEEZNS1_21segmented_reduce_implIS3_PKS6_PS6_PKiS6_N6hipcub16HIPCUB_304000_NS6detail27convert_result_type_wrapperISA_SB_N2at6native12_GLOBAL__N_19CustomMaxEEEEE10hipError_tPvRmT0_T1_jT2_SS_T4_T3_P12ihipStream_tbEUlT_E_NS1_11comp_targetILNS1_3genE4ELNS1_11target_archE910ELNS1_3gpuE8ELNS1_3repE0EEENS1_30default_config_static_selectorELNS0_4arch9wavefront6targetE0EEEvSR_.has_recursion, 0
	.set _ZN7rocprim17ROCPRIM_400000_NS6detail17trampoline_kernelINS0_14default_configENS1_32segmented_reduce_config_selectorIN3c108BFloat16EEEZNS1_21segmented_reduce_implIS3_PKS6_PS6_PKiS6_N6hipcub16HIPCUB_304000_NS6detail27convert_result_type_wrapperISA_SB_N2at6native12_GLOBAL__N_19CustomMaxEEEEE10hipError_tPvRmT0_T1_jT2_SS_T4_T3_P12ihipStream_tbEUlT_E_NS1_11comp_targetILNS1_3genE4ELNS1_11target_archE910ELNS1_3gpuE8ELNS1_3repE0EEENS1_30default_config_static_selectorELNS0_4arch9wavefront6targetE0EEEvSR_.has_indirect_call, 0
	.section	.AMDGPU.csdata,"",@progbits
; Kernel info:
; codeLenInByte = 0
; TotalNumSgprs: 0
; NumVgprs: 0
; ScratchSize: 0
; MemoryBound: 0
; FloatMode: 240
; IeeeMode: 1
; LDSByteSize: 0 bytes/workgroup (compile time only)
; SGPRBlocks: 0
; VGPRBlocks: 0
; NumSGPRsForWavesPerEU: 1
; NumVGPRsForWavesPerEU: 1
; NamedBarCnt: 0
; Occupancy: 16
; WaveLimiterHint : 0
; COMPUTE_PGM_RSRC2:SCRATCH_EN: 0
; COMPUTE_PGM_RSRC2:USER_SGPR: 2
; COMPUTE_PGM_RSRC2:TRAP_HANDLER: 0
; COMPUTE_PGM_RSRC2:TGID_X_EN: 1
; COMPUTE_PGM_RSRC2:TGID_Y_EN: 0
; COMPUTE_PGM_RSRC2:TGID_Z_EN: 0
; COMPUTE_PGM_RSRC2:TIDIG_COMP_CNT: 0
	.section	.text._ZN7rocprim17ROCPRIM_400000_NS6detail17trampoline_kernelINS0_14default_configENS1_32segmented_reduce_config_selectorIN3c108BFloat16EEEZNS1_21segmented_reduce_implIS3_PKS6_PS6_PKiS6_N6hipcub16HIPCUB_304000_NS6detail27convert_result_type_wrapperISA_SB_N2at6native12_GLOBAL__N_19CustomMaxEEEEE10hipError_tPvRmT0_T1_jT2_SS_T4_T3_P12ihipStream_tbEUlT_E_NS1_11comp_targetILNS1_3genE3ELNS1_11target_archE908ELNS1_3gpuE7ELNS1_3repE0EEENS1_30default_config_static_selectorELNS0_4arch9wavefront6targetE0EEEvSR_,"axG",@progbits,_ZN7rocprim17ROCPRIM_400000_NS6detail17trampoline_kernelINS0_14default_configENS1_32segmented_reduce_config_selectorIN3c108BFloat16EEEZNS1_21segmented_reduce_implIS3_PKS6_PS6_PKiS6_N6hipcub16HIPCUB_304000_NS6detail27convert_result_type_wrapperISA_SB_N2at6native12_GLOBAL__N_19CustomMaxEEEEE10hipError_tPvRmT0_T1_jT2_SS_T4_T3_P12ihipStream_tbEUlT_E_NS1_11comp_targetILNS1_3genE3ELNS1_11target_archE908ELNS1_3gpuE7ELNS1_3repE0EEENS1_30default_config_static_selectorELNS0_4arch9wavefront6targetE0EEEvSR_,comdat
	.globl	_ZN7rocprim17ROCPRIM_400000_NS6detail17trampoline_kernelINS0_14default_configENS1_32segmented_reduce_config_selectorIN3c108BFloat16EEEZNS1_21segmented_reduce_implIS3_PKS6_PS6_PKiS6_N6hipcub16HIPCUB_304000_NS6detail27convert_result_type_wrapperISA_SB_N2at6native12_GLOBAL__N_19CustomMaxEEEEE10hipError_tPvRmT0_T1_jT2_SS_T4_T3_P12ihipStream_tbEUlT_E_NS1_11comp_targetILNS1_3genE3ELNS1_11target_archE908ELNS1_3gpuE7ELNS1_3repE0EEENS1_30default_config_static_selectorELNS0_4arch9wavefront6targetE0EEEvSR_ ; -- Begin function _ZN7rocprim17ROCPRIM_400000_NS6detail17trampoline_kernelINS0_14default_configENS1_32segmented_reduce_config_selectorIN3c108BFloat16EEEZNS1_21segmented_reduce_implIS3_PKS6_PS6_PKiS6_N6hipcub16HIPCUB_304000_NS6detail27convert_result_type_wrapperISA_SB_N2at6native12_GLOBAL__N_19CustomMaxEEEEE10hipError_tPvRmT0_T1_jT2_SS_T4_T3_P12ihipStream_tbEUlT_E_NS1_11comp_targetILNS1_3genE3ELNS1_11target_archE908ELNS1_3gpuE7ELNS1_3repE0EEENS1_30default_config_static_selectorELNS0_4arch9wavefront6targetE0EEEvSR_
	.p2align	8
	.type	_ZN7rocprim17ROCPRIM_400000_NS6detail17trampoline_kernelINS0_14default_configENS1_32segmented_reduce_config_selectorIN3c108BFloat16EEEZNS1_21segmented_reduce_implIS3_PKS6_PS6_PKiS6_N6hipcub16HIPCUB_304000_NS6detail27convert_result_type_wrapperISA_SB_N2at6native12_GLOBAL__N_19CustomMaxEEEEE10hipError_tPvRmT0_T1_jT2_SS_T4_T3_P12ihipStream_tbEUlT_E_NS1_11comp_targetILNS1_3genE3ELNS1_11target_archE908ELNS1_3gpuE7ELNS1_3repE0EEENS1_30default_config_static_selectorELNS0_4arch9wavefront6targetE0EEEvSR_,@function
_ZN7rocprim17ROCPRIM_400000_NS6detail17trampoline_kernelINS0_14default_configENS1_32segmented_reduce_config_selectorIN3c108BFloat16EEEZNS1_21segmented_reduce_implIS3_PKS6_PS6_PKiS6_N6hipcub16HIPCUB_304000_NS6detail27convert_result_type_wrapperISA_SB_N2at6native12_GLOBAL__N_19CustomMaxEEEEE10hipError_tPvRmT0_T1_jT2_SS_T4_T3_P12ihipStream_tbEUlT_E_NS1_11comp_targetILNS1_3genE3ELNS1_11target_archE908ELNS1_3gpuE7ELNS1_3repE0EEENS1_30default_config_static_selectorELNS0_4arch9wavefront6targetE0EEEvSR_: ; @_ZN7rocprim17ROCPRIM_400000_NS6detail17trampoline_kernelINS0_14default_configENS1_32segmented_reduce_config_selectorIN3c108BFloat16EEEZNS1_21segmented_reduce_implIS3_PKS6_PS6_PKiS6_N6hipcub16HIPCUB_304000_NS6detail27convert_result_type_wrapperISA_SB_N2at6native12_GLOBAL__N_19CustomMaxEEEEE10hipError_tPvRmT0_T1_jT2_SS_T4_T3_P12ihipStream_tbEUlT_E_NS1_11comp_targetILNS1_3genE3ELNS1_11target_archE908ELNS1_3gpuE7ELNS1_3repE0EEENS1_30default_config_static_selectorELNS0_4arch9wavefront6targetE0EEEvSR_
; %bb.0:
	.section	.rodata,"a",@progbits
	.p2align	6, 0x0
	.amdhsa_kernel _ZN7rocprim17ROCPRIM_400000_NS6detail17trampoline_kernelINS0_14default_configENS1_32segmented_reduce_config_selectorIN3c108BFloat16EEEZNS1_21segmented_reduce_implIS3_PKS6_PS6_PKiS6_N6hipcub16HIPCUB_304000_NS6detail27convert_result_type_wrapperISA_SB_N2at6native12_GLOBAL__N_19CustomMaxEEEEE10hipError_tPvRmT0_T1_jT2_SS_T4_T3_P12ihipStream_tbEUlT_E_NS1_11comp_targetILNS1_3genE3ELNS1_11target_archE908ELNS1_3gpuE7ELNS1_3repE0EEENS1_30default_config_static_selectorELNS0_4arch9wavefront6targetE0EEEvSR_
		.amdhsa_group_segment_fixed_size 0
		.amdhsa_private_segment_fixed_size 0
		.amdhsa_kernarg_size 48
		.amdhsa_user_sgpr_count 2
		.amdhsa_user_sgpr_dispatch_ptr 0
		.amdhsa_user_sgpr_queue_ptr 0
		.amdhsa_user_sgpr_kernarg_segment_ptr 1
		.amdhsa_user_sgpr_dispatch_id 0
		.amdhsa_user_sgpr_kernarg_preload_length 0
		.amdhsa_user_sgpr_kernarg_preload_offset 0
		.amdhsa_user_sgpr_private_segment_size 0
		.amdhsa_wavefront_size32 1
		.amdhsa_uses_dynamic_stack 0
		.amdhsa_enable_private_segment 0
		.amdhsa_system_sgpr_workgroup_id_x 1
		.amdhsa_system_sgpr_workgroup_id_y 0
		.amdhsa_system_sgpr_workgroup_id_z 0
		.amdhsa_system_sgpr_workgroup_info 0
		.amdhsa_system_vgpr_workitem_id 0
		.amdhsa_next_free_vgpr 1
		.amdhsa_next_free_sgpr 1
		.amdhsa_named_barrier_count 0
		.amdhsa_reserve_vcc 0
		.amdhsa_float_round_mode_32 0
		.amdhsa_float_round_mode_16_64 0
		.amdhsa_float_denorm_mode_32 3
		.amdhsa_float_denorm_mode_16_64 3
		.amdhsa_fp16_overflow 0
		.amdhsa_memory_ordered 1
		.amdhsa_forward_progress 1
		.amdhsa_inst_pref_size 0
		.amdhsa_round_robin_scheduling 0
		.amdhsa_exception_fp_ieee_invalid_op 0
		.amdhsa_exception_fp_denorm_src 0
		.amdhsa_exception_fp_ieee_div_zero 0
		.amdhsa_exception_fp_ieee_overflow 0
		.amdhsa_exception_fp_ieee_underflow 0
		.amdhsa_exception_fp_ieee_inexact 0
		.amdhsa_exception_int_div_zero 0
	.end_amdhsa_kernel
	.section	.text._ZN7rocprim17ROCPRIM_400000_NS6detail17trampoline_kernelINS0_14default_configENS1_32segmented_reduce_config_selectorIN3c108BFloat16EEEZNS1_21segmented_reduce_implIS3_PKS6_PS6_PKiS6_N6hipcub16HIPCUB_304000_NS6detail27convert_result_type_wrapperISA_SB_N2at6native12_GLOBAL__N_19CustomMaxEEEEE10hipError_tPvRmT0_T1_jT2_SS_T4_T3_P12ihipStream_tbEUlT_E_NS1_11comp_targetILNS1_3genE3ELNS1_11target_archE908ELNS1_3gpuE7ELNS1_3repE0EEENS1_30default_config_static_selectorELNS0_4arch9wavefront6targetE0EEEvSR_,"axG",@progbits,_ZN7rocprim17ROCPRIM_400000_NS6detail17trampoline_kernelINS0_14default_configENS1_32segmented_reduce_config_selectorIN3c108BFloat16EEEZNS1_21segmented_reduce_implIS3_PKS6_PS6_PKiS6_N6hipcub16HIPCUB_304000_NS6detail27convert_result_type_wrapperISA_SB_N2at6native12_GLOBAL__N_19CustomMaxEEEEE10hipError_tPvRmT0_T1_jT2_SS_T4_T3_P12ihipStream_tbEUlT_E_NS1_11comp_targetILNS1_3genE3ELNS1_11target_archE908ELNS1_3gpuE7ELNS1_3repE0EEENS1_30default_config_static_selectorELNS0_4arch9wavefront6targetE0EEEvSR_,comdat
.Lfunc_end115:
	.size	_ZN7rocprim17ROCPRIM_400000_NS6detail17trampoline_kernelINS0_14default_configENS1_32segmented_reduce_config_selectorIN3c108BFloat16EEEZNS1_21segmented_reduce_implIS3_PKS6_PS6_PKiS6_N6hipcub16HIPCUB_304000_NS6detail27convert_result_type_wrapperISA_SB_N2at6native12_GLOBAL__N_19CustomMaxEEEEE10hipError_tPvRmT0_T1_jT2_SS_T4_T3_P12ihipStream_tbEUlT_E_NS1_11comp_targetILNS1_3genE3ELNS1_11target_archE908ELNS1_3gpuE7ELNS1_3repE0EEENS1_30default_config_static_selectorELNS0_4arch9wavefront6targetE0EEEvSR_, .Lfunc_end115-_ZN7rocprim17ROCPRIM_400000_NS6detail17trampoline_kernelINS0_14default_configENS1_32segmented_reduce_config_selectorIN3c108BFloat16EEEZNS1_21segmented_reduce_implIS3_PKS6_PS6_PKiS6_N6hipcub16HIPCUB_304000_NS6detail27convert_result_type_wrapperISA_SB_N2at6native12_GLOBAL__N_19CustomMaxEEEEE10hipError_tPvRmT0_T1_jT2_SS_T4_T3_P12ihipStream_tbEUlT_E_NS1_11comp_targetILNS1_3genE3ELNS1_11target_archE908ELNS1_3gpuE7ELNS1_3repE0EEENS1_30default_config_static_selectorELNS0_4arch9wavefront6targetE0EEEvSR_
                                        ; -- End function
	.set _ZN7rocprim17ROCPRIM_400000_NS6detail17trampoline_kernelINS0_14default_configENS1_32segmented_reduce_config_selectorIN3c108BFloat16EEEZNS1_21segmented_reduce_implIS3_PKS6_PS6_PKiS6_N6hipcub16HIPCUB_304000_NS6detail27convert_result_type_wrapperISA_SB_N2at6native12_GLOBAL__N_19CustomMaxEEEEE10hipError_tPvRmT0_T1_jT2_SS_T4_T3_P12ihipStream_tbEUlT_E_NS1_11comp_targetILNS1_3genE3ELNS1_11target_archE908ELNS1_3gpuE7ELNS1_3repE0EEENS1_30default_config_static_selectorELNS0_4arch9wavefront6targetE0EEEvSR_.num_vgpr, 0
	.set _ZN7rocprim17ROCPRIM_400000_NS6detail17trampoline_kernelINS0_14default_configENS1_32segmented_reduce_config_selectorIN3c108BFloat16EEEZNS1_21segmented_reduce_implIS3_PKS6_PS6_PKiS6_N6hipcub16HIPCUB_304000_NS6detail27convert_result_type_wrapperISA_SB_N2at6native12_GLOBAL__N_19CustomMaxEEEEE10hipError_tPvRmT0_T1_jT2_SS_T4_T3_P12ihipStream_tbEUlT_E_NS1_11comp_targetILNS1_3genE3ELNS1_11target_archE908ELNS1_3gpuE7ELNS1_3repE0EEENS1_30default_config_static_selectorELNS0_4arch9wavefront6targetE0EEEvSR_.num_agpr, 0
	.set _ZN7rocprim17ROCPRIM_400000_NS6detail17trampoline_kernelINS0_14default_configENS1_32segmented_reduce_config_selectorIN3c108BFloat16EEEZNS1_21segmented_reduce_implIS3_PKS6_PS6_PKiS6_N6hipcub16HIPCUB_304000_NS6detail27convert_result_type_wrapperISA_SB_N2at6native12_GLOBAL__N_19CustomMaxEEEEE10hipError_tPvRmT0_T1_jT2_SS_T4_T3_P12ihipStream_tbEUlT_E_NS1_11comp_targetILNS1_3genE3ELNS1_11target_archE908ELNS1_3gpuE7ELNS1_3repE0EEENS1_30default_config_static_selectorELNS0_4arch9wavefront6targetE0EEEvSR_.numbered_sgpr, 0
	.set _ZN7rocprim17ROCPRIM_400000_NS6detail17trampoline_kernelINS0_14default_configENS1_32segmented_reduce_config_selectorIN3c108BFloat16EEEZNS1_21segmented_reduce_implIS3_PKS6_PS6_PKiS6_N6hipcub16HIPCUB_304000_NS6detail27convert_result_type_wrapperISA_SB_N2at6native12_GLOBAL__N_19CustomMaxEEEEE10hipError_tPvRmT0_T1_jT2_SS_T4_T3_P12ihipStream_tbEUlT_E_NS1_11comp_targetILNS1_3genE3ELNS1_11target_archE908ELNS1_3gpuE7ELNS1_3repE0EEENS1_30default_config_static_selectorELNS0_4arch9wavefront6targetE0EEEvSR_.num_named_barrier, 0
	.set _ZN7rocprim17ROCPRIM_400000_NS6detail17trampoline_kernelINS0_14default_configENS1_32segmented_reduce_config_selectorIN3c108BFloat16EEEZNS1_21segmented_reduce_implIS3_PKS6_PS6_PKiS6_N6hipcub16HIPCUB_304000_NS6detail27convert_result_type_wrapperISA_SB_N2at6native12_GLOBAL__N_19CustomMaxEEEEE10hipError_tPvRmT0_T1_jT2_SS_T4_T3_P12ihipStream_tbEUlT_E_NS1_11comp_targetILNS1_3genE3ELNS1_11target_archE908ELNS1_3gpuE7ELNS1_3repE0EEENS1_30default_config_static_selectorELNS0_4arch9wavefront6targetE0EEEvSR_.private_seg_size, 0
	.set _ZN7rocprim17ROCPRIM_400000_NS6detail17trampoline_kernelINS0_14default_configENS1_32segmented_reduce_config_selectorIN3c108BFloat16EEEZNS1_21segmented_reduce_implIS3_PKS6_PS6_PKiS6_N6hipcub16HIPCUB_304000_NS6detail27convert_result_type_wrapperISA_SB_N2at6native12_GLOBAL__N_19CustomMaxEEEEE10hipError_tPvRmT0_T1_jT2_SS_T4_T3_P12ihipStream_tbEUlT_E_NS1_11comp_targetILNS1_3genE3ELNS1_11target_archE908ELNS1_3gpuE7ELNS1_3repE0EEENS1_30default_config_static_selectorELNS0_4arch9wavefront6targetE0EEEvSR_.uses_vcc, 0
	.set _ZN7rocprim17ROCPRIM_400000_NS6detail17trampoline_kernelINS0_14default_configENS1_32segmented_reduce_config_selectorIN3c108BFloat16EEEZNS1_21segmented_reduce_implIS3_PKS6_PS6_PKiS6_N6hipcub16HIPCUB_304000_NS6detail27convert_result_type_wrapperISA_SB_N2at6native12_GLOBAL__N_19CustomMaxEEEEE10hipError_tPvRmT0_T1_jT2_SS_T4_T3_P12ihipStream_tbEUlT_E_NS1_11comp_targetILNS1_3genE3ELNS1_11target_archE908ELNS1_3gpuE7ELNS1_3repE0EEENS1_30default_config_static_selectorELNS0_4arch9wavefront6targetE0EEEvSR_.uses_flat_scratch, 0
	.set _ZN7rocprim17ROCPRIM_400000_NS6detail17trampoline_kernelINS0_14default_configENS1_32segmented_reduce_config_selectorIN3c108BFloat16EEEZNS1_21segmented_reduce_implIS3_PKS6_PS6_PKiS6_N6hipcub16HIPCUB_304000_NS6detail27convert_result_type_wrapperISA_SB_N2at6native12_GLOBAL__N_19CustomMaxEEEEE10hipError_tPvRmT0_T1_jT2_SS_T4_T3_P12ihipStream_tbEUlT_E_NS1_11comp_targetILNS1_3genE3ELNS1_11target_archE908ELNS1_3gpuE7ELNS1_3repE0EEENS1_30default_config_static_selectorELNS0_4arch9wavefront6targetE0EEEvSR_.has_dyn_sized_stack, 0
	.set _ZN7rocprim17ROCPRIM_400000_NS6detail17trampoline_kernelINS0_14default_configENS1_32segmented_reduce_config_selectorIN3c108BFloat16EEEZNS1_21segmented_reduce_implIS3_PKS6_PS6_PKiS6_N6hipcub16HIPCUB_304000_NS6detail27convert_result_type_wrapperISA_SB_N2at6native12_GLOBAL__N_19CustomMaxEEEEE10hipError_tPvRmT0_T1_jT2_SS_T4_T3_P12ihipStream_tbEUlT_E_NS1_11comp_targetILNS1_3genE3ELNS1_11target_archE908ELNS1_3gpuE7ELNS1_3repE0EEENS1_30default_config_static_selectorELNS0_4arch9wavefront6targetE0EEEvSR_.has_recursion, 0
	.set _ZN7rocprim17ROCPRIM_400000_NS6detail17trampoline_kernelINS0_14default_configENS1_32segmented_reduce_config_selectorIN3c108BFloat16EEEZNS1_21segmented_reduce_implIS3_PKS6_PS6_PKiS6_N6hipcub16HIPCUB_304000_NS6detail27convert_result_type_wrapperISA_SB_N2at6native12_GLOBAL__N_19CustomMaxEEEEE10hipError_tPvRmT0_T1_jT2_SS_T4_T3_P12ihipStream_tbEUlT_E_NS1_11comp_targetILNS1_3genE3ELNS1_11target_archE908ELNS1_3gpuE7ELNS1_3repE0EEENS1_30default_config_static_selectorELNS0_4arch9wavefront6targetE0EEEvSR_.has_indirect_call, 0
	.section	.AMDGPU.csdata,"",@progbits
; Kernel info:
; codeLenInByte = 0
; TotalNumSgprs: 0
; NumVgprs: 0
; ScratchSize: 0
; MemoryBound: 0
; FloatMode: 240
; IeeeMode: 1
; LDSByteSize: 0 bytes/workgroup (compile time only)
; SGPRBlocks: 0
; VGPRBlocks: 0
; NumSGPRsForWavesPerEU: 1
; NumVGPRsForWavesPerEU: 1
; NamedBarCnt: 0
; Occupancy: 16
; WaveLimiterHint : 0
; COMPUTE_PGM_RSRC2:SCRATCH_EN: 0
; COMPUTE_PGM_RSRC2:USER_SGPR: 2
; COMPUTE_PGM_RSRC2:TRAP_HANDLER: 0
; COMPUTE_PGM_RSRC2:TGID_X_EN: 1
; COMPUTE_PGM_RSRC2:TGID_Y_EN: 0
; COMPUTE_PGM_RSRC2:TGID_Z_EN: 0
; COMPUTE_PGM_RSRC2:TIDIG_COMP_CNT: 0
	.section	.text._ZN7rocprim17ROCPRIM_400000_NS6detail17trampoline_kernelINS0_14default_configENS1_32segmented_reduce_config_selectorIN3c108BFloat16EEEZNS1_21segmented_reduce_implIS3_PKS6_PS6_PKiS6_N6hipcub16HIPCUB_304000_NS6detail27convert_result_type_wrapperISA_SB_N2at6native12_GLOBAL__N_19CustomMaxEEEEE10hipError_tPvRmT0_T1_jT2_SS_T4_T3_P12ihipStream_tbEUlT_E_NS1_11comp_targetILNS1_3genE2ELNS1_11target_archE906ELNS1_3gpuE6ELNS1_3repE0EEENS1_30default_config_static_selectorELNS0_4arch9wavefront6targetE0EEEvSR_,"axG",@progbits,_ZN7rocprim17ROCPRIM_400000_NS6detail17trampoline_kernelINS0_14default_configENS1_32segmented_reduce_config_selectorIN3c108BFloat16EEEZNS1_21segmented_reduce_implIS3_PKS6_PS6_PKiS6_N6hipcub16HIPCUB_304000_NS6detail27convert_result_type_wrapperISA_SB_N2at6native12_GLOBAL__N_19CustomMaxEEEEE10hipError_tPvRmT0_T1_jT2_SS_T4_T3_P12ihipStream_tbEUlT_E_NS1_11comp_targetILNS1_3genE2ELNS1_11target_archE906ELNS1_3gpuE6ELNS1_3repE0EEENS1_30default_config_static_selectorELNS0_4arch9wavefront6targetE0EEEvSR_,comdat
	.globl	_ZN7rocprim17ROCPRIM_400000_NS6detail17trampoline_kernelINS0_14default_configENS1_32segmented_reduce_config_selectorIN3c108BFloat16EEEZNS1_21segmented_reduce_implIS3_PKS6_PS6_PKiS6_N6hipcub16HIPCUB_304000_NS6detail27convert_result_type_wrapperISA_SB_N2at6native12_GLOBAL__N_19CustomMaxEEEEE10hipError_tPvRmT0_T1_jT2_SS_T4_T3_P12ihipStream_tbEUlT_E_NS1_11comp_targetILNS1_3genE2ELNS1_11target_archE906ELNS1_3gpuE6ELNS1_3repE0EEENS1_30default_config_static_selectorELNS0_4arch9wavefront6targetE0EEEvSR_ ; -- Begin function _ZN7rocprim17ROCPRIM_400000_NS6detail17trampoline_kernelINS0_14default_configENS1_32segmented_reduce_config_selectorIN3c108BFloat16EEEZNS1_21segmented_reduce_implIS3_PKS6_PS6_PKiS6_N6hipcub16HIPCUB_304000_NS6detail27convert_result_type_wrapperISA_SB_N2at6native12_GLOBAL__N_19CustomMaxEEEEE10hipError_tPvRmT0_T1_jT2_SS_T4_T3_P12ihipStream_tbEUlT_E_NS1_11comp_targetILNS1_3genE2ELNS1_11target_archE906ELNS1_3gpuE6ELNS1_3repE0EEENS1_30default_config_static_selectorELNS0_4arch9wavefront6targetE0EEEvSR_
	.p2align	8
	.type	_ZN7rocprim17ROCPRIM_400000_NS6detail17trampoline_kernelINS0_14default_configENS1_32segmented_reduce_config_selectorIN3c108BFloat16EEEZNS1_21segmented_reduce_implIS3_PKS6_PS6_PKiS6_N6hipcub16HIPCUB_304000_NS6detail27convert_result_type_wrapperISA_SB_N2at6native12_GLOBAL__N_19CustomMaxEEEEE10hipError_tPvRmT0_T1_jT2_SS_T4_T3_P12ihipStream_tbEUlT_E_NS1_11comp_targetILNS1_3genE2ELNS1_11target_archE906ELNS1_3gpuE6ELNS1_3repE0EEENS1_30default_config_static_selectorELNS0_4arch9wavefront6targetE0EEEvSR_,@function
_ZN7rocprim17ROCPRIM_400000_NS6detail17trampoline_kernelINS0_14default_configENS1_32segmented_reduce_config_selectorIN3c108BFloat16EEEZNS1_21segmented_reduce_implIS3_PKS6_PS6_PKiS6_N6hipcub16HIPCUB_304000_NS6detail27convert_result_type_wrapperISA_SB_N2at6native12_GLOBAL__N_19CustomMaxEEEEE10hipError_tPvRmT0_T1_jT2_SS_T4_T3_P12ihipStream_tbEUlT_E_NS1_11comp_targetILNS1_3genE2ELNS1_11target_archE906ELNS1_3gpuE6ELNS1_3repE0EEENS1_30default_config_static_selectorELNS0_4arch9wavefront6targetE0EEEvSR_: ; @_ZN7rocprim17ROCPRIM_400000_NS6detail17trampoline_kernelINS0_14default_configENS1_32segmented_reduce_config_selectorIN3c108BFloat16EEEZNS1_21segmented_reduce_implIS3_PKS6_PS6_PKiS6_N6hipcub16HIPCUB_304000_NS6detail27convert_result_type_wrapperISA_SB_N2at6native12_GLOBAL__N_19CustomMaxEEEEE10hipError_tPvRmT0_T1_jT2_SS_T4_T3_P12ihipStream_tbEUlT_E_NS1_11comp_targetILNS1_3genE2ELNS1_11target_archE906ELNS1_3gpuE6ELNS1_3repE0EEENS1_30default_config_static_selectorELNS0_4arch9wavefront6targetE0EEEvSR_
; %bb.0:
	.section	.rodata,"a",@progbits
	.p2align	6, 0x0
	.amdhsa_kernel _ZN7rocprim17ROCPRIM_400000_NS6detail17trampoline_kernelINS0_14default_configENS1_32segmented_reduce_config_selectorIN3c108BFloat16EEEZNS1_21segmented_reduce_implIS3_PKS6_PS6_PKiS6_N6hipcub16HIPCUB_304000_NS6detail27convert_result_type_wrapperISA_SB_N2at6native12_GLOBAL__N_19CustomMaxEEEEE10hipError_tPvRmT0_T1_jT2_SS_T4_T3_P12ihipStream_tbEUlT_E_NS1_11comp_targetILNS1_3genE2ELNS1_11target_archE906ELNS1_3gpuE6ELNS1_3repE0EEENS1_30default_config_static_selectorELNS0_4arch9wavefront6targetE0EEEvSR_
		.amdhsa_group_segment_fixed_size 0
		.amdhsa_private_segment_fixed_size 0
		.amdhsa_kernarg_size 48
		.amdhsa_user_sgpr_count 2
		.amdhsa_user_sgpr_dispatch_ptr 0
		.amdhsa_user_sgpr_queue_ptr 0
		.amdhsa_user_sgpr_kernarg_segment_ptr 1
		.amdhsa_user_sgpr_dispatch_id 0
		.amdhsa_user_sgpr_kernarg_preload_length 0
		.amdhsa_user_sgpr_kernarg_preload_offset 0
		.amdhsa_user_sgpr_private_segment_size 0
		.amdhsa_wavefront_size32 1
		.amdhsa_uses_dynamic_stack 0
		.amdhsa_enable_private_segment 0
		.amdhsa_system_sgpr_workgroup_id_x 1
		.amdhsa_system_sgpr_workgroup_id_y 0
		.amdhsa_system_sgpr_workgroup_id_z 0
		.amdhsa_system_sgpr_workgroup_info 0
		.amdhsa_system_vgpr_workitem_id 0
		.amdhsa_next_free_vgpr 1
		.amdhsa_next_free_sgpr 1
		.amdhsa_named_barrier_count 0
		.amdhsa_reserve_vcc 0
		.amdhsa_float_round_mode_32 0
		.amdhsa_float_round_mode_16_64 0
		.amdhsa_float_denorm_mode_32 3
		.amdhsa_float_denorm_mode_16_64 3
		.amdhsa_fp16_overflow 0
		.amdhsa_memory_ordered 1
		.amdhsa_forward_progress 1
		.amdhsa_inst_pref_size 0
		.amdhsa_round_robin_scheduling 0
		.amdhsa_exception_fp_ieee_invalid_op 0
		.amdhsa_exception_fp_denorm_src 0
		.amdhsa_exception_fp_ieee_div_zero 0
		.amdhsa_exception_fp_ieee_overflow 0
		.amdhsa_exception_fp_ieee_underflow 0
		.amdhsa_exception_fp_ieee_inexact 0
		.amdhsa_exception_int_div_zero 0
	.end_amdhsa_kernel
	.section	.text._ZN7rocprim17ROCPRIM_400000_NS6detail17trampoline_kernelINS0_14default_configENS1_32segmented_reduce_config_selectorIN3c108BFloat16EEEZNS1_21segmented_reduce_implIS3_PKS6_PS6_PKiS6_N6hipcub16HIPCUB_304000_NS6detail27convert_result_type_wrapperISA_SB_N2at6native12_GLOBAL__N_19CustomMaxEEEEE10hipError_tPvRmT0_T1_jT2_SS_T4_T3_P12ihipStream_tbEUlT_E_NS1_11comp_targetILNS1_3genE2ELNS1_11target_archE906ELNS1_3gpuE6ELNS1_3repE0EEENS1_30default_config_static_selectorELNS0_4arch9wavefront6targetE0EEEvSR_,"axG",@progbits,_ZN7rocprim17ROCPRIM_400000_NS6detail17trampoline_kernelINS0_14default_configENS1_32segmented_reduce_config_selectorIN3c108BFloat16EEEZNS1_21segmented_reduce_implIS3_PKS6_PS6_PKiS6_N6hipcub16HIPCUB_304000_NS6detail27convert_result_type_wrapperISA_SB_N2at6native12_GLOBAL__N_19CustomMaxEEEEE10hipError_tPvRmT0_T1_jT2_SS_T4_T3_P12ihipStream_tbEUlT_E_NS1_11comp_targetILNS1_3genE2ELNS1_11target_archE906ELNS1_3gpuE6ELNS1_3repE0EEENS1_30default_config_static_selectorELNS0_4arch9wavefront6targetE0EEEvSR_,comdat
.Lfunc_end116:
	.size	_ZN7rocprim17ROCPRIM_400000_NS6detail17trampoline_kernelINS0_14default_configENS1_32segmented_reduce_config_selectorIN3c108BFloat16EEEZNS1_21segmented_reduce_implIS3_PKS6_PS6_PKiS6_N6hipcub16HIPCUB_304000_NS6detail27convert_result_type_wrapperISA_SB_N2at6native12_GLOBAL__N_19CustomMaxEEEEE10hipError_tPvRmT0_T1_jT2_SS_T4_T3_P12ihipStream_tbEUlT_E_NS1_11comp_targetILNS1_3genE2ELNS1_11target_archE906ELNS1_3gpuE6ELNS1_3repE0EEENS1_30default_config_static_selectorELNS0_4arch9wavefront6targetE0EEEvSR_, .Lfunc_end116-_ZN7rocprim17ROCPRIM_400000_NS6detail17trampoline_kernelINS0_14default_configENS1_32segmented_reduce_config_selectorIN3c108BFloat16EEEZNS1_21segmented_reduce_implIS3_PKS6_PS6_PKiS6_N6hipcub16HIPCUB_304000_NS6detail27convert_result_type_wrapperISA_SB_N2at6native12_GLOBAL__N_19CustomMaxEEEEE10hipError_tPvRmT0_T1_jT2_SS_T4_T3_P12ihipStream_tbEUlT_E_NS1_11comp_targetILNS1_3genE2ELNS1_11target_archE906ELNS1_3gpuE6ELNS1_3repE0EEENS1_30default_config_static_selectorELNS0_4arch9wavefront6targetE0EEEvSR_
                                        ; -- End function
	.set _ZN7rocprim17ROCPRIM_400000_NS6detail17trampoline_kernelINS0_14default_configENS1_32segmented_reduce_config_selectorIN3c108BFloat16EEEZNS1_21segmented_reduce_implIS3_PKS6_PS6_PKiS6_N6hipcub16HIPCUB_304000_NS6detail27convert_result_type_wrapperISA_SB_N2at6native12_GLOBAL__N_19CustomMaxEEEEE10hipError_tPvRmT0_T1_jT2_SS_T4_T3_P12ihipStream_tbEUlT_E_NS1_11comp_targetILNS1_3genE2ELNS1_11target_archE906ELNS1_3gpuE6ELNS1_3repE0EEENS1_30default_config_static_selectorELNS0_4arch9wavefront6targetE0EEEvSR_.num_vgpr, 0
	.set _ZN7rocprim17ROCPRIM_400000_NS6detail17trampoline_kernelINS0_14default_configENS1_32segmented_reduce_config_selectorIN3c108BFloat16EEEZNS1_21segmented_reduce_implIS3_PKS6_PS6_PKiS6_N6hipcub16HIPCUB_304000_NS6detail27convert_result_type_wrapperISA_SB_N2at6native12_GLOBAL__N_19CustomMaxEEEEE10hipError_tPvRmT0_T1_jT2_SS_T4_T3_P12ihipStream_tbEUlT_E_NS1_11comp_targetILNS1_3genE2ELNS1_11target_archE906ELNS1_3gpuE6ELNS1_3repE0EEENS1_30default_config_static_selectorELNS0_4arch9wavefront6targetE0EEEvSR_.num_agpr, 0
	.set _ZN7rocprim17ROCPRIM_400000_NS6detail17trampoline_kernelINS0_14default_configENS1_32segmented_reduce_config_selectorIN3c108BFloat16EEEZNS1_21segmented_reduce_implIS3_PKS6_PS6_PKiS6_N6hipcub16HIPCUB_304000_NS6detail27convert_result_type_wrapperISA_SB_N2at6native12_GLOBAL__N_19CustomMaxEEEEE10hipError_tPvRmT0_T1_jT2_SS_T4_T3_P12ihipStream_tbEUlT_E_NS1_11comp_targetILNS1_3genE2ELNS1_11target_archE906ELNS1_3gpuE6ELNS1_3repE0EEENS1_30default_config_static_selectorELNS0_4arch9wavefront6targetE0EEEvSR_.numbered_sgpr, 0
	.set _ZN7rocprim17ROCPRIM_400000_NS6detail17trampoline_kernelINS0_14default_configENS1_32segmented_reduce_config_selectorIN3c108BFloat16EEEZNS1_21segmented_reduce_implIS3_PKS6_PS6_PKiS6_N6hipcub16HIPCUB_304000_NS6detail27convert_result_type_wrapperISA_SB_N2at6native12_GLOBAL__N_19CustomMaxEEEEE10hipError_tPvRmT0_T1_jT2_SS_T4_T3_P12ihipStream_tbEUlT_E_NS1_11comp_targetILNS1_3genE2ELNS1_11target_archE906ELNS1_3gpuE6ELNS1_3repE0EEENS1_30default_config_static_selectorELNS0_4arch9wavefront6targetE0EEEvSR_.num_named_barrier, 0
	.set _ZN7rocprim17ROCPRIM_400000_NS6detail17trampoline_kernelINS0_14default_configENS1_32segmented_reduce_config_selectorIN3c108BFloat16EEEZNS1_21segmented_reduce_implIS3_PKS6_PS6_PKiS6_N6hipcub16HIPCUB_304000_NS6detail27convert_result_type_wrapperISA_SB_N2at6native12_GLOBAL__N_19CustomMaxEEEEE10hipError_tPvRmT0_T1_jT2_SS_T4_T3_P12ihipStream_tbEUlT_E_NS1_11comp_targetILNS1_3genE2ELNS1_11target_archE906ELNS1_3gpuE6ELNS1_3repE0EEENS1_30default_config_static_selectorELNS0_4arch9wavefront6targetE0EEEvSR_.private_seg_size, 0
	.set _ZN7rocprim17ROCPRIM_400000_NS6detail17trampoline_kernelINS0_14default_configENS1_32segmented_reduce_config_selectorIN3c108BFloat16EEEZNS1_21segmented_reduce_implIS3_PKS6_PS6_PKiS6_N6hipcub16HIPCUB_304000_NS6detail27convert_result_type_wrapperISA_SB_N2at6native12_GLOBAL__N_19CustomMaxEEEEE10hipError_tPvRmT0_T1_jT2_SS_T4_T3_P12ihipStream_tbEUlT_E_NS1_11comp_targetILNS1_3genE2ELNS1_11target_archE906ELNS1_3gpuE6ELNS1_3repE0EEENS1_30default_config_static_selectorELNS0_4arch9wavefront6targetE0EEEvSR_.uses_vcc, 0
	.set _ZN7rocprim17ROCPRIM_400000_NS6detail17trampoline_kernelINS0_14default_configENS1_32segmented_reduce_config_selectorIN3c108BFloat16EEEZNS1_21segmented_reduce_implIS3_PKS6_PS6_PKiS6_N6hipcub16HIPCUB_304000_NS6detail27convert_result_type_wrapperISA_SB_N2at6native12_GLOBAL__N_19CustomMaxEEEEE10hipError_tPvRmT0_T1_jT2_SS_T4_T3_P12ihipStream_tbEUlT_E_NS1_11comp_targetILNS1_3genE2ELNS1_11target_archE906ELNS1_3gpuE6ELNS1_3repE0EEENS1_30default_config_static_selectorELNS0_4arch9wavefront6targetE0EEEvSR_.uses_flat_scratch, 0
	.set _ZN7rocprim17ROCPRIM_400000_NS6detail17trampoline_kernelINS0_14default_configENS1_32segmented_reduce_config_selectorIN3c108BFloat16EEEZNS1_21segmented_reduce_implIS3_PKS6_PS6_PKiS6_N6hipcub16HIPCUB_304000_NS6detail27convert_result_type_wrapperISA_SB_N2at6native12_GLOBAL__N_19CustomMaxEEEEE10hipError_tPvRmT0_T1_jT2_SS_T4_T3_P12ihipStream_tbEUlT_E_NS1_11comp_targetILNS1_3genE2ELNS1_11target_archE906ELNS1_3gpuE6ELNS1_3repE0EEENS1_30default_config_static_selectorELNS0_4arch9wavefront6targetE0EEEvSR_.has_dyn_sized_stack, 0
	.set _ZN7rocprim17ROCPRIM_400000_NS6detail17trampoline_kernelINS0_14default_configENS1_32segmented_reduce_config_selectorIN3c108BFloat16EEEZNS1_21segmented_reduce_implIS3_PKS6_PS6_PKiS6_N6hipcub16HIPCUB_304000_NS6detail27convert_result_type_wrapperISA_SB_N2at6native12_GLOBAL__N_19CustomMaxEEEEE10hipError_tPvRmT0_T1_jT2_SS_T4_T3_P12ihipStream_tbEUlT_E_NS1_11comp_targetILNS1_3genE2ELNS1_11target_archE906ELNS1_3gpuE6ELNS1_3repE0EEENS1_30default_config_static_selectorELNS0_4arch9wavefront6targetE0EEEvSR_.has_recursion, 0
	.set _ZN7rocprim17ROCPRIM_400000_NS6detail17trampoline_kernelINS0_14default_configENS1_32segmented_reduce_config_selectorIN3c108BFloat16EEEZNS1_21segmented_reduce_implIS3_PKS6_PS6_PKiS6_N6hipcub16HIPCUB_304000_NS6detail27convert_result_type_wrapperISA_SB_N2at6native12_GLOBAL__N_19CustomMaxEEEEE10hipError_tPvRmT0_T1_jT2_SS_T4_T3_P12ihipStream_tbEUlT_E_NS1_11comp_targetILNS1_3genE2ELNS1_11target_archE906ELNS1_3gpuE6ELNS1_3repE0EEENS1_30default_config_static_selectorELNS0_4arch9wavefront6targetE0EEEvSR_.has_indirect_call, 0
	.section	.AMDGPU.csdata,"",@progbits
; Kernel info:
; codeLenInByte = 0
; TotalNumSgprs: 0
; NumVgprs: 0
; ScratchSize: 0
; MemoryBound: 0
; FloatMode: 240
; IeeeMode: 1
; LDSByteSize: 0 bytes/workgroup (compile time only)
; SGPRBlocks: 0
; VGPRBlocks: 0
; NumSGPRsForWavesPerEU: 1
; NumVGPRsForWavesPerEU: 1
; NamedBarCnt: 0
; Occupancy: 16
; WaveLimiterHint : 0
; COMPUTE_PGM_RSRC2:SCRATCH_EN: 0
; COMPUTE_PGM_RSRC2:USER_SGPR: 2
; COMPUTE_PGM_RSRC2:TRAP_HANDLER: 0
; COMPUTE_PGM_RSRC2:TGID_X_EN: 1
; COMPUTE_PGM_RSRC2:TGID_Y_EN: 0
; COMPUTE_PGM_RSRC2:TGID_Z_EN: 0
; COMPUTE_PGM_RSRC2:TIDIG_COMP_CNT: 0
	.section	.text._ZN7rocprim17ROCPRIM_400000_NS6detail17trampoline_kernelINS0_14default_configENS1_32segmented_reduce_config_selectorIN3c108BFloat16EEEZNS1_21segmented_reduce_implIS3_PKS6_PS6_PKiS6_N6hipcub16HIPCUB_304000_NS6detail27convert_result_type_wrapperISA_SB_N2at6native12_GLOBAL__N_19CustomMaxEEEEE10hipError_tPvRmT0_T1_jT2_SS_T4_T3_P12ihipStream_tbEUlT_E_NS1_11comp_targetILNS1_3genE9ELNS1_11target_archE1100ELNS1_3gpuE3ELNS1_3repE0EEENS1_30default_config_static_selectorELNS0_4arch9wavefront6targetE0EEEvSR_,"axG",@progbits,_ZN7rocprim17ROCPRIM_400000_NS6detail17trampoline_kernelINS0_14default_configENS1_32segmented_reduce_config_selectorIN3c108BFloat16EEEZNS1_21segmented_reduce_implIS3_PKS6_PS6_PKiS6_N6hipcub16HIPCUB_304000_NS6detail27convert_result_type_wrapperISA_SB_N2at6native12_GLOBAL__N_19CustomMaxEEEEE10hipError_tPvRmT0_T1_jT2_SS_T4_T3_P12ihipStream_tbEUlT_E_NS1_11comp_targetILNS1_3genE9ELNS1_11target_archE1100ELNS1_3gpuE3ELNS1_3repE0EEENS1_30default_config_static_selectorELNS0_4arch9wavefront6targetE0EEEvSR_,comdat
	.globl	_ZN7rocprim17ROCPRIM_400000_NS6detail17trampoline_kernelINS0_14default_configENS1_32segmented_reduce_config_selectorIN3c108BFloat16EEEZNS1_21segmented_reduce_implIS3_PKS6_PS6_PKiS6_N6hipcub16HIPCUB_304000_NS6detail27convert_result_type_wrapperISA_SB_N2at6native12_GLOBAL__N_19CustomMaxEEEEE10hipError_tPvRmT0_T1_jT2_SS_T4_T3_P12ihipStream_tbEUlT_E_NS1_11comp_targetILNS1_3genE9ELNS1_11target_archE1100ELNS1_3gpuE3ELNS1_3repE0EEENS1_30default_config_static_selectorELNS0_4arch9wavefront6targetE0EEEvSR_ ; -- Begin function _ZN7rocprim17ROCPRIM_400000_NS6detail17trampoline_kernelINS0_14default_configENS1_32segmented_reduce_config_selectorIN3c108BFloat16EEEZNS1_21segmented_reduce_implIS3_PKS6_PS6_PKiS6_N6hipcub16HIPCUB_304000_NS6detail27convert_result_type_wrapperISA_SB_N2at6native12_GLOBAL__N_19CustomMaxEEEEE10hipError_tPvRmT0_T1_jT2_SS_T4_T3_P12ihipStream_tbEUlT_E_NS1_11comp_targetILNS1_3genE9ELNS1_11target_archE1100ELNS1_3gpuE3ELNS1_3repE0EEENS1_30default_config_static_selectorELNS0_4arch9wavefront6targetE0EEEvSR_
	.p2align	8
	.type	_ZN7rocprim17ROCPRIM_400000_NS6detail17trampoline_kernelINS0_14default_configENS1_32segmented_reduce_config_selectorIN3c108BFloat16EEEZNS1_21segmented_reduce_implIS3_PKS6_PS6_PKiS6_N6hipcub16HIPCUB_304000_NS6detail27convert_result_type_wrapperISA_SB_N2at6native12_GLOBAL__N_19CustomMaxEEEEE10hipError_tPvRmT0_T1_jT2_SS_T4_T3_P12ihipStream_tbEUlT_E_NS1_11comp_targetILNS1_3genE9ELNS1_11target_archE1100ELNS1_3gpuE3ELNS1_3repE0EEENS1_30default_config_static_selectorELNS0_4arch9wavefront6targetE0EEEvSR_,@function
_ZN7rocprim17ROCPRIM_400000_NS6detail17trampoline_kernelINS0_14default_configENS1_32segmented_reduce_config_selectorIN3c108BFloat16EEEZNS1_21segmented_reduce_implIS3_PKS6_PS6_PKiS6_N6hipcub16HIPCUB_304000_NS6detail27convert_result_type_wrapperISA_SB_N2at6native12_GLOBAL__N_19CustomMaxEEEEE10hipError_tPvRmT0_T1_jT2_SS_T4_T3_P12ihipStream_tbEUlT_E_NS1_11comp_targetILNS1_3genE9ELNS1_11target_archE1100ELNS1_3gpuE3ELNS1_3repE0EEENS1_30default_config_static_selectorELNS0_4arch9wavefront6targetE0EEEvSR_: ; @_ZN7rocprim17ROCPRIM_400000_NS6detail17trampoline_kernelINS0_14default_configENS1_32segmented_reduce_config_selectorIN3c108BFloat16EEEZNS1_21segmented_reduce_implIS3_PKS6_PS6_PKiS6_N6hipcub16HIPCUB_304000_NS6detail27convert_result_type_wrapperISA_SB_N2at6native12_GLOBAL__N_19CustomMaxEEEEE10hipError_tPvRmT0_T1_jT2_SS_T4_T3_P12ihipStream_tbEUlT_E_NS1_11comp_targetILNS1_3genE9ELNS1_11target_archE1100ELNS1_3gpuE3ELNS1_3repE0EEENS1_30default_config_static_selectorELNS0_4arch9wavefront6targetE0EEEvSR_
; %bb.0:
	.section	.rodata,"a",@progbits
	.p2align	6, 0x0
	.amdhsa_kernel _ZN7rocprim17ROCPRIM_400000_NS6detail17trampoline_kernelINS0_14default_configENS1_32segmented_reduce_config_selectorIN3c108BFloat16EEEZNS1_21segmented_reduce_implIS3_PKS6_PS6_PKiS6_N6hipcub16HIPCUB_304000_NS6detail27convert_result_type_wrapperISA_SB_N2at6native12_GLOBAL__N_19CustomMaxEEEEE10hipError_tPvRmT0_T1_jT2_SS_T4_T3_P12ihipStream_tbEUlT_E_NS1_11comp_targetILNS1_3genE9ELNS1_11target_archE1100ELNS1_3gpuE3ELNS1_3repE0EEENS1_30default_config_static_selectorELNS0_4arch9wavefront6targetE0EEEvSR_
		.amdhsa_group_segment_fixed_size 0
		.amdhsa_private_segment_fixed_size 0
		.amdhsa_kernarg_size 48
		.amdhsa_user_sgpr_count 2
		.amdhsa_user_sgpr_dispatch_ptr 0
		.amdhsa_user_sgpr_queue_ptr 0
		.amdhsa_user_sgpr_kernarg_segment_ptr 1
		.amdhsa_user_sgpr_dispatch_id 0
		.amdhsa_user_sgpr_kernarg_preload_length 0
		.amdhsa_user_sgpr_kernarg_preload_offset 0
		.amdhsa_user_sgpr_private_segment_size 0
		.amdhsa_wavefront_size32 1
		.amdhsa_uses_dynamic_stack 0
		.amdhsa_enable_private_segment 0
		.amdhsa_system_sgpr_workgroup_id_x 1
		.amdhsa_system_sgpr_workgroup_id_y 0
		.amdhsa_system_sgpr_workgroup_id_z 0
		.amdhsa_system_sgpr_workgroup_info 0
		.amdhsa_system_vgpr_workitem_id 0
		.amdhsa_next_free_vgpr 1
		.amdhsa_next_free_sgpr 1
		.amdhsa_named_barrier_count 0
		.amdhsa_reserve_vcc 0
		.amdhsa_float_round_mode_32 0
		.amdhsa_float_round_mode_16_64 0
		.amdhsa_float_denorm_mode_32 3
		.amdhsa_float_denorm_mode_16_64 3
		.amdhsa_fp16_overflow 0
		.amdhsa_memory_ordered 1
		.amdhsa_forward_progress 1
		.amdhsa_inst_pref_size 0
		.amdhsa_round_robin_scheduling 0
		.amdhsa_exception_fp_ieee_invalid_op 0
		.amdhsa_exception_fp_denorm_src 0
		.amdhsa_exception_fp_ieee_div_zero 0
		.amdhsa_exception_fp_ieee_overflow 0
		.amdhsa_exception_fp_ieee_underflow 0
		.amdhsa_exception_fp_ieee_inexact 0
		.amdhsa_exception_int_div_zero 0
	.end_amdhsa_kernel
	.section	.text._ZN7rocprim17ROCPRIM_400000_NS6detail17trampoline_kernelINS0_14default_configENS1_32segmented_reduce_config_selectorIN3c108BFloat16EEEZNS1_21segmented_reduce_implIS3_PKS6_PS6_PKiS6_N6hipcub16HIPCUB_304000_NS6detail27convert_result_type_wrapperISA_SB_N2at6native12_GLOBAL__N_19CustomMaxEEEEE10hipError_tPvRmT0_T1_jT2_SS_T4_T3_P12ihipStream_tbEUlT_E_NS1_11comp_targetILNS1_3genE9ELNS1_11target_archE1100ELNS1_3gpuE3ELNS1_3repE0EEENS1_30default_config_static_selectorELNS0_4arch9wavefront6targetE0EEEvSR_,"axG",@progbits,_ZN7rocprim17ROCPRIM_400000_NS6detail17trampoline_kernelINS0_14default_configENS1_32segmented_reduce_config_selectorIN3c108BFloat16EEEZNS1_21segmented_reduce_implIS3_PKS6_PS6_PKiS6_N6hipcub16HIPCUB_304000_NS6detail27convert_result_type_wrapperISA_SB_N2at6native12_GLOBAL__N_19CustomMaxEEEEE10hipError_tPvRmT0_T1_jT2_SS_T4_T3_P12ihipStream_tbEUlT_E_NS1_11comp_targetILNS1_3genE9ELNS1_11target_archE1100ELNS1_3gpuE3ELNS1_3repE0EEENS1_30default_config_static_selectorELNS0_4arch9wavefront6targetE0EEEvSR_,comdat
.Lfunc_end117:
	.size	_ZN7rocprim17ROCPRIM_400000_NS6detail17trampoline_kernelINS0_14default_configENS1_32segmented_reduce_config_selectorIN3c108BFloat16EEEZNS1_21segmented_reduce_implIS3_PKS6_PS6_PKiS6_N6hipcub16HIPCUB_304000_NS6detail27convert_result_type_wrapperISA_SB_N2at6native12_GLOBAL__N_19CustomMaxEEEEE10hipError_tPvRmT0_T1_jT2_SS_T4_T3_P12ihipStream_tbEUlT_E_NS1_11comp_targetILNS1_3genE9ELNS1_11target_archE1100ELNS1_3gpuE3ELNS1_3repE0EEENS1_30default_config_static_selectorELNS0_4arch9wavefront6targetE0EEEvSR_, .Lfunc_end117-_ZN7rocprim17ROCPRIM_400000_NS6detail17trampoline_kernelINS0_14default_configENS1_32segmented_reduce_config_selectorIN3c108BFloat16EEEZNS1_21segmented_reduce_implIS3_PKS6_PS6_PKiS6_N6hipcub16HIPCUB_304000_NS6detail27convert_result_type_wrapperISA_SB_N2at6native12_GLOBAL__N_19CustomMaxEEEEE10hipError_tPvRmT0_T1_jT2_SS_T4_T3_P12ihipStream_tbEUlT_E_NS1_11comp_targetILNS1_3genE9ELNS1_11target_archE1100ELNS1_3gpuE3ELNS1_3repE0EEENS1_30default_config_static_selectorELNS0_4arch9wavefront6targetE0EEEvSR_
                                        ; -- End function
	.set _ZN7rocprim17ROCPRIM_400000_NS6detail17trampoline_kernelINS0_14default_configENS1_32segmented_reduce_config_selectorIN3c108BFloat16EEEZNS1_21segmented_reduce_implIS3_PKS6_PS6_PKiS6_N6hipcub16HIPCUB_304000_NS6detail27convert_result_type_wrapperISA_SB_N2at6native12_GLOBAL__N_19CustomMaxEEEEE10hipError_tPvRmT0_T1_jT2_SS_T4_T3_P12ihipStream_tbEUlT_E_NS1_11comp_targetILNS1_3genE9ELNS1_11target_archE1100ELNS1_3gpuE3ELNS1_3repE0EEENS1_30default_config_static_selectorELNS0_4arch9wavefront6targetE0EEEvSR_.num_vgpr, 0
	.set _ZN7rocprim17ROCPRIM_400000_NS6detail17trampoline_kernelINS0_14default_configENS1_32segmented_reduce_config_selectorIN3c108BFloat16EEEZNS1_21segmented_reduce_implIS3_PKS6_PS6_PKiS6_N6hipcub16HIPCUB_304000_NS6detail27convert_result_type_wrapperISA_SB_N2at6native12_GLOBAL__N_19CustomMaxEEEEE10hipError_tPvRmT0_T1_jT2_SS_T4_T3_P12ihipStream_tbEUlT_E_NS1_11comp_targetILNS1_3genE9ELNS1_11target_archE1100ELNS1_3gpuE3ELNS1_3repE0EEENS1_30default_config_static_selectorELNS0_4arch9wavefront6targetE0EEEvSR_.num_agpr, 0
	.set _ZN7rocprim17ROCPRIM_400000_NS6detail17trampoline_kernelINS0_14default_configENS1_32segmented_reduce_config_selectorIN3c108BFloat16EEEZNS1_21segmented_reduce_implIS3_PKS6_PS6_PKiS6_N6hipcub16HIPCUB_304000_NS6detail27convert_result_type_wrapperISA_SB_N2at6native12_GLOBAL__N_19CustomMaxEEEEE10hipError_tPvRmT0_T1_jT2_SS_T4_T3_P12ihipStream_tbEUlT_E_NS1_11comp_targetILNS1_3genE9ELNS1_11target_archE1100ELNS1_3gpuE3ELNS1_3repE0EEENS1_30default_config_static_selectorELNS0_4arch9wavefront6targetE0EEEvSR_.numbered_sgpr, 0
	.set _ZN7rocprim17ROCPRIM_400000_NS6detail17trampoline_kernelINS0_14default_configENS1_32segmented_reduce_config_selectorIN3c108BFloat16EEEZNS1_21segmented_reduce_implIS3_PKS6_PS6_PKiS6_N6hipcub16HIPCUB_304000_NS6detail27convert_result_type_wrapperISA_SB_N2at6native12_GLOBAL__N_19CustomMaxEEEEE10hipError_tPvRmT0_T1_jT2_SS_T4_T3_P12ihipStream_tbEUlT_E_NS1_11comp_targetILNS1_3genE9ELNS1_11target_archE1100ELNS1_3gpuE3ELNS1_3repE0EEENS1_30default_config_static_selectorELNS0_4arch9wavefront6targetE0EEEvSR_.num_named_barrier, 0
	.set _ZN7rocprim17ROCPRIM_400000_NS6detail17trampoline_kernelINS0_14default_configENS1_32segmented_reduce_config_selectorIN3c108BFloat16EEEZNS1_21segmented_reduce_implIS3_PKS6_PS6_PKiS6_N6hipcub16HIPCUB_304000_NS6detail27convert_result_type_wrapperISA_SB_N2at6native12_GLOBAL__N_19CustomMaxEEEEE10hipError_tPvRmT0_T1_jT2_SS_T4_T3_P12ihipStream_tbEUlT_E_NS1_11comp_targetILNS1_3genE9ELNS1_11target_archE1100ELNS1_3gpuE3ELNS1_3repE0EEENS1_30default_config_static_selectorELNS0_4arch9wavefront6targetE0EEEvSR_.private_seg_size, 0
	.set _ZN7rocprim17ROCPRIM_400000_NS6detail17trampoline_kernelINS0_14default_configENS1_32segmented_reduce_config_selectorIN3c108BFloat16EEEZNS1_21segmented_reduce_implIS3_PKS6_PS6_PKiS6_N6hipcub16HIPCUB_304000_NS6detail27convert_result_type_wrapperISA_SB_N2at6native12_GLOBAL__N_19CustomMaxEEEEE10hipError_tPvRmT0_T1_jT2_SS_T4_T3_P12ihipStream_tbEUlT_E_NS1_11comp_targetILNS1_3genE9ELNS1_11target_archE1100ELNS1_3gpuE3ELNS1_3repE0EEENS1_30default_config_static_selectorELNS0_4arch9wavefront6targetE0EEEvSR_.uses_vcc, 0
	.set _ZN7rocprim17ROCPRIM_400000_NS6detail17trampoline_kernelINS0_14default_configENS1_32segmented_reduce_config_selectorIN3c108BFloat16EEEZNS1_21segmented_reduce_implIS3_PKS6_PS6_PKiS6_N6hipcub16HIPCUB_304000_NS6detail27convert_result_type_wrapperISA_SB_N2at6native12_GLOBAL__N_19CustomMaxEEEEE10hipError_tPvRmT0_T1_jT2_SS_T4_T3_P12ihipStream_tbEUlT_E_NS1_11comp_targetILNS1_3genE9ELNS1_11target_archE1100ELNS1_3gpuE3ELNS1_3repE0EEENS1_30default_config_static_selectorELNS0_4arch9wavefront6targetE0EEEvSR_.uses_flat_scratch, 0
	.set _ZN7rocprim17ROCPRIM_400000_NS6detail17trampoline_kernelINS0_14default_configENS1_32segmented_reduce_config_selectorIN3c108BFloat16EEEZNS1_21segmented_reduce_implIS3_PKS6_PS6_PKiS6_N6hipcub16HIPCUB_304000_NS6detail27convert_result_type_wrapperISA_SB_N2at6native12_GLOBAL__N_19CustomMaxEEEEE10hipError_tPvRmT0_T1_jT2_SS_T4_T3_P12ihipStream_tbEUlT_E_NS1_11comp_targetILNS1_3genE9ELNS1_11target_archE1100ELNS1_3gpuE3ELNS1_3repE0EEENS1_30default_config_static_selectorELNS0_4arch9wavefront6targetE0EEEvSR_.has_dyn_sized_stack, 0
	.set _ZN7rocprim17ROCPRIM_400000_NS6detail17trampoline_kernelINS0_14default_configENS1_32segmented_reduce_config_selectorIN3c108BFloat16EEEZNS1_21segmented_reduce_implIS3_PKS6_PS6_PKiS6_N6hipcub16HIPCUB_304000_NS6detail27convert_result_type_wrapperISA_SB_N2at6native12_GLOBAL__N_19CustomMaxEEEEE10hipError_tPvRmT0_T1_jT2_SS_T4_T3_P12ihipStream_tbEUlT_E_NS1_11comp_targetILNS1_3genE9ELNS1_11target_archE1100ELNS1_3gpuE3ELNS1_3repE0EEENS1_30default_config_static_selectorELNS0_4arch9wavefront6targetE0EEEvSR_.has_recursion, 0
	.set _ZN7rocprim17ROCPRIM_400000_NS6detail17trampoline_kernelINS0_14default_configENS1_32segmented_reduce_config_selectorIN3c108BFloat16EEEZNS1_21segmented_reduce_implIS3_PKS6_PS6_PKiS6_N6hipcub16HIPCUB_304000_NS6detail27convert_result_type_wrapperISA_SB_N2at6native12_GLOBAL__N_19CustomMaxEEEEE10hipError_tPvRmT0_T1_jT2_SS_T4_T3_P12ihipStream_tbEUlT_E_NS1_11comp_targetILNS1_3genE9ELNS1_11target_archE1100ELNS1_3gpuE3ELNS1_3repE0EEENS1_30default_config_static_selectorELNS0_4arch9wavefront6targetE0EEEvSR_.has_indirect_call, 0
	.section	.AMDGPU.csdata,"",@progbits
; Kernel info:
; codeLenInByte = 0
; TotalNumSgprs: 0
; NumVgprs: 0
; ScratchSize: 0
; MemoryBound: 0
; FloatMode: 240
; IeeeMode: 1
; LDSByteSize: 0 bytes/workgroup (compile time only)
; SGPRBlocks: 0
; VGPRBlocks: 0
; NumSGPRsForWavesPerEU: 1
; NumVGPRsForWavesPerEU: 1
; NamedBarCnt: 0
; Occupancy: 16
; WaveLimiterHint : 0
; COMPUTE_PGM_RSRC2:SCRATCH_EN: 0
; COMPUTE_PGM_RSRC2:USER_SGPR: 2
; COMPUTE_PGM_RSRC2:TRAP_HANDLER: 0
; COMPUTE_PGM_RSRC2:TGID_X_EN: 1
; COMPUTE_PGM_RSRC2:TGID_Y_EN: 0
; COMPUTE_PGM_RSRC2:TGID_Z_EN: 0
; COMPUTE_PGM_RSRC2:TIDIG_COMP_CNT: 0
	.section	.text._ZN7rocprim17ROCPRIM_400000_NS6detail17trampoline_kernelINS0_14default_configENS1_32segmented_reduce_config_selectorIN3c108BFloat16EEEZNS1_21segmented_reduce_implIS3_PKS6_PS6_PKiS6_N6hipcub16HIPCUB_304000_NS6detail27convert_result_type_wrapperISA_SB_N2at6native12_GLOBAL__N_19CustomMaxEEEEE10hipError_tPvRmT0_T1_jT2_SS_T4_T3_P12ihipStream_tbEUlT_E_NS1_11comp_targetILNS1_3genE8ELNS1_11target_archE1030ELNS1_3gpuE2ELNS1_3repE0EEENS1_30default_config_static_selectorELNS0_4arch9wavefront6targetE0EEEvSR_,"axG",@progbits,_ZN7rocprim17ROCPRIM_400000_NS6detail17trampoline_kernelINS0_14default_configENS1_32segmented_reduce_config_selectorIN3c108BFloat16EEEZNS1_21segmented_reduce_implIS3_PKS6_PS6_PKiS6_N6hipcub16HIPCUB_304000_NS6detail27convert_result_type_wrapperISA_SB_N2at6native12_GLOBAL__N_19CustomMaxEEEEE10hipError_tPvRmT0_T1_jT2_SS_T4_T3_P12ihipStream_tbEUlT_E_NS1_11comp_targetILNS1_3genE8ELNS1_11target_archE1030ELNS1_3gpuE2ELNS1_3repE0EEENS1_30default_config_static_selectorELNS0_4arch9wavefront6targetE0EEEvSR_,comdat
	.globl	_ZN7rocprim17ROCPRIM_400000_NS6detail17trampoline_kernelINS0_14default_configENS1_32segmented_reduce_config_selectorIN3c108BFloat16EEEZNS1_21segmented_reduce_implIS3_PKS6_PS6_PKiS6_N6hipcub16HIPCUB_304000_NS6detail27convert_result_type_wrapperISA_SB_N2at6native12_GLOBAL__N_19CustomMaxEEEEE10hipError_tPvRmT0_T1_jT2_SS_T4_T3_P12ihipStream_tbEUlT_E_NS1_11comp_targetILNS1_3genE8ELNS1_11target_archE1030ELNS1_3gpuE2ELNS1_3repE0EEENS1_30default_config_static_selectorELNS0_4arch9wavefront6targetE0EEEvSR_ ; -- Begin function _ZN7rocprim17ROCPRIM_400000_NS6detail17trampoline_kernelINS0_14default_configENS1_32segmented_reduce_config_selectorIN3c108BFloat16EEEZNS1_21segmented_reduce_implIS3_PKS6_PS6_PKiS6_N6hipcub16HIPCUB_304000_NS6detail27convert_result_type_wrapperISA_SB_N2at6native12_GLOBAL__N_19CustomMaxEEEEE10hipError_tPvRmT0_T1_jT2_SS_T4_T3_P12ihipStream_tbEUlT_E_NS1_11comp_targetILNS1_3genE8ELNS1_11target_archE1030ELNS1_3gpuE2ELNS1_3repE0EEENS1_30default_config_static_selectorELNS0_4arch9wavefront6targetE0EEEvSR_
	.p2align	8
	.type	_ZN7rocprim17ROCPRIM_400000_NS6detail17trampoline_kernelINS0_14default_configENS1_32segmented_reduce_config_selectorIN3c108BFloat16EEEZNS1_21segmented_reduce_implIS3_PKS6_PS6_PKiS6_N6hipcub16HIPCUB_304000_NS6detail27convert_result_type_wrapperISA_SB_N2at6native12_GLOBAL__N_19CustomMaxEEEEE10hipError_tPvRmT0_T1_jT2_SS_T4_T3_P12ihipStream_tbEUlT_E_NS1_11comp_targetILNS1_3genE8ELNS1_11target_archE1030ELNS1_3gpuE2ELNS1_3repE0EEENS1_30default_config_static_selectorELNS0_4arch9wavefront6targetE0EEEvSR_,@function
_ZN7rocprim17ROCPRIM_400000_NS6detail17trampoline_kernelINS0_14default_configENS1_32segmented_reduce_config_selectorIN3c108BFloat16EEEZNS1_21segmented_reduce_implIS3_PKS6_PS6_PKiS6_N6hipcub16HIPCUB_304000_NS6detail27convert_result_type_wrapperISA_SB_N2at6native12_GLOBAL__N_19CustomMaxEEEEE10hipError_tPvRmT0_T1_jT2_SS_T4_T3_P12ihipStream_tbEUlT_E_NS1_11comp_targetILNS1_3genE8ELNS1_11target_archE1030ELNS1_3gpuE2ELNS1_3repE0EEENS1_30default_config_static_selectorELNS0_4arch9wavefront6targetE0EEEvSR_: ; @_ZN7rocprim17ROCPRIM_400000_NS6detail17trampoline_kernelINS0_14default_configENS1_32segmented_reduce_config_selectorIN3c108BFloat16EEEZNS1_21segmented_reduce_implIS3_PKS6_PS6_PKiS6_N6hipcub16HIPCUB_304000_NS6detail27convert_result_type_wrapperISA_SB_N2at6native12_GLOBAL__N_19CustomMaxEEEEE10hipError_tPvRmT0_T1_jT2_SS_T4_T3_P12ihipStream_tbEUlT_E_NS1_11comp_targetILNS1_3genE8ELNS1_11target_archE1030ELNS1_3gpuE2ELNS1_3repE0EEENS1_30default_config_static_selectorELNS0_4arch9wavefront6targetE0EEEvSR_
; %bb.0:
	.section	.rodata,"a",@progbits
	.p2align	6, 0x0
	.amdhsa_kernel _ZN7rocprim17ROCPRIM_400000_NS6detail17trampoline_kernelINS0_14default_configENS1_32segmented_reduce_config_selectorIN3c108BFloat16EEEZNS1_21segmented_reduce_implIS3_PKS6_PS6_PKiS6_N6hipcub16HIPCUB_304000_NS6detail27convert_result_type_wrapperISA_SB_N2at6native12_GLOBAL__N_19CustomMaxEEEEE10hipError_tPvRmT0_T1_jT2_SS_T4_T3_P12ihipStream_tbEUlT_E_NS1_11comp_targetILNS1_3genE8ELNS1_11target_archE1030ELNS1_3gpuE2ELNS1_3repE0EEENS1_30default_config_static_selectorELNS0_4arch9wavefront6targetE0EEEvSR_
		.amdhsa_group_segment_fixed_size 0
		.amdhsa_private_segment_fixed_size 0
		.amdhsa_kernarg_size 48
		.amdhsa_user_sgpr_count 2
		.amdhsa_user_sgpr_dispatch_ptr 0
		.amdhsa_user_sgpr_queue_ptr 0
		.amdhsa_user_sgpr_kernarg_segment_ptr 1
		.amdhsa_user_sgpr_dispatch_id 0
		.amdhsa_user_sgpr_kernarg_preload_length 0
		.amdhsa_user_sgpr_kernarg_preload_offset 0
		.amdhsa_user_sgpr_private_segment_size 0
		.amdhsa_wavefront_size32 1
		.amdhsa_uses_dynamic_stack 0
		.amdhsa_enable_private_segment 0
		.amdhsa_system_sgpr_workgroup_id_x 1
		.amdhsa_system_sgpr_workgroup_id_y 0
		.amdhsa_system_sgpr_workgroup_id_z 0
		.amdhsa_system_sgpr_workgroup_info 0
		.amdhsa_system_vgpr_workitem_id 0
		.amdhsa_next_free_vgpr 1
		.amdhsa_next_free_sgpr 1
		.amdhsa_named_barrier_count 0
		.amdhsa_reserve_vcc 0
		.amdhsa_float_round_mode_32 0
		.amdhsa_float_round_mode_16_64 0
		.amdhsa_float_denorm_mode_32 3
		.amdhsa_float_denorm_mode_16_64 3
		.amdhsa_fp16_overflow 0
		.amdhsa_memory_ordered 1
		.amdhsa_forward_progress 1
		.amdhsa_inst_pref_size 0
		.amdhsa_round_robin_scheduling 0
		.amdhsa_exception_fp_ieee_invalid_op 0
		.amdhsa_exception_fp_denorm_src 0
		.amdhsa_exception_fp_ieee_div_zero 0
		.amdhsa_exception_fp_ieee_overflow 0
		.amdhsa_exception_fp_ieee_underflow 0
		.amdhsa_exception_fp_ieee_inexact 0
		.amdhsa_exception_int_div_zero 0
	.end_amdhsa_kernel
	.section	.text._ZN7rocprim17ROCPRIM_400000_NS6detail17trampoline_kernelINS0_14default_configENS1_32segmented_reduce_config_selectorIN3c108BFloat16EEEZNS1_21segmented_reduce_implIS3_PKS6_PS6_PKiS6_N6hipcub16HIPCUB_304000_NS6detail27convert_result_type_wrapperISA_SB_N2at6native12_GLOBAL__N_19CustomMaxEEEEE10hipError_tPvRmT0_T1_jT2_SS_T4_T3_P12ihipStream_tbEUlT_E_NS1_11comp_targetILNS1_3genE8ELNS1_11target_archE1030ELNS1_3gpuE2ELNS1_3repE0EEENS1_30default_config_static_selectorELNS0_4arch9wavefront6targetE0EEEvSR_,"axG",@progbits,_ZN7rocprim17ROCPRIM_400000_NS6detail17trampoline_kernelINS0_14default_configENS1_32segmented_reduce_config_selectorIN3c108BFloat16EEEZNS1_21segmented_reduce_implIS3_PKS6_PS6_PKiS6_N6hipcub16HIPCUB_304000_NS6detail27convert_result_type_wrapperISA_SB_N2at6native12_GLOBAL__N_19CustomMaxEEEEE10hipError_tPvRmT0_T1_jT2_SS_T4_T3_P12ihipStream_tbEUlT_E_NS1_11comp_targetILNS1_3genE8ELNS1_11target_archE1030ELNS1_3gpuE2ELNS1_3repE0EEENS1_30default_config_static_selectorELNS0_4arch9wavefront6targetE0EEEvSR_,comdat
.Lfunc_end118:
	.size	_ZN7rocprim17ROCPRIM_400000_NS6detail17trampoline_kernelINS0_14default_configENS1_32segmented_reduce_config_selectorIN3c108BFloat16EEEZNS1_21segmented_reduce_implIS3_PKS6_PS6_PKiS6_N6hipcub16HIPCUB_304000_NS6detail27convert_result_type_wrapperISA_SB_N2at6native12_GLOBAL__N_19CustomMaxEEEEE10hipError_tPvRmT0_T1_jT2_SS_T4_T3_P12ihipStream_tbEUlT_E_NS1_11comp_targetILNS1_3genE8ELNS1_11target_archE1030ELNS1_3gpuE2ELNS1_3repE0EEENS1_30default_config_static_selectorELNS0_4arch9wavefront6targetE0EEEvSR_, .Lfunc_end118-_ZN7rocprim17ROCPRIM_400000_NS6detail17trampoline_kernelINS0_14default_configENS1_32segmented_reduce_config_selectorIN3c108BFloat16EEEZNS1_21segmented_reduce_implIS3_PKS6_PS6_PKiS6_N6hipcub16HIPCUB_304000_NS6detail27convert_result_type_wrapperISA_SB_N2at6native12_GLOBAL__N_19CustomMaxEEEEE10hipError_tPvRmT0_T1_jT2_SS_T4_T3_P12ihipStream_tbEUlT_E_NS1_11comp_targetILNS1_3genE8ELNS1_11target_archE1030ELNS1_3gpuE2ELNS1_3repE0EEENS1_30default_config_static_selectorELNS0_4arch9wavefront6targetE0EEEvSR_
                                        ; -- End function
	.set _ZN7rocprim17ROCPRIM_400000_NS6detail17trampoline_kernelINS0_14default_configENS1_32segmented_reduce_config_selectorIN3c108BFloat16EEEZNS1_21segmented_reduce_implIS3_PKS6_PS6_PKiS6_N6hipcub16HIPCUB_304000_NS6detail27convert_result_type_wrapperISA_SB_N2at6native12_GLOBAL__N_19CustomMaxEEEEE10hipError_tPvRmT0_T1_jT2_SS_T4_T3_P12ihipStream_tbEUlT_E_NS1_11comp_targetILNS1_3genE8ELNS1_11target_archE1030ELNS1_3gpuE2ELNS1_3repE0EEENS1_30default_config_static_selectorELNS0_4arch9wavefront6targetE0EEEvSR_.num_vgpr, 0
	.set _ZN7rocprim17ROCPRIM_400000_NS6detail17trampoline_kernelINS0_14default_configENS1_32segmented_reduce_config_selectorIN3c108BFloat16EEEZNS1_21segmented_reduce_implIS3_PKS6_PS6_PKiS6_N6hipcub16HIPCUB_304000_NS6detail27convert_result_type_wrapperISA_SB_N2at6native12_GLOBAL__N_19CustomMaxEEEEE10hipError_tPvRmT0_T1_jT2_SS_T4_T3_P12ihipStream_tbEUlT_E_NS1_11comp_targetILNS1_3genE8ELNS1_11target_archE1030ELNS1_3gpuE2ELNS1_3repE0EEENS1_30default_config_static_selectorELNS0_4arch9wavefront6targetE0EEEvSR_.num_agpr, 0
	.set _ZN7rocprim17ROCPRIM_400000_NS6detail17trampoline_kernelINS0_14default_configENS1_32segmented_reduce_config_selectorIN3c108BFloat16EEEZNS1_21segmented_reduce_implIS3_PKS6_PS6_PKiS6_N6hipcub16HIPCUB_304000_NS6detail27convert_result_type_wrapperISA_SB_N2at6native12_GLOBAL__N_19CustomMaxEEEEE10hipError_tPvRmT0_T1_jT2_SS_T4_T3_P12ihipStream_tbEUlT_E_NS1_11comp_targetILNS1_3genE8ELNS1_11target_archE1030ELNS1_3gpuE2ELNS1_3repE0EEENS1_30default_config_static_selectorELNS0_4arch9wavefront6targetE0EEEvSR_.numbered_sgpr, 0
	.set _ZN7rocprim17ROCPRIM_400000_NS6detail17trampoline_kernelINS0_14default_configENS1_32segmented_reduce_config_selectorIN3c108BFloat16EEEZNS1_21segmented_reduce_implIS3_PKS6_PS6_PKiS6_N6hipcub16HIPCUB_304000_NS6detail27convert_result_type_wrapperISA_SB_N2at6native12_GLOBAL__N_19CustomMaxEEEEE10hipError_tPvRmT0_T1_jT2_SS_T4_T3_P12ihipStream_tbEUlT_E_NS1_11comp_targetILNS1_3genE8ELNS1_11target_archE1030ELNS1_3gpuE2ELNS1_3repE0EEENS1_30default_config_static_selectorELNS0_4arch9wavefront6targetE0EEEvSR_.num_named_barrier, 0
	.set _ZN7rocprim17ROCPRIM_400000_NS6detail17trampoline_kernelINS0_14default_configENS1_32segmented_reduce_config_selectorIN3c108BFloat16EEEZNS1_21segmented_reduce_implIS3_PKS6_PS6_PKiS6_N6hipcub16HIPCUB_304000_NS6detail27convert_result_type_wrapperISA_SB_N2at6native12_GLOBAL__N_19CustomMaxEEEEE10hipError_tPvRmT0_T1_jT2_SS_T4_T3_P12ihipStream_tbEUlT_E_NS1_11comp_targetILNS1_3genE8ELNS1_11target_archE1030ELNS1_3gpuE2ELNS1_3repE0EEENS1_30default_config_static_selectorELNS0_4arch9wavefront6targetE0EEEvSR_.private_seg_size, 0
	.set _ZN7rocprim17ROCPRIM_400000_NS6detail17trampoline_kernelINS0_14default_configENS1_32segmented_reduce_config_selectorIN3c108BFloat16EEEZNS1_21segmented_reduce_implIS3_PKS6_PS6_PKiS6_N6hipcub16HIPCUB_304000_NS6detail27convert_result_type_wrapperISA_SB_N2at6native12_GLOBAL__N_19CustomMaxEEEEE10hipError_tPvRmT0_T1_jT2_SS_T4_T3_P12ihipStream_tbEUlT_E_NS1_11comp_targetILNS1_3genE8ELNS1_11target_archE1030ELNS1_3gpuE2ELNS1_3repE0EEENS1_30default_config_static_selectorELNS0_4arch9wavefront6targetE0EEEvSR_.uses_vcc, 0
	.set _ZN7rocprim17ROCPRIM_400000_NS6detail17trampoline_kernelINS0_14default_configENS1_32segmented_reduce_config_selectorIN3c108BFloat16EEEZNS1_21segmented_reduce_implIS3_PKS6_PS6_PKiS6_N6hipcub16HIPCUB_304000_NS6detail27convert_result_type_wrapperISA_SB_N2at6native12_GLOBAL__N_19CustomMaxEEEEE10hipError_tPvRmT0_T1_jT2_SS_T4_T3_P12ihipStream_tbEUlT_E_NS1_11comp_targetILNS1_3genE8ELNS1_11target_archE1030ELNS1_3gpuE2ELNS1_3repE0EEENS1_30default_config_static_selectorELNS0_4arch9wavefront6targetE0EEEvSR_.uses_flat_scratch, 0
	.set _ZN7rocprim17ROCPRIM_400000_NS6detail17trampoline_kernelINS0_14default_configENS1_32segmented_reduce_config_selectorIN3c108BFloat16EEEZNS1_21segmented_reduce_implIS3_PKS6_PS6_PKiS6_N6hipcub16HIPCUB_304000_NS6detail27convert_result_type_wrapperISA_SB_N2at6native12_GLOBAL__N_19CustomMaxEEEEE10hipError_tPvRmT0_T1_jT2_SS_T4_T3_P12ihipStream_tbEUlT_E_NS1_11comp_targetILNS1_3genE8ELNS1_11target_archE1030ELNS1_3gpuE2ELNS1_3repE0EEENS1_30default_config_static_selectorELNS0_4arch9wavefront6targetE0EEEvSR_.has_dyn_sized_stack, 0
	.set _ZN7rocprim17ROCPRIM_400000_NS6detail17trampoline_kernelINS0_14default_configENS1_32segmented_reduce_config_selectorIN3c108BFloat16EEEZNS1_21segmented_reduce_implIS3_PKS6_PS6_PKiS6_N6hipcub16HIPCUB_304000_NS6detail27convert_result_type_wrapperISA_SB_N2at6native12_GLOBAL__N_19CustomMaxEEEEE10hipError_tPvRmT0_T1_jT2_SS_T4_T3_P12ihipStream_tbEUlT_E_NS1_11comp_targetILNS1_3genE8ELNS1_11target_archE1030ELNS1_3gpuE2ELNS1_3repE0EEENS1_30default_config_static_selectorELNS0_4arch9wavefront6targetE0EEEvSR_.has_recursion, 0
	.set _ZN7rocprim17ROCPRIM_400000_NS6detail17trampoline_kernelINS0_14default_configENS1_32segmented_reduce_config_selectorIN3c108BFloat16EEEZNS1_21segmented_reduce_implIS3_PKS6_PS6_PKiS6_N6hipcub16HIPCUB_304000_NS6detail27convert_result_type_wrapperISA_SB_N2at6native12_GLOBAL__N_19CustomMaxEEEEE10hipError_tPvRmT0_T1_jT2_SS_T4_T3_P12ihipStream_tbEUlT_E_NS1_11comp_targetILNS1_3genE8ELNS1_11target_archE1030ELNS1_3gpuE2ELNS1_3repE0EEENS1_30default_config_static_selectorELNS0_4arch9wavefront6targetE0EEEvSR_.has_indirect_call, 0
	.section	.AMDGPU.csdata,"",@progbits
; Kernel info:
; codeLenInByte = 0
; TotalNumSgprs: 0
; NumVgprs: 0
; ScratchSize: 0
; MemoryBound: 0
; FloatMode: 240
; IeeeMode: 1
; LDSByteSize: 0 bytes/workgroup (compile time only)
; SGPRBlocks: 0
; VGPRBlocks: 0
; NumSGPRsForWavesPerEU: 1
; NumVGPRsForWavesPerEU: 1
; NamedBarCnt: 0
; Occupancy: 16
; WaveLimiterHint : 0
; COMPUTE_PGM_RSRC2:SCRATCH_EN: 0
; COMPUTE_PGM_RSRC2:USER_SGPR: 2
; COMPUTE_PGM_RSRC2:TRAP_HANDLER: 0
; COMPUTE_PGM_RSRC2:TGID_X_EN: 1
; COMPUTE_PGM_RSRC2:TGID_Y_EN: 0
; COMPUTE_PGM_RSRC2:TGID_Z_EN: 0
; COMPUTE_PGM_RSRC2:TIDIG_COMP_CNT: 0
	.section	.text._ZN7rocprim17ROCPRIM_400000_NS6detail17trampoline_kernelINS0_14default_configENS1_32segmented_reduce_config_selectorIN3c108BFloat16EEEZNS1_21segmented_reduce_implIS3_PKS6_PS6_PKiS6_N6hipcub16HIPCUB_304000_NS6detail27convert_result_type_wrapperISA_SB_N2at6native12_GLOBAL__N_19CustomSumEEEEE10hipError_tPvRmT0_T1_jT2_SS_T4_T3_P12ihipStream_tbEUlT_E_NS1_11comp_targetILNS1_3genE0ELNS1_11target_archE4294967295ELNS1_3gpuE0ELNS1_3repE0EEENS1_30default_config_static_selectorELNS0_4arch9wavefront6targetE0EEEvSR_,"axG",@progbits,_ZN7rocprim17ROCPRIM_400000_NS6detail17trampoline_kernelINS0_14default_configENS1_32segmented_reduce_config_selectorIN3c108BFloat16EEEZNS1_21segmented_reduce_implIS3_PKS6_PS6_PKiS6_N6hipcub16HIPCUB_304000_NS6detail27convert_result_type_wrapperISA_SB_N2at6native12_GLOBAL__N_19CustomSumEEEEE10hipError_tPvRmT0_T1_jT2_SS_T4_T3_P12ihipStream_tbEUlT_E_NS1_11comp_targetILNS1_3genE0ELNS1_11target_archE4294967295ELNS1_3gpuE0ELNS1_3repE0EEENS1_30default_config_static_selectorELNS0_4arch9wavefront6targetE0EEEvSR_,comdat
	.globl	_ZN7rocprim17ROCPRIM_400000_NS6detail17trampoline_kernelINS0_14default_configENS1_32segmented_reduce_config_selectorIN3c108BFloat16EEEZNS1_21segmented_reduce_implIS3_PKS6_PS6_PKiS6_N6hipcub16HIPCUB_304000_NS6detail27convert_result_type_wrapperISA_SB_N2at6native12_GLOBAL__N_19CustomSumEEEEE10hipError_tPvRmT0_T1_jT2_SS_T4_T3_P12ihipStream_tbEUlT_E_NS1_11comp_targetILNS1_3genE0ELNS1_11target_archE4294967295ELNS1_3gpuE0ELNS1_3repE0EEENS1_30default_config_static_selectorELNS0_4arch9wavefront6targetE0EEEvSR_ ; -- Begin function _ZN7rocprim17ROCPRIM_400000_NS6detail17trampoline_kernelINS0_14default_configENS1_32segmented_reduce_config_selectorIN3c108BFloat16EEEZNS1_21segmented_reduce_implIS3_PKS6_PS6_PKiS6_N6hipcub16HIPCUB_304000_NS6detail27convert_result_type_wrapperISA_SB_N2at6native12_GLOBAL__N_19CustomSumEEEEE10hipError_tPvRmT0_T1_jT2_SS_T4_T3_P12ihipStream_tbEUlT_E_NS1_11comp_targetILNS1_3genE0ELNS1_11target_archE4294967295ELNS1_3gpuE0ELNS1_3repE0EEENS1_30default_config_static_selectorELNS0_4arch9wavefront6targetE0EEEvSR_
	.p2align	8
	.type	_ZN7rocprim17ROCPRIM_400000_NS6detail17trampoline_kernelINS0_14default_configENS1_32segmented_reduce_config_selectorIN3c108BFloat16EEEZNS1_21segmented_reduce_implIS3_PKS6_PS6_PKiS6_N6hipcub16HIPCUB_304000_NS6detail27convert_result_type_wrapperISA_SB_N2at6native12_GLOBAL__N_19CustomSumEEEEE10hipError_tPvRmT0_T1_jT2_SS_T4_T3_P12ihipStream_tbEUlT_E_NS1_11comp_targetILNS1_3genE0ELNS1_11target_archE4294967295ELNS1_3gpuE0ELNS1_3repE0EEENS1_30default_config_static_selectorELNS0_4arch9wavefront6targetE0EEEvSR_,@function
_ZN7rocprim17ROCPRIM_400000_NS6detail17trampoline_kernelINS0_14default_configENS1_32segmented_reduce_config_selectorIN3c108BFloat16EEEZNS1_21segmented_reduce_implIS3_PKS6_PS6_PKiS6_N6hipcub16HIPCUB_304000_NS6detail27convert_result_type_wrapperISA_SB_N2at6native12_GLOBAL__N_19CustomSumEEEEE10hipError_tPvRmT0_T1_jT2_SS_T4_T3_P12ihipStream_tbEUlT_E_NS1_11comp_targetILNS1_3genE0ELNS1_11target_archE4294967295ELNS1_3gpuE0ELNS1_3repE0EEENS1_30default_config_static_selectorELNS0_4arch9wavefront6targetE0EEEvSR_: ; @_ZN7rocprim17ROCPRIM_400000_NS6detail17trampoline_kernelINS0_14default_configENS1_32segmented_reduce_config_selectorIN3c108BFloat16EEEZNS1_21segmented_reduce_implIS3_PKS6_PS6_PKiS6_N6hipcub16HIPCUB_304000_NS6detail27convert_result_type_wrapperISA_SB_N2at6native12_GLOBAL__N_19CustomSumEEEEE10hipError_tPvRmT0_T1_jT2_SS_T4_T3_P12ihipStream_tbEUlT_E_NS1_11comp_targetILNS1_3genE0ELNS1_11target_archE4294967295ELNS1_3gpuE0ELNS1_3repE0EEENS1_30default_config_static_selectorELNS0_4arch9wavefront6targetE0EEEvSR_
; %bb.0:
	v_mov_b32_e32 v1, 0
	s_clause 0x1
	s_load_b256 s[16:23], s[0:1], 0x0
	s_load_b64 s[2:3], s[0:1], 0x20
	s_bfe_u32 s4, ttmp6, 0x4000c
	s_and_b32 s5, ttmp6, 15
	s_add_co_i32 s4, s4, 1
	global_load_u16 v1, v1, s[0:1] offset:42
	s_mul_i32 s4, ttmp9, s4
	s_getreg_b32 s6, hwreg(HW_REG_IB_STS2, 6, 4)
	s_add_co_i32 s7, s5, s4
	s_mov_b32 s15, 0
	v_cmp_eq_u32_e32 vcc_lo, 0, v0
	s_wait_kmcnt 0x0
	s_lshl_b64 s[0:1], s[20:21], 2
	s_cmp_eq_u32 s6, 0
	s_add_nc_u64 s[4:5], s[22:23], s[0:1]
	s_cselect_b32 s22, ttmp9, s7
	s_add_nc_u64 s[0:1], s[2:3], s[0:1]
	s_load_b32 s24, s[4:5], s22 offset:0x0 scale_offset
	s_load_b32 s28, s[0:1], s22 offset:0x0 scale_offset
	s_mov_b32 s23, 0
	s_wait_xcnt 0x0
	s_mov_b32 s0, -1
	s_wait_kmcnt 0x0
	s_cmp_gt_i32 s28, s24
	s_cbranch_scc0 .LBB119_4
; %bb.1:
	s_and_not1_b32 vcc_lo, exec_lo, s0
	s_cbranch_vccz .LBB119_5
.LBB119_2:
	s_and_saveexec_b32 s0, s15
	s_cbranch_execnz .LBB119_116
.LBB119_3:
	s_endpgm
.LBB119_4:
	s_and_b32 s15, vcc_lo, exec_lo
	s_cbranch_execnz .LBB119_2
.LBB119_5:
	s_add_co_i32 s0, s24, 0x1000
	s_delay_alu instid0(SALU_CYCLE_1)
	s_cmp_le_i32 s0, s28
	s_cbranch_scc0 .LBB119_62
; %bb.6:
	s_ashr_i32 s25, s24, 31
	s_add_co_i32 s1, s24, 0x2000
	s_lshl_b64 s[2:3], s[24:25], 1
	s_cmp_ge_i32 s1, s28
	s_add_nc_u64 s[2:3], s[16:17], s[2:3]
	s_clause 0xf
	global_load_u16 v19, v0, s[2:3] scale_offset
	global_load_u16 v18, v0, s[2:3] offset:512 scale_offset
	global_load_u16 v17, v0, s[2:3] offset:1024 scale_offset
	;; [unrolled: 1-line block ×15, first 2 shown]
	s_wait_loadcnt 0xe
	v_dual_lshlrev_b32 v2, 16, v19 :: v_dual_lshlrev_b32 v3, 16, v18
	s_wait_loadcnt 0xd
	s_delay_alu instid0(VALU_DEP_1) | instskip(NEXT) | instid1(VALU_DEP_1)
	v_dual_lshlrev_b32 v20, 16, v17 :: v_dual_add_f32 v2, v3, v2
	v_bfe_u32 v3, v2, 16, 1
	v_cmp_o_f32_e32 vcc_lo, v2, v2
	s_delay_alu instid0(VALU_DEP_2) | instskip(NEXT) | instid1(VALU_DEP_1)
	v_add3_u32 v3, v2, v3, 0x7fff
	v_and_b32_e32 v3, 0xffff0000, v3
	s_delay_alu instid0(VALU_DEP_1) | instskip(NEXT) | instid1(VALU_DEP_1)
	v_cndmask_b32_e32 v2, 0x7fc00000, v3, vcc_lo
	v_add_f32_e32 v2, v2, v20
	s_wait_loadcnt 0xc
	v_lshlrev_b32_e32 v20, 16, v16
	s_delay_alu instid0(VALU_DEP_2) | instskip(SKIP_1) | instid1(VALU_DEP_2)
	v_bfe_u32 v3, v2, 16, 1
	v_cmp_o_f32_e32 vcc_lo, v2, v2
	v_add3_u32 v3, v2, v3, 0x7fff
	s_delay_alu instid0(VALU_DEP_1) | instskip(NEXT) | instid1(VALU_DEP_1)
	v_and_b32_e32 v3, 0xffff0000, v3
	v_cndmask_b32_e32 v2, 0x7fc00000, v3, vcc_lo
	s_wait_loadcnt 0xb
	s_delay_alu instid0(VALU_DEP_1) | instskip(NEXT) | instid1(VALU_DEP_1)
	v_dual_add_f32 v2, v2, v20 :: v_dual_lshlrev_b32 v20, 16, v15
	v_bfe_u32 v3, v2, 16, 1
	v_cmp_o_f32_e32 vcc_lo, v2, v2
	s_delay_alu instid0(VALU_DEP_2) | instskip(NEXT) | instid1(VALU_DEP_1)
	v_add3_u32 v3, v2, v3, 0x7fff
	v_and_b32_e32 v3, 0xffff0000, v3
	s_delay_alu instid0(VALU_DEP_1) | instskip(SKIP_1) | instid1(VALU_DEP_1)
	v_cndmask_b32_e32 v2, 0x7fc00000, v3, vcc_lo
	s_wait_loadcnt 0xa
	v_dual_add_f32 v2, v2, v20 :: v_dual_lshlrev_b32 v20, 16, v14
	s_delay_alu instid0(VALU_DEP_1) | instskip(SKIP_1) | instid1(VALU_DEP_2)
	v_bfe_u32 v3, v2, 16, 1
	v_cmp_o_f32_e32 vcc_lo, v2, v2
	v_add3_u32 v3, v2, v3, 0x7fff
	s_delay_alu instid0(VALU_DEP_1) | instskip(NEXT) | instid1(VALU_DEP_1)
	v_and_b32_e32 v3, 0xffff0000, v3
	v_cndmask_b32_e32 v2, 0x7fc00000, v3, vcc_lo
	s_wait_loadcnt 0x9
	s_delay_alu instid0(VALU_DEP_1) | instskip(NEXT) | instid1(VALU_DEP_1)
	v_dual_add_f32 v2, v2, v20 :: v_dual_lshlrev_b32 v20, 16, v13
	v_bfe_u32 v3, v2, 16, 1
	v_cmp_o_f32_e32 vcc_lo, v2, v2
	s_delay_alu instid0(VALU_DEP_2) | instskip(NEXT) | instid1(VALU_DEP_1)
	v_add3_u32 v3, v2, v3, 0x7fff
	v_and_b32_e32 v3, 0xffff0000, v3
	s_delay_alu instid0(VALU_DEP_1) | instskip(NEXT) | instid1(VALU_DEP_1)
	v_cndmask_b32_e32 v2, 0x7fc00000, v3, vcc_lo
	v_add_f32_e32 v2, v2, v20
	s_wait_loadcnt 0x8
	v_lshlrev_b32_e32 v20, 16, v12
	s_delay_alu instid0(VALU_DEP_2) | instskip(SKIP_1) | instid1(VALU_DEP_2)
	v_bfe_u32 v3, v2, 16, 1
	v_cmp_o_f32_e32 vcc_lo, v2, v2
	v_add3_u32 v3, v2, v3, 0x7fff
	s_delay_alu instid0(VALU_DEP_1) | instskip(NEXT) | instid1(VALU_DEP_1)
	v_and_b32_e32 v3, 0xffff0000, v3
	v_cndmask_b32_e32 v2, 0x7fc00000, v3, vcc_lo
	s_wait_loadcnt 0x7
	s_delay_alu instid0(VALU_DEP_1) | instskip(NEXT) | instid1(VALU_DEP_1)
	v_dual_add_f32 v2, v2, v20 :: v_dual_lshlrev_b32 v20, 16, v11
	v_bfe_u32 v3, v2, 16, 1
	v_cmp_o_f32_e32 vcc_lo, v2, v2
	s_delay_alu instid0(VALU_DEP_2) | instskip(NEXT) | instid1(VALU_DEP_1)
	v_add3_u32 v3, v2, v3, 0x7fff
	v_and_b32_e32 v3, 0xffff0000, v3
	s_delay_alu instid0(VALU_DEP_1) | instskip(SKIP_1) | instid1(VALU_DEP_1)
	v_cndmask_b32_e32 v2, 0x7fc00000, v3, vcc_lo
	s_wait_loadcnt 0x6
	v_dual_add_f32 v2, v2, v20 :: v_dual_lshlrev_b32 v20, 16, v10
	s_delay_alu instid0(VALU_DEP_1) | instskip(SKIP_1) | instid1(VALU_DEP_2)
	v_bfe_u32 v3, v2, 16, 1
	v_cmp_o_f32_e32 vcc_lo, v2, v2
	v_add3_u32 v3, v2, v3, 0x7fff
	s_delay_alu instid0(VALU_DEP_1) | instskip(NEXT) | instid1(VALU_DEP_1)
	v_and_b32_e32 v3, 0xffff0000, v3
	v_cndmask_b32_e32 v2, 0x7fc00000, v3, vcc_lo
	s_wait_loadcnt 0x5
	s_delay_alu instid0(VALU_DEP_1) | instskip(NEXT) | instid1(VALU_DEP_1)
	v_dual_add_f32 v2, v2, v20 :: v_dual_lshlrev_b32 v20, 16, v9
	v_bfe_u32 v3, v2, 16, 1
	v_cmp_o_f32_e32 vcc_lo, v2, v2
	s_delay_alu instid0(VALU_DEP_2) | instskip(NEXT) | instid1(VALU_DEP_1)
	v_add3_u32 v3, v2, v3, 0x7fff
	v_and_b32_e32 v3, 0xffff0000, v3
	s_delay_alu instid0(VALU_DEP_1) | instskip(NEXT) | instid1(VALU_DEP_1)
	v_cndmask_b32_e32 v2, 0x7fc00000, v3, vcc_lo
	v_add_f32_e32 v2, v2, v20
	s_wait_loadcnt 0x4
	v_lshlrev_b32_e32 v20, 16, v8
	s_delay_alu instid0(VALU_DEP_2) | instskip(SKIP_1) | instid1(VALU_DEP_2)
	v_bfe_u32 v3, v2, 16, 1
	v_cmp_o_f32_e32 vcc_lo, v2, v2
	v_add3_u32 v3, v2, v3, 0x7fff
	s_delay_alu instid0(VALU_DEP_1) | instskip(NEXT) | instid1(VALU_DEP_1)
	v_and_b32_e32 v3, 0xffff0000, v3
	v_cndmask_b32_e32 v2, 0x7fc00000, v3, vcc_lo
	s_wait_loadcnt 0x3
	s_delay_alu instid0(VALU_DEP_1) | instskip(NEXT) | instid1(VALU_DEP_1)
	v_dual_add_f32 v2, v2, v20 :: v_dual_lshlrev_b32 v20, 16, v7
	v_bfe_u32 v3, v2, 16, 1
	v_cmp_o_f32_e32 vcc_lo, v2, v2
	s_delay_alu instid0(VALU_DEP_2) | instskip(NEXT) | instid1(VALU_DEP_1)
	v_add3_u32 v3, v2, v3, 0x7fff
	v_and_b32_e32 v3, 0xffff0000, v3
	s_delay_alu instid0(VALU_DEP_1) | instskip(SKIP_1) | instid1(VALU_DEP_1)
	v_cndmask_b32_e32 v2, 0x7fc00000, v3, vcc_lo
	s_wait_loadcnt 0x2
	v_dual_add_f32 v2, v2, v20 :: v_dual_lshlrev_b32 v20, 16, v6
	s_delay_alu instid0(VALU_DEP_1) | instskip(SKIP_1) | instid1(VALU_DEP_2)
	v_bfe_u32 v3, v2, 16, 1
	v_cmp_o_f32_e32 vcc_lo, v2, v2
	v_add3_u32 v3, v2, v3, 0x7fff
	s_delay_alu instid0(VALU_DEP_1) | instskip(NEXT) | instid1(VALU_DEP_1)
	v_and_b32_e32 v3, 0xffff0000, v3
	v_cndmask_b32_e32 v2, 0x7fc00000, v3, vcc_lo
	s_delay_alu instid0(VALU_DEP_1) | instskip(SKIP_2) | instid1(VALU_DEP_2)
	v_add_f32_e32 v2, v2, v20
	s_wait_loadcnt 0x1
	v_lshlrev_b32_e32 v20, 16, v4
	v_bfe_u32 v3, v2, 16, 1
	v_cmp_o_f32_e32 vcc_lo, v2, v2
	s_delay_alu instid0(VALU_DEP_2) | instskip(NEXT) | instid1(VALU_DEP_1)
	v_add3_u32 v3, v2, v3, 0x7fff
	v_and_b32_e32 v3, 0xffff0000, v3
	s_delay_alu instid0(VALU_DEP_1) | instskip(SKIP_1) | instid1(VALU_DEP_1)
	v_cndmask_b32_e32 v2, 0x7fc00000, v3, vcc_lo
	s_wait_loadcnt 0x0
	v_dual_add_f32 v2, v2, v20 :: v_dual_lshlrev_b32 v20, 16, v5
	s_delay_alu instid0(VALU_DEP_1) | instskip(SKIP_1) | instid1(VALU_DEP_2)
	v_bfe_u32 v3, v2, 16, 1
	v_cmp_o_f32_e32 vcc_lo, v2, v2
	v_add3_u32 v3, v2, v3, 0x7fff
	s_delay_alu instid0(VALU_DEP_1) | instskip(NEXT) | instid1(VALU_DEP_1)
	v_and_b32_e32 v3, 0xffff0000, v3
	v_cndmask_b32_e32 v2, 0x7fc00000, v3, vcc_lo
	s_delay_alu instid0(VALU_DEP_1) | instskip(NEXT) | instid1(VALU_DEP_1)
	v_add_f32_e32 v2, v2, v20
	v_bfe_u32 v3, v2, 16, 1
	v_cmp_o_f32_e32 vcc_lo, v2, v2
	s_delay_alu instid0(VALU_DEP_2) | instskip(NEXT) | instid1(VALU_DEP_1)
	v_add3_u32 v3, v2, v3, 0x7fff
	v_dual_mov_b32 v3, 0 :: v_dual_lshrrev_b32 v20, 16, v3
	s_delay_alu instid0(VALU_DEP_1)
	v_cndmask_b32_e32 v20, 0x7fc0, v20, vcc_lo
	s_cbranch_scc1 .LBB119_9
; %bb.7:
	v_lshlrev_b32_e32 v2, 1, v0
	s_delay_alu instid0(VALU_DEP_1)
	v_add_nc_u64_e32 v[2:3], s[16:17], v[2:3]
.LBB119_8:                              ; =>This Inner Loop Header: Depth=1
	s_ashr_i32 s1, s0, 31
	s_delay_alu instid0(VALU_DEP_1) | instid1(SALU_CYCLE_1)
	v_lshl_add_u64 v[22:23], s[0:1], 1, v[2:3]
	s_add_co_i32 s1, s0, 0x2000
	s_addk_co_i32 s0, 0x1000
	s_cmp_lt_i32 s1, s28
	s_clause 0xc
	global_load_u16 v19, v[22:23], off
	global_load_u16 v18, v[22:23], off offset:512
	global_load_u16 v17, v[22:23], off offset:1024
	;; [unrolled: 1-line block ×12, first 2 shown]
	v_lshlrev_b32_e32 v4, 16, v20
	global_load_u16 v6, v[22:23], off offset:6656
	s_wait_loadcnt 0xc
	v_dual_lshlrev_b32 v5, 16, v19 :: v_dual_lshlrev_b32 v20, 16, v18
	s_wait_loadcnt 0xb
	s_delay_alu instid0(VALU_DEP_1) | instskip(NEXT) | instid1(VALU_DEP_1)
	v_dual_add_f32 v4, v5, v4 :: v_dual_lshlrev_b32 v21, 16, v17
	v_bfe_u32 v5, v4, 16, 1
	v_cmp_o_f32_e32 vcc_lo, v4, v4
	s_delay_alu instid0(VALU_DEP_2) | instskip(SKIP_2) | instid1(VALU_DEP_1)
	v_add3_u32 v5, v4, v5, 0x7fff
	global_load_u16 v4, v[22:23], off offset:7168
	v_and_b32_e32 v5, 0xffff0000, v5
	v_cndmask_b32_e32 v5, 0x7fc00000, v5, vcc_lo
	s_delay_alu instid0(VALU_DEP_1) | instskip(NEXT) | instid1(VALU_DEP_1)
	v_add_f32_e32 v5, v5, v20
	v_bfe_u32 v20, v5, 16, 1
	v_cmp_o_f32_e32 vcc_lo, v5, v5
	s_delay_alu instid0(VALU_DEP_2)
	v_add3_u32 v20, v5, v20, 0x7fff
	global_load_u16 v5, v[22:23], off offset:7680
	s_wait_loadcnt 0xc
	s_wait_xcnt 0x0
	v_lshlrev_b32_e32 v22, 16, v16
	v_and_b32_e32 v20, 0xffff0000, v20
	s_delay_alu instid0(VALU_DEP_1) | instskip(NEXT) | instid1(VALU_DEP_1)
	v_cndmask_b32_e32 v20, 0x7fc00000, v20, vcc_lo
	v_add_f32_e32 v20, v20, v21
	s_delay_alu instid0(VALU_DEP_1) | instskip(SKIP_1) | instid1(VALU_DEP_2)
	v_bfe_u32 v21, v20, 16, 1
	v_cmp_o_f32_e32 vcc_lo, v20, v20
	v_add3_u32 v21, v20, v21, 0x7fff
	s_delay_alu instid0(VALU_DEP_1) | instskip(NEXT) | instid1(VALU_DEP_1)
	v_and_b32_e32 v21, 0xffff0000, v21
	v_cndmask_b32_e32 v20, 0x7fc00000, v21, vcc_lo
	s_wait_loadcnt 0xb
	s_delay_alu instid0(VALU_DEP_1) | instskip(NEXT) | instid1(VALU_DEP_1)
	v_dual_add_f32 v20, v20, v22 :: v_dual_lshlrev_b32 v22, 16, v15
	v_bfe_u32 v21, v20, 16, 1
	v_cmp_o_f32_e32 vcc_lo, v20, v20
	s_delay_alu instid0(VALU_DEP_2) | instskip(NEXT) | instid1(VALU_DEP_1)
	v_add3_u32 v21, v20, v21, 0x7fff
	v_and_b32_e32 v21, 0xffff0000, v21
	s_delay_alu instid0(VALU_DEP_1) | instskip(NEXT) | instid1(VALU_DEP_1)
	v_cndmask_b32_e32 v20, 0x7fc00000, v21, vcc_lo
	v_add_f32_e32 v20, v20, v22
	s_wait_loadcnt 0xa
	v_lshlrev_b32_e32 v22, 16, v14
	s_delay_alu instid0(VALU_DEP_2) | instskip(SKIP_1) | instid1(VALU_DEP_2)
	v_bfe_u32 v21, v20, 16, 1
	v_cmp_o_f32_e32 vcc_lo, v20, v20
	v_add3_u32 v21, v20, v21, 0x7fff
	s_delay_alu instid0(VALU_DEP_1) | instskip(NEXT) | instid1(VALU_DEP_1)
	v_and_b32_e32 v21, 0xffff0000, v21
	v_cndmask_b32_e32 v20, 0x7fc00000, v21, vcc_lo
	s_wait_loadcnt 0x9
	s_delay_alu instid0(VALU_DEP_1) | instskip(NEXT) | instid1(VALU_DEP_1)
	v_dual_add_f32 v20, v20, v22 :: v_dual_lshlrev_b32 v22, 16, v13
	v_bfe_u32 v21, v20, 16, 1
	v_cmp_o_f32_e32 vcc_lo, v20, v20
	s_delay_alu instid0(VALU_DEP_2) | instskip(NEXT) | instid1(VALU_DEP_1)
	v_add3_u32 v21, v20, v21, 0x7fff
	v_and_b32_e32 v21, 0xffff0000, v21
	s_delay_alu instid0(VALU_DEP_1) | instskip(SKIP_1) | instid1(VALU_DEP_1)
	v_cndmask_b32_e32 v20, 0x7fc00000, v21, vcc_lo
	s_wait_loadcnt 0x8
	v_dual_add_f32 v20, v20, v22 :: v_dual_lshlrev_b32 v22, 16, v12
	s_delay_alu instid0(VALU_DEP_1) | instskip(SKIP_1) | instid1(VALU_DEP_2)
	v_bfe_u32 v21, v20, 16, 1
	v_cmp_o_f32_e32 vcc_lo, v20, v20
	v_add3_u32 v21, v20, v21, 0x7fff
	s_delay_alu instid0(VALU_DEP_1) | instskip(NEXT) | instid1(VALU_DEP_1)
	v_and_b32_e32 v21, 0xffff0000, v21
	v_cndmask_b32_e32 v20, 0x7fc00000, v21, vcc_lo
	s_wait_loadcnt 0x7
	s_delay_alu instid0(VALU_DEP_1) | instskip(NEXT) | instid1(VALU_DEP_1)
	v_dual_add_f32 v20, v20, v22 :: v_dual_lshlrev_b32 v22, 16, v11
	v_bfe_u32 v21, v20, 16, 1
	v_cmp_o_f32_e32 vcc_lo, v20, v20
	s_delay_alu instid0(VALU_DEP_2) | instskip(NEXT) | instid1(VALU_DEP_1)
	v_add3_u32 v21, v20, v21, 0x7fff
	v_and_b32_e32 v21, 0xffff0000, v21
	s_delay_alu instid0(VALU_DEP_1) | instskip(NEXT) | instid1(VALU_DEP_1)
	v_cndmask_b32_e32 v20, 0x7fc00000, v21, vcc_lo
	v_add_f32_e32 v20, v20, v22
	s_wait_loadcnt 0x6
	v_lshlrev_b32_e32 v22, 16, v10
	s_delay_alu instid0(VALU_DEP_2) | instskip(SKIP_1) | instid1(VALU_DEP_2)
	v_bfe_u32 v21, v20, 16, 1
	v_cmp_o_f32_e32 vcc_lo, v20, v20
	v_add3_u32 v21, v20, v21, 0x7fff
	s_delay_alu instid0(VALU_DEP_1) | instskip(NEXT) | instid1(VALU_DEP_1)
	v_and_b32_e32 v21, 0xffff0000, v21
	v_cndmask_b32_e32 v20, 0x7fc00000, v21, vcc_lo
	s_wait_loadcnt 0x5
	s_delay_alu instid0(VALU_DEP_1) | instskip(NEXT) | instid1(VALU_DEP_1)
	v_dual_add_f32 v20, v20, v22 :: v_dual_lshlrev_b32 v22, 16, v9
	v_bfe_u32 v21, v20, 16, 1
	v_cmp_o_f32_e32 vcc_lo, v20, v20
	s_delay_alu instid0(VALU_DEP_2) | instskip(NEXT) | instid1(VALU_DEP_1)
	v_add3_u32 v21, v20, v21, 0x7fff
	v_and_b32_e32 v21, 0xffff0000, v21
	s_delay_alu instid0(VALU_DEP_1) | instskip(SKIP_1) | instid1(VALU_DEP_1)
	v_cndmask_b32_e32 v20, 0x7fc00000, v21, vcc_lo
	s_wait_loadcnt 0x4
	v_dual_add_f32 v20, v20, v22 :: v_dual_lshlrev_b32 v22, 16, v8
	s_delay_alu instid0(VALU_DEP_1) | instskip(SKIP_1) | instid1(VALU_DEP_2)
	v_bfe_u32 v21, v20, 16, 1
	v_cmp_o_f32_e32 vcc_lo, v20, v20
	v_add3_u32 v21, v20, v21, 0x7fff
	s_delay_alu instid0(VALU_DEP_1) | instskip(NEXT) | instid1(VALU_DEP_1)
	v_and_b32_e32 v21, 0xffff0000, v21
	v_cndmask_b32_e32 v20, 0x7fc00000, v21, vcc_lo
	s_wait_loadcnt 0x3
	s_delay_alu instid0(VALU_DEP_1) | instskip(NEXT) | instid1(VALU_DEP_1)
	v_dual_add_f32 v20, v20, v22 :: v_dual_lshlrev_b32 v22, 16, v7
	v_bfe_u32 v21, v20, 16, 1
	v_cmp_o_f32_e32 vcc_lo, v20, v20
	s_delay_alu instid0(VALU_DEP_2) | instskip(NEXT) | instid1(VALU_DEP_1)
	v_add3_u32 v21, v20, v21, 0x7fff
	v_and_b32_e32 v21, 0xffff0000, v21
	s_delay_alu instid0(VALU_DEP_1) | instskip(NEXT) | instid1(VALU_DEP_1)
	v_cndmask_b32_e32 v20, 0x7fc00000, v21, vcc_lo
	v_add_f32_e32 v20, v20, v22
	s_wait_loadcnt 0x2
	v_lshlrev_b32_e32 v22, 16, v6
	s_delay_alu instid0(VALU_DEP_2) | instskip(SKIP_1) | instid1(VALU_DEP_2)
	v_bfe_u32 v21, v20, 16, 1
	v_cmp_o_f32_e32 vcc_lo, v20, v20
	v_add3_u32 v21, v20, v21, 0x7fff
	s_delay_alu instid0(VALU_DEP_1) | instskip(NEXT) | instid1(VALU_DEP_1)
	v_and_b32_e32 v21, 0xffff0000, v21
	v_cndmask_b32_e32 v20, 0x7fc00000, v21, vcc_lo
	s_delay_alu instid0(VALU_DEP_1) | instskip(NEXT) | instid1(VALU_DEP_1)
	v_add_f32_e32 v20, v20, v22
	v_bfe_u32 v21, v20, 16, 1
	v_cmp_o_f32_e32 vcc_lo, v20, v20
	s_wait_loadcnt 0x1
	v_lshlrev_b32_e32 v22, 16, v4
	s_delay_alu instid0(VALU_DEP_3) | instskip(NEXT) | instid1(VALU_DEP_1)
	v_add3_u32 v21, v20, v21, 0x7fff
	v_and_b32_e32 v21, 0xffff0000, v21
	s_delay_alu instid0(VALU_DEP_1) | instskip(NEXT) | instid1(VALU_DEP_1)
	v_cndmask_b32_e32 v20, 0x7fc00000, v21, vcc_lo
	v_add_f32_e32 v20, v20, v22
	s_delay_alu instid0(VALU_DEP_1) | instskip(SKIP_3) | instid1(VALU_DEP_3)
	v_bfe_u32 v21, v20, 16, 1
	v_cmp_o_f32_e32 vcc_lo, v20, v20
	s_wait_loadcnt 0x0
	v_lshlrev_b32_e32 v22, 16, v5
	v_add3_u32 v21, v20, v21, 0x7fff
	s_delay_alu instid0(VALU_DEP_1) | instskip(NEXT) | instid1(VALU_DEP_1)
	v_and_b32_e32 v21, 0xffff0000, v21
	v_cndmask_b32_e32 v20, 0x7fc00000, v21, vcc_lo
	s_delay_alu instid0(VALU_DEP_1) | instskip(NEXT) | instid1(VALU_DEP_1)
	v_add_f32_e32 v20, v20, v22
	v_bfe_u32 v21, v20, 16, 1
	v_cmp_o_f32_e32 vcc_lo, v20, v20
	s_delay_alu instid0(VALU_DEP_2) | instskip(NEXT) | instid1(VALU_DEP_1)
	v_add3_u32 v21, v20, v21, 0x7fff
	v_lshrrev_b32_e32 v21, 16, v21
	s_delay_alu instid0(VALU_DEP_1)
	v_cndmask_b32_e32 v20, 0x7fc0, v21, vcc_lo
	s_cbranch_scc1 .LBB119_8
.LBB119_9:
	s_sub_co_i32 s25, s28, s0
	s_ashr_i32 s1, s0, 31
	v_cmp_gt_u32_e64 s14, s25, v0
	s_lshl_b64 s[0:1], s[0:1], 1
	s_delay_alu instid0(SALU_CYCLE_1)
	s_add_nc_u64 s[26:27], s[16:17], s[0:1]
	s_and_saveexec_b32 s0, s14
	s_cbranch_execz .LBB119_11
; %bb.10:
	global_load_u16 v19, v0, s[26:27] scale_offset
.LBB119_11:
	s_wait_xcnt 0x0
	s_or_b32 exec_lo, exec_lo, s0
	v_or_b32_e32 v2, 0x100, v0
	s_delay_alu instid0(VALU_DEP_1)
	v_cmp_gt_u32_e64 s13, s25, v2
	s_and_saveexec_b32 s0, s13
	s_cbranch_execz .LBB119_13
; %bb.12:
	global_load_u16 v18, v0, s[26:27] offset:512 scale_offset
.LBB119_13:
	s_wait_xcnt 0x0
	s_or_b32 exec_lo, exec_lo, s0
	v_or_b32_e32 v2, 0x200, v0
	s_delay_alu instid0(VALU_DEP_1)
	v_cmp_gt_u32_e64 s12, s25, v2
	s_and_saveexec_b32 s0, s12
	s_cbranch_execz .LBB119_15
; %bb.14:
	global_load_u16 v17, v0, s[26:27] offset:1024 scale_offset
.LBB119_15:
	;; [unrolled: 10-line block ×14, first 2 shown]
	s_wait_xcnt 0x0
	s_or_b32 exec_lo, exec_lo, s29
	v_or_b32_e32 v2, 0xf00, v0
	s_delay_alu instid0(VALU_DEP_1)
	v_cmp_gt_u32_e32 vcc_lo, s25, v2
	s_and_saveexec_b32 s25, vcc_lo
	s_cbranch_execnz .LBB119_91
; %bb.40:
	s_or_b32 exec_lo, exec_lo, s25
	s_and_saveexec_b32 s25, s14
	s_cbranch_execnz .LBB119_92
.LBB119_41:
	s_or_b32 exec_lo, exec_lo, s25
	s_and_saveexec_b32 s14, s13
	s_cbranch_execnz .LBB119_93
.LBB119_42:
	s_or_b32 exec_lo, exec_lo, s14
	s_and_saveexec_b32 s13, s12
	s_cbranch_execnz .LBB119_94
.LBB119_43:
	s_or_b32 exec_lo, exec_lo, s13
	s_and_saveexec_b32 s12, s11
	s_cbranch_execnz .LBB119_95
.LBB119_44:
	s_or_b32 exec_lo, exec_lo, s12
	s_and_saveexec_b32 s11, s10
	s_cbranch_execnz .LBB119_96
.LBB119_45:
	s_or_b32 exec_lo, exec_lo, s11
	s_and_saveexec_b32 s10, s9
	s_cbranch_execnz .LBB119_97
.LBB119_46:
	s_or_b32 exec_lo, exec_lo, s10
	s_and_saveexec_b32 s9, s8
	s_cbranch_execnz .LBB119_98
.LBB119_47:
	s_or_b32 exec_lo, exec_lo, s9
	s_and_saveexec_b32 s8, s7
	s_cbranch_execnz .LBB119_99
.LBB119_48:
	s_or_b32 exec_lo, exec_lo, s8
	s_and_saveexec_b32 s7, s6
	s_cbranch_execnz .LBB119_100
.LBB119_49:
	s_or_b32 exec_lo, exec_lo, s7
	s_and_saveexec_b32 s6, s5
	s_cbranch_execnz .LBB119_101
.LBB119_50:
	s_or_b32 exec_lo, exec_lo, s6
	s_and_saveexec_b32 s5, s4
	s_cbranch_execnz .LBB119_102
.LBB119_51:
	s_or_b32 exec_lo, exec_lo, s5
	s_and_saveexec_b32 s4, s3
	s_cbranch_execnz .LBB119_103
.LBB119_52:
	s_or_b32 exec_lo, exec_lo, s4
	s_and_saveexec_b32 s3, s2
	s_cbranch_execnz .LBB119_104
.LBB119_53:
	s_or_b32 exec_lo, exec_lo, s3
	s_and_saveexec_b32 s2, s1
	s_cbranch_execnz .LBB119_105
.LBB119_54:
	s_or_b32 exec_lo, exec_lo, s2
	s_and_saveexec_b32 s1, s0
	s_cbranch_execnz .LBB119_106
.LBB119_55:
	s_or_b32 exec_lo, exec_lo, s1
	s_and_saveexec_b32 s0, vcc_lo
	s_cbranch_execz .LBB119_57
.LBB119_56:
	s_wait_loadcnt 0x0
	v_dual_lshlrev_b32 v2, 16, v5 :: v_dual_lshlrev_b32 v3, 16, v20
	s_delay_alu instid0(VALU_DEP_1) | instskip(NEXT) | instid1(VALU_DEP_1)
	v_add_f32_e32 v2, v3, v2
	v_bfe_u32 v3, v2, 16, 1
	s_delay_alu instid0(VALU_DEP_1) | instskip(NEXT) | instid1(VALU_DEP_1)
	v_add3_u32 v3, v2, v3, 0x7fff
	v_lshrrev_b32_e32 v3, 16, v3
	v_cmp_o_f32_e32 vcc_lo, v2, v2
	s_delay_alu instid0(VALU_DEP_2)
	v_cndmask_b32_e32 v20, 0x7fc0, v3, vcc_lo
.LBB119_57:
	s_or_b32 exec_lo, exec_lo, s0
	s_delay_alu instid0(VALU_DEP_1) | instskip(SKIP_1) | instid1(VALU_DEP_1)
	v_and_b32_e32 v2, 0xffff, v20
	s_mov_b32 s0, exec_lo
	v_mov_b32_dpp v2, v2 quad_perm:[1,0,3,2] row_mask:0xf bank_mask:0xf
	s_delay_alu instid0(VALU_DEP_1) | instskip(NEXT) | instid1(VALU_DEP_1)
	v_dual_lshlrev_b32 v3, 16, v20 :: v_dual_lshlrev_b32 v2, 16, v2
	v_add_f32_e32 v2, v2, v3
	s_delay_alu instid0(VALU_DEP_1) | instskip(NEXT) | instid1(VALU_DEP_1)
	v_bfe_u32 v3, v2, 16, 1
	v_add3_u32 v3, v2, v3, 0x7fff
	s_delay_alu instid0(VALU_DEP_1) | instskip(SKIP_1) | instid1(VALU_DEP_2)
	v_lshrrev_b32_e32 v3, 16, v3
	v_cmp_o_f32_e32 vcc_lo, v2, v2
	v_cndmask_b32_e32 v2, 0x7fc0, v3, vcc_lo
	s_delay_alu instid0(VALU_DEP_1) | instskip(NEXT) | instid1(VALU_DEP_1)
	v_mov_b32_dpp v3, v2 quad_perm:[2,3,0,1] row_mask:0xf bank_mask:0xf
	v_dual_lshlrev_b32 v3, 16, v3 :: v_dual_lshlrev_b32 v2, 16, v2
	s_delay_alu instid0(VALU_DEP_1) | instskip(NEXT) | instid1(VALU_DEP_1)
	v_add_f32_e32 v2, v2, v3
	v_bfe_u32 v3, v2, 16, 1
	v_cmp_o_f32_e32 vcc_lo, v2, v2
	s_delay_alu instid0(VALU_DEP_2) | instskip(NEXT) | instid1(VALU_DEP_1)
	v_add3_u32 v3, v2, v3, 0x7fff
	v_lshrrev_b32_e32 v3, 16, v3
	s_delay_alu instid0(VALU_DEP_1) | instskip(NEXT) | instid1(VALU_DEP_1)
	v_cndmask_b32_e32 v2, 0x7fc0, v3, vcc_lo
	v_mov_b32_dpp v3, v2 row_ror:4 row_mask:0xf bank_mask:0xf
	s_delay_alu instid0(VALU_DEP_1) | instskip(NEXT) | instid1(VALU_DEP_1)
	v_dual_lshlrev_b32 v2, 16, v2 :: v_dual_lshlrev_b32 v3, 16, v3
	v_add_f32_e32 v2, v2, v3
	s_delay_alu instid0(VALU_DEP_1) | instskip(SKIP_1) | instid1(VALU_DEP_2)
	v_bfe_u32 v3, v2, 16, 1
	v_cmp_o_f32_e32 vcc_lo, v2, v2
	v_add3_u32 v3, v2, v3, 0x7fff
	s_delay_alu instid0(VALU_DEP_1) | instskip(NEXT) | instid1(VALU_DEP_1)
	v_lshrrev_b32_e32 v3, 16, v3
	v_cndmask_b32_e32 v2, 0x7fc0, v3, vcc_lo
	s_delay_alu instid0(VALU_DEP_1) | instskip(NEXT) | instid1(VALU_DEP_1)
	v_mov_b32_dpp v3, v2 row_ror:8 row_mask:0xf bank_mask:0xf
	v_dual_lshlrev_b32 v2, 16, v2 :: v_dual_lshlrev_b32 v3, 16, v3
	s_delay_alu instid0(VALU_DEP_1) | instskip(NEXT) | instid1(VALU_DEP_1)
	v_add_f32_e32 v2, v2, v3
	v_bfe_u32 v3, v2, 16, 1
	v_cmp_o_f32_e32 vcc_lo, v2, v2
	s_delay_alu instid0(VALU_DEP_2) | instskip(NEXT) | instid1(VALU_DEP_1)
	v_add3_u32 v3, v2, v3, 0x7fff
	v_lshrrev_b32_e32 v3, 16, v3
	s_delay_alu instid0(VALU_DEP_1) | instskip(SKIP_3) | instid1(VALU_DEP_1)
	v_cndmask_b32_e32 v2, 0x7fc0, v3, vcc_lo
	ds_swizzle_b32 v3, v2 offset:swizzle(BROADCAST,32,15)
	s_wait_dscnt 0x0
	v_dual_lshlrev_b32 v2, 16, v2 :: v_dual_lshlrev_b32 v3, 16, v3
	v_add_f32_e32 v2, v2, v3
	s_delay_alu instid0(VALU_DEP_1) | instskip(SKIP_1) | instid1(VALU_DEP_2)
	v_bfe_u32 v3, v2, 16, 1
	v_cmp_o_f32_e32 vcc_lo, v2, v2
	v_add3_u32 v3, v2, v3, 0x7fff
	s_delay_alu instid0(VALU_DEP_1) | instskip(NEXT) | instid1(VALU_DEP_1)
	v_lshrrev_b32_e32 v3, 16, v3
	v_dual_cndmask_b32 v2, 0x7fc0, v3 :: v_dual_mov_b32 v3, 0
	s_wait_loadcnt 0x0
	ds_bpermute_b32 v4, v3, v2 offset:124
	v_mbcnt_lo_u32_b32 v2, -1, 0
	s_delay_alu instid0(VALU_DEP_1)
	v_cmpx_eq_u32_e32 0, v2
	s_xor_b32 s0, exec_lo, s0
	s_cbranch_execz .LBB119_59
; %bb.58:
	v_lshrrev_b32_e32 v3, 4, v0
	s_delay_alu instid0(VALU_DEP_1)
	v_and_b32_e32 v3, 14, v3
	s_wait_dscnt 0x0
	ds_store_b16 v3, v4
.LBB119_59:
	s_or_b32 exec_lo, exec_lo, s0
	s_delay_alu instid0(SALU_CYCLE_1)
	s_mov_b32 s0, exec_lo
	s_wait_dscnt 0x0
	s_barrier_signal -1
	s_barrier_wait -1
	v_cmpx_gt_u32_e32 32, v0
	s_cbranch_execz .LBB119_61
; %bb.60:
	v_and_b32_e32 v3, 7, v2
	s_delay_alu instid0(VALU_DEP_1) | instskip(SKIP_1) | instid1(VALU_DEP_1)
	v_cmp_ne_u32_e32 vcc_lo, 7, v3
	v_add_co_ci_u32_e64 v5, null, 0, v2, vcc_lo
	v_dual_lshlrev_b32 v5, 2, v5 :: v_dual_lshlrev_b32 v4, 1, v3
	v_cmp_gt_u32_e32 vcc_lo, 6, v3
	ds_load_u16 v4, v4
	v_cndmask_b32_e64 v3, 0, 2, vcc_lo
	s_delay_alu instid0(VALU_DEP_1) | instskip(SKIP_1) | instid1(VALU_DEP_1)
	v_add_lshl_u32 v3, v3, v2, 2
	v_lshlrev_b32_e32 v2, 2, v2
	v_or_b32_e32 v2, 16, v2
	s_wait_dscnt 0x0
	ds_bpermute_b32 v5, v5, v4
	s_wait_dscnt 0x0
	v_dual_lshlrev_b32 v4, 16, v4 :: v_dual_lshlrev_b32 v5, 16, v5
	s_delay_alu instid0(VALU_DEP_1) | instskip(NEXT) | instid1(VALU_DEP_1)
	v_add_f32_e32 v4, v5, v4
	v_bfe_u32 v5, v4, 16, 1
	v_cmp_o_f32_e32 vcc_lo, v4, v4
	s_delay_alu instid0(VALU_DEP_2) | instskip(NEXT) | instid1(VALU_DEP_1)
	v_add3_u32 v5, v4, v5, 0x7fff
	v_lshrrev_b32_e32 v5, 16, v5
	s_delay_alu instid0(VALU_DEP_1) | instskip(SKIP_3) | instid1(VALU_DEP_1)
	v_cndmask_b32_e32 v4, 0x7fc0, v5, vcc_lo
	ds_bpermute_b32 v3, v3, v4
	s_wait_dscnt 0x0
	v_dual_lshlrev_b32 v4, 16, v4 :: v_dual_lshlrev_b32 v3, 16, v3
	v_add_f32_e32 v3, v4, v3
	s_delay_alu instid0(VALU_DEP_1) | instskip(NEXT) | instid1(VALU_DEP_1)
	v_bfe_u32 v4, v3, 16, 1
	v_add3_u32 v4, v3, v4, 0x7fff
	s_delay_alu instid0(VALU_DEP_1) | instskip(SKIP_1) | instid1(VALU_DEP_2)
	v_lshrrev_b32_e32 v4, 16, v4
	v_cmp_o_f32_e32 vcc_lo, v3, v3
	v_cndmask_b32_e32 v3, 0x7fc0, v4, vcc_lo
	ds_bpermute_b32 v2, v2, v3
	s_wait_dscnt 0x0
	v_dual_lshlrev_b32 v2, 16, v2 :: v_dual_lshlrev_b32 v3, 16, v3
	s_delay_alu instid0(VALU_DEP_1) | instskip(NEXT) | instid1(VALU_DEP_1)
	v_add_f32_e32 v2, v3, v2
	v_bfe_u32 v3, v2, 16, 1
	v_cmp_o_f32_e32 vcc_lo, v2, v2
	s_delay_alu instid0(VALU_DEP_2) | instskip(NEXT) | instid1(VALU_DEP_1)
	v_add3_u32 v3, v2, v3, 0x7fff
	v_lshrrev_b32_e32 v3, 16, v3
	s_delay_alu instid0(VALU_DEP_1)
	v_cndmask_b32_e32 v4, 0x7fc0, v3, vcc_lo
.LBB119_61:
	s_or_b32 exec_lo, exec_lo, s0
	s_branch .LBB119_113
.LBB119_62:
                                        ; implicit-def: $vgpr4
	s_cbranch_execz .LBB119_113
; %bb.63:
	s_sub_co_i32 s1, s28, s24
	s_mov_b32 s2, exec_lo
                                        ; implicit-def: $vgpr3
	v_cmpx_gt_u32_e64 s1, v0
	s_cbranch_execz .LBB119_69
; %bb.64:
	v_add_nc_u32_e32 v2, s24, v0
	s_mov_b32 s3, exec_lo
	global_load_u16 v3, v2, s[16:17] scale_offset
	s_wait_xcnt 0x0
	v_add_nc_u32_e32 v2, 0x100, v2
	s_delay_alu instid0(VALU_DEP_1)
	v_cmpx_gt_i32_e64 s28, v2
	s_cbranch_execz .LBB119_68
; %bb.65:
	s_mov_b32 s4, 0
.LBB119_66:                             ; =>This Inner Loop Header: Depth=1
	global_load_u16 v4, v2, s[16:17] scale_offset
	s_wait_loadcnt 0x1
	v_lshlrev_b32_e32 v3, 16, v3
	s_wait_xcnt 0x0
	v_add_nc_u32_e32 v2, 0x100, v2
	s_delay_alu instid0(VALU_DEP_1) | instskip(SKIP_3) | instid1(VALU_DEP_1)
	v_cmp_le_i32_e32 vcc_lo, s28, v2
	s_or_b32 s4, vcc_lo, s4
	s_wait_loadcnt 0x0
	v_lshlrev_b32_e32 v4, 16, v4
	v_add_f32_e32 v3, v4, v3
	s_delay_alu instid0(VALU_DEP_1) | instskip(SKIP_1) | instid1(VALU_DEP_2)
	v_bfe_u32 v4, v3, 16, 1
	v_cmp_o_f32_e64 s0, v3, v3
	v_add3_u32 v4, v3, v4, 0x7fff
	s_delay_alu instid0(VALU_DEP_1) | instskip(NEXT) | instid1(VALU_DEP_1)
	v_lshrrev_b32_e32 v4, 16, v4
	v_cndmask_b32_e64 v3, 0x7fc0, v4, s0
	s_and_not1_b32 exec_lo, exec_lo, s4
	s_cbranch_execnz .LBB119_66
; %bb.67:
	s_or_b32 exec_lo, exec_lo, s4
.LBB119_68:
	s_delay_alu instid0(SALU_CYCLE_1)
	s_or_b32 exec_lo, exec_lo, s3
.LBB119_69:
	s_delay_alu instid0(SALU_CYCLE_1)
	s_or_b32 exec_lo, exec_lo, s2
	v_mbcnt_lo_u32_b32 v2, -1, 0
	s_wait_loadcnt 0x0
	v_and_b32_e32 v5, 0xffff, v3
	s_cmp_lt_u32 s1, 0x100
	s_cbranch_scc0 .LBB119_107
; %bb.70:
	v_cmp_ne_u32_e32 vcc_lo, 31, v2
	s_delay_alu instid0(VALU_DEP_2) | instskip(SKIP_1) | instid1(VALU_DEP_1)
	v_mov_b32_e32 v8, v5
	v_add_co_ci_u32_e64 v4, null, 0, v2, vcc_lo
	v_lshlrev_b32_e32 v4, 2, v4
	ds_bpermute_b32 v7, v4, v5
	v_and_b32_e32 v4, 0xe0, v0
	s_delay_alu instid0(VALU_DEP_1) | instskip(SKIP_1) | instid1(VALU_DEP_1)
	v_sub_nc_u32_e64 v6, s1, v4 clamp
	v_add_nc_u32_e32 v4, 1, v2
	v_cmp_lt_u32_e32 vcc_lo, v4, v6
	v_mov_b32_e32 v4, v3
	s_and_saveexec_b32 s0, vcc_lo
	s_cbranch_execz .LBB119_72
; %bb.71:
	s_wait_dscnt 0x0
	v_dual_lshlrev_b32 v4, 16, v5 :: v_dual_lshlrev_b32 v7, 16, v7
	s_delay_alu instid0(VALU_DEP_1) | instskip(NEXT) | instid1(VALU_DEP_1)
	v_add_f32_e32 v4, v7, v4
	v_bfe_u32 v7, v4, 16, 1
	s_delay_alu instid0(VALU_DEP_1) | instskip(NEXT) | instid1(VALU_DEP_1)
	v_add3_u32 v7, v4, v7, 0x7fff
	v_lshrrev_b32_e32 v7, 16, v7
	v_cmp_o_f32_e32 vcc_lo, v4, v4
	s_delay_alu instid0(VALU_DEP_2) | instskip(NEXT) | instid1(VALU_DEP_1)
	v_cndmask_b32_e32 v4, 0x7fc0, v7, vcc_lo
	v_and_b32_e32 v8, 0xffff, v4
.LBB119_72:
	s_or_b32 exec_lo, exec_lo, s0
	v_cmp_gt_u32_e32 vcc_lo, 30, v2
	v_add_nc_u32_e32 v9, 2, v2
	s_mov_b32 s0, exec_lo
	s_wait_dscnt 0x0
	v_cndmask_b32_e64 v7, 0, 2, vcc_lo
	s_delay_alu instid0(VALU_DEP_1)
	v_add_lshl_u32 v7, v7, v2, 2
	ds_bpermute_b32 v7, v7, v8
	v_cmpx_lt_u32_e64 v9, v6
	s_cbranch_execz .LBB119_74
; %bb.73:
	s_wait_dscnt 0x0
	v_dual_lshlrev_b32 v4, 16, v8 :: v_dual_lshlrev_b32 v7, 16, v7
	s_delay_alu instid0(VALU_DEP_1) | instskip(NEXT) | instid1(VALU_DEP_1)
	v_add_f32_e32 v4, v7, v4
	v_bfe_u32 v7, v4, 16, 1
	s_delay_alu instid0(VALU_DEP_1) | instskip(NEXT) | instid1(VALU_DEP_1)
	v_add3_u32 v7, v4, v7, 0x7fff
	v_lshrrev_b32_e32 v7, 16, v7
	v_cmp_o_f32_e32 vcc_lo, v4, v4
	s_delay_alu instid0(VALU_DEP_2) | instskip(NEXT) | instid1(VALU_DEP_1)
	v_cndmask_b32_e32 v4, 0x7fc0, v7, vcc_lo
	v_and_b32_e32 v8, 0xffff, v4
.LBB119_74:
	s_or_b32 exec_lo, exec_lo, s0
	v_cmp_gt_u32_e32 vcc_lo, 28, v2
	v_add_nc_u32_e32 v9, 4, v2
	s_mov_b32 s0, exec_lo
	s_wait_dscnt 0x0
	v_cndmask_b32_e64 v7, 0, 4, vcc_lo
	s_delay_alu instid0(VALU_DEP_1)
	v_add_lshl_u32 v7, v7, v2, 2
	ds_bpermute_b32 v7, v7, v8
	v_cmpx_lt_u32_e64 v9, v6
	;; [unrolled: 25-line block ×3, first 2 shown]
	s_cbranch_execz .LBB119_78
; %bb.77:
	s_wait_dscnt 0x0
	v_dual_lshlrev_b32 v4, 16, v8 :: v_dual_lshlrev_b32 v7, 16, v7
	s_delay_alu instid0(VALU_DEP_1) | instskip(NEXT) | instid1(VALU_DEP_1)
	v_add_f32_e32 v4, v7, v4
	v_bfe_u32 v7, v4, 16, 1
	s_delay_alu instid0(VALU_DEP_1) | instskip(NEXT) | instid1(VALU_DEP_1)
	v_add3_u32 v7, v4, v7, 0x7fff
	v_lshrrev_b32_e32 v7, 16, v7
	v_cmp_o_f32_e32 vcc_lo, v4, v4
	s_delay_alu instid0(VALU_DEP_2) | instskip(NEXT) | instid1(VALU_DEP_1)
	v_cndmask_b32_e32 v4, 0x7fc0, v7, vcc_lo
	v_and_b32_e32 v8, 0xffff, v4
.LBB119_78:
	s_or_b32 exec_lo, exec_lo, s0
	s_wait_dscnt 0x0
	v_dual_lshlrev_b32 v7, 2, v2 :: v_dual_add_nc_u32 v10, 16, v2
	s_mov_b32 s0, exec_lo
	s_delay_alu instid0(VALU_DEP_1)
	v_or_b32_e32 v9, 64, v7
	ds_bpermute_b32 v9, v9, v8
	v_cmpx_lt_u32_e64 v10, v6
	s_cbranch_execz .LBB119_80
; %bb.79:
	s_wait_dscnt 0x0
	v_dual_lshlrev_b32 v4, 16, v8 :: v_dual_lshlrev_b32 v6, 16, v9
	s_delay_alu instid0(VALU_DEP_1) | instskip(NEXT) | instid1(VALU_DEP_1)
	v_add_f32_e32 v4, v6, v4
	v_bfe_u32 v6, v4, 16, 1
	s_delay_alu instid0(VALU_DEP_1) | instskip(NEXT) | instid1(VALU_DEP_1)
	v_add3_u32 v6, v4, v6, 0x7fff
	v_lshrrev_b32_e32 v6, 16, v6
	v_cmp_o_f32_e32 vcc_lo, v4, v4
	s_delay_alu instid0(VALU_DEP_2)
	v_cndmask_b32_e32 v4, 0x7fc0, v6, vcc_lo
.LBB119_80:
	s_or_b32 exec_lo, exec_lo, s0
	s_delay_alu instid0(SALU_CYCLE_1)
	s_mov_b32 s0, exec_lo
	v_cmpx_eq_u32_e32 0, v2
; %bb.81:
	v_lshrrev_b32_e32 v6, 4, v0
	s_delay_alu instid0(VALU_DEP_1)
	v_and_b32_e32 v6, 14, v6
	ds_store_b16 v6, v4
; %bb.82:
	s_or_b32 exec_lo, exec_lo, s0
	s_delay_alu instid0(SALU_CYCLE_1)
	s_mov_b32 s0, exec_lo
	s_wait_dscnt 0x0
	s_barrier_signal -1
	s_barrier_wait -1
	v_cmpx_gt_u32_e32 8, v0
	s_cbranch_execz .LBB119_90
; %bb.83:
	v_dual_lshlrev_b32 v4, 1, v2 :: v_dual_bitop2_b32 v6, 7, v2 bitop3:0x40
	s_add_co_i32 s1, s1, 31
	s_mov_b32 s2, exec_lo
	s_lshr_b32 s1, s1, 5
	ds_load_u16 v4, v4
	v_cmp_ne_u32_e32 vcc_lo, 7, v6
	v_add_nc_u32_e32 v10, 1, v6
	v_add_co_ci_u32_e64 v8, null, 0, v2, vcc_lo
	s_delay_alu instid0(VALU_DEP_1)
	v_lshlrev_b32_e32 v9, 2, v8
	s_wait_dscnt 0x0
	v_and_b32_e32 v8, 0xffff, v4
	ds_bpermute_b32 v9, v9, v8
	v_cmpx_gt_u32_e64 s1, v10
	s_cbranch_execz .LBB119_85
; %bb.84:
	s_wait_dscnt 0x0
	v_dual_lshlrev_b32 v4, 16, v8 :: v_dual_lshlrev_b32 v8, 16, v9
	s_delay_alu instid0(VALU_DEP_1) | instskip(NEXT) | instid1(VALU_DEP_1)
	v_add_f32_e32 v4, v8, v4
	v_bfe_u32 v8, v4, 16, 1
	v_cmp_o_f32_e32 vcc_lo, v4, v4
	s_delay_alu instid0(VALU_DEP_2) | instskip(NEXT) | instid1(VALU_DEP_1)
	v_add3_u32 v8, v4, v8, 0x7fff
	v_lshrrev_b32_e32 v8, 16, v8
	s_delay_alu instid0(VALU_DEP_1) | instskip(NEXT) | instid1(VALU_DEP_1)
	v_cndmask_b32_e32 v4, 0x7fc0, v8, vcc_lo
	v_and_b32_e32 v8, 0xffff, v4
.LBB119_85:
	s_or_b32 exec_lo, exec_lo, s2
	v_cmp_gt_u32_e32 vcc_lo, 6, v6
	v_add_nc_u32_e32 v10, 2, v6
	s_mov_b32 s2, exec_lo
	s_wait_dscnt 0x0
	v_cndmask_b32_e64 v9, 0, 2, vcc_lo
	s_delay_alu instid0(VALU_DEP_1)
	v_add_lshl_u32 v9, v9, v2, 2
	ds_bpermute_b32 v9, v9, v8
	v_cmpx_gt_u32_e64 s1, v10
	s_cbranch_execz .LBB119_87
; %bb.86:
	s_wait_dscnt 0x0
	v_dual_lshlrev_b32 v4, 16, v8 :: v_dual_lshlrev_b32 v8, 16, v9
	s_delay_alu instid0(VALU_DEP_1) | instskip(NEXT) | instid1(VALU_DEP_1)
	v_add_f32_e32 v4, v8, v4
	v_bfe_u32 v8, v4, 16, 1
	v_cmp_o_f32_e32 vcc_lo, v4, v4
	s_delay_alu instid0(VALU_DEP_2) | instskip(NEXT) | instid1(VALU_DEP_1)
	v_add3_u32 v8, v4, v8, 0x7fff
	v_lshrrev_b32_e32 v8, 16, v8
	s_delay_alu instid0(VALU_DEP_1) | instskip(NEXT) | instid1(VALU_DEP_1)
	v_cndmask_b32_e32 v4, 0x7fc0, v8, vcc_lo
	v_and_b32_e32 v8, 0xffff, v4
.LBB119_87:
	s_or_b32 exec_lo, exec_lo, s2
	v_dual_add_nc_u32 v6, 4, v6 :: v_dual_bitop2_b32 v7, 16, v7 bitop3:0x54
	ds_bpermute_b32 v7, v7, v8
	v_cmp_gt_u32_e32 vcc_lo, s1, v6
	s_and_saveexec_b32 s1, vcc_lo
	s_cbranch_execz .LBB119_89
; %bb.88:
	s_wait_dscnt 0x0
	v_dual_lshlrev_b32 v4, 16, v8 :: v_dual_lshlrev_b32 v6, 16, v7
	s_delay_alu instid0(VALU_DEP_1) | instskip(NEXT) | instid1(VALU_DEP_1)
	v_add_f32_e32 v4, v6, v4
	v_bfe_u32 v6, v4, 16, 1
	s_delay_alu instid0(VALU_DEP_1) | instskip(NEXT) | instid1(VALU_DEP_1)
	v_add3_u32 v6, v4, v6, 0x7fff
	v_lshrrev_b32_e32 v6, 16, v6
	v_cmp_o_f32_e32 vcc_lo, v4, v4
	s_delay_alu instid0(VALU_DEP_2)
	v_cndmask_b32_e32 v4, 0x7fc0, v6, vcc_lo
.LBB119_89:
	s_or_b32 exec_lo, exec_lo, s1
.LBB119_90:
	s_delay_alu instid0(SALU_CYCLE_1)
	s_or_b32 exec_lo, exec_lo, s0
	s_branch .LBB119_113
.LBB119_91:
	global_load_u16 v5, v0, s[26:27] offset:7680 scale_offset
	s_wait_xcnt 0x0
	s_or_b32 exec_lo, exec_lo, s25
	s_and_saveexec_b32 s25, s14
	s_cbranch_execz .LBB119_41
.LBB119_92:
	s_wait_loadcnt 0x0
	v_dual_lshlrev_b32 v2, 16, v20 :: v_dual_lshlrev_b32 v3, 16, v19
	s_delay_alu instid0(VALU_DEP_1) | instskip(NEXT) | instid1(VALU_DEP_1)
	v_add_f32_e32 v2, v3, v2
	v_bfe_u32 v3, v2, 16, 1
	s_delay_alu instid0(VALU_DEP_1) | instskip(NEXT) | instid1(VALU_DEP_1)
	v_add3_u32 v3, v2, v3, 0x7fff
	v_lshrrev_b32_e32 v3, 16, v3
	v_cmp_o_f32_e64 s14, v2, v2
	s_delay_alu instid0(VALU_DEP_1)
	v_cndmask_b32_e64 v20, 0x7fc0, v3, s14
	s_or_b32 exec_lo, exec_lo, s25
	s_and_saveexec_b32 s14, s13
	s_cbranch_execz .LBB119_42
.LBB119_93:
	s_wait_loadcnt 0x0
	v_dual_lshlrev_b32 v2, 16, v18 :: v_dual_lshlrev_b32 v3, 16, v20
	s_delay_alu instid0(VALU_DEP_1) | instskip(NEXT) | instid1(VALU_DEP_1)
	v_add_f32_e32 v2, v3, v2
	v_bfe_u32 v3, v2, 16, 1
	s_delay_alu instid0(VALU_DEP_1) | instskip(NEXT) | instid1(VALU_DEP_1)
	v_add3_u32 v3, v2, v3, 0x7fff
	v_lshrrev_b32_e32 v3, 16, v3
	v_cmp_o_f32_e64 s13, v2, v2
	s_delay_alu instid0(VALU_DEP_1)
	v_cndmask_b32_e64 v20, 0x7fc0, v3, s13
	s_or_b32 exec_lo, exec_lo, s14
	s_and_saveexec_b32 s13, s12
	s_cbranch_execz .LBB119_43
.LBB119_94:
	s_wait_loadcnt 0x0
	v_dual_lshlrev_b32 v2, 16, v17 :: v_dual_lshlrev_b32 v3, 16, v20
	s_delay_alu instid0(VALU_DEP_1) | instskip(NEXT) | instid1(VALU_DEP_1)
	v_add_f32_e32 v2, v3, v2
	v_bfe_u32 v3, v2, 16, 1
	s_delay_alu instid0(VALU_DEP_1) | instskip(NEXT) | instid1(VALU_DEP_1)
	v_add3_u32 v3, v2, v3, 0x7fff
	v_lshrrev_b32_e32 v3, 16, v3
	v_cmp_o_f32_e64 s12, v2, v2
	s_delay_alu instid0(VALU_DEP_1)
	v_cndmask_b32_e64 v20, 0x7fc0, v3, s12
	s_or_b32 exec_lo, exec_lo, s13
	s_and_saveexec_b32 s12, s11
	s_cbranch_execz .LBB119_44
.LBB119_95:
	s_wait_loadcnt 0x0
	v_lshlrev_b32_e32 v2, 16, v16
	v_lshlrev_b32_e32 v3, 16, v20
	s_delay_alu instid0(VALU_DEP_1) | instskip(NEXT) | instid1(VALU_DEP_1)
	v_add_f32_e32 v2, v3, v2
	v_bfe_u32 v3, v2, 16, 1
	v_cmp_o_f32_e64 s11, v2, v2
	s_delay_alu instid0(VALU_DEP_2) | instskip(NEXT) | instid1(VALU_DEP_1)
	v_add3_u32 v3, v2, v3, 0x7fff
	v_lshrrev_b32_e32 v3, 16, v3
	s_delay_alu instid0(VALU_DEP_1)
	v_cndmask_b32_e64 v20, 0x7fc0, v3, s11
	s_or_b32 exec_lo, exec_lo, s12
	s_and_saveexec_b32 s11, s10
	s_cbranch_execz .LBB119_45
.LBB119_96:
	s_wait_loadcnt 0x0
	v_dual_lshlrev_b32 v2, 16, v15 :: v_dual_lshlrev_b32 v3, 16, v20
	s_delay_alu instid0(VALU_DEP_1) | instskip(NEXT) | instid1(VALU_DEP_1)
	v_add_f32_e32 v2, v3, v2
	v_bfe_u32 v3, v2, 16, 1
	s_delay_alu instid0(VALU_DEP_1) | instskip(NEXT) | instid1(VALU_DEP_1)
	v_add3_u32 v3, v2, v3, 0x7fff
	v_lshrrev_b32_e32 v3, 16, v3
	v_cmp_o_f32_e64 s10, v2, v2
	s_delay_alu instid0(VALU_DEP_1)
	v_cndmask_b32_e64 v20, 0x7fc0, v3, s10
	s_or_b32 exec_lo, exec_lo, s11
	s_and_saveexec_b32 s10, s9
	s_cbranch_execz .LBB119_46
.LBB119_97:
	s_wait_loadcnt 0x0
	v_dual_lshlrev_b32 v2, 16, v14 :: v_dual_lshlrev_b32 v3, 16, v20
	s_delay_alu instid0(VALU_DEP_1) | instskip(NEXT) | instid1(VALU_DEP_1)
	v_add_f32_e32 v2, v3, v2
	v_bfe_u32 v3, v2, 16, 1
	s_delay_alu instid0(VALU_DEP_1) | instskip(NEXT) | instid1(VALU_DEP_1)
	v_add3_u32 v3, v2, v3, 0x7fff
	v_lshrrev_b32_e32 v3, 16, v3
	v_cmp_o_f32_e64 s9, v2, v2
	s_delay_alu instid0(VALU_DEP_1)
	v_cndmask_b32_e64 v20, 0x7fc0, v3, s9
	s_or_b32 exec_lo, exec_lo, s10
	s_and_saveexec_b32 s9, s8
	s_cbranch_execz .LBB119_47
.LBB119_98:
	s_wait_loadcnt 0x0
	v_dual_lshlrev_b32 v2, 16, v13 :: v_dual_lshlrev_b32 v3, 16, v20
	s_delay_alu instid0(VALU_DEP_1) | instskip(NEXT) | instid1(VALU_DEP_1)
	v_add_f32_e32 v2, v3, v2
	v_bfe_u32 v3, v2, 16, 1
	s_delay_alu instid0(VALU_DEP_1) | instskip(NEXT) | instid1(VALU_DEP_1)
	v_add3_u32 v3, v2, v3, 0x7fff
	v_lshrrev_b32_e32 v3, 16, v3
	v_cmp_o_f32_e64 s8, v2, v2
	s_delay_alu instid0(VALU_DEP_1)
	v_cndmask_b32_e64 v20, 0x7fc0, v3, s8
	s_or_b32 exec_lo, exec_lo, s9
	s_and_saveexec_b32 s8, s7
	s_cbranch_execz .LBB119_48
.LBB119_99:
	s_wait_loadcnt 0x0
	v_lshlrev_b32_e32 v2, 16, v12
	v_lshlrev_b32_e32 v3, 16, v20
	s_delay_alu instid0(VALU_DEP_1) | instskip(NEXT) | instid1(VALU_DEP_1)
	v_add_f32_e32 v2, v3, v2
	v_bfe_u32 v3, v2, 16, 1
	v_cmp_o_f32_e64 s7, v2, v2
	s_delay_alu instid0(VALU_DEP_2) | instskip(NEXT) | instid1(VALU_DEP_1)
	v_add3_u32 v3, v2, v3, 0x7fff
	v_lshrrev_b32_e32 v3, 16, v3
	s_delay_alu instid0(VALU_DEP_1)
	v_cndmask_b32_e64 v20, 0x7fc0, v3, s7
	s_or_b32 exec_lo, exec_lo, s8
	s_and_saveexec_b32 s7, s6
	s_cbranch_execz .LBB119_49
.LBB119_100:
	s_wait_loadcnt 0x0
	v_dual_lshlrev_b32 v2, 16, v11 :: v_dual_lshlrev_b32 v3, 16, v20
	s_delay_alu instid0(VALU_DEP_1) | instskip(NEXT) | instid1(VALU_DEP_1)
	v_add_f32_e32 v2, v3, v2
	v_bfe_u32 v3, v2, 16, 1
	s_delay_alu instid0(VALU_DEP_1) | instskip(NEXT) | instid1(VALU_DEP_1)
	v_add3_u32 v3, v2, v3, 0x7fff
	v_lshrrev_b32_e32 v3, 16, v3
	v_cmp_o_f32_e64 s6, v2, v2
	s_delay_alu instid0(VALU_DEP_1)
	v_cndmask_b32_e64 v20, 0x7fc0, v3, s6
	s_or_b32 exec_lo, exec_lo, s7
	s_and_saveexec_b32 s6, s5
	s_cbranch_execz .LBB119_50
.LBB119_101:
	s_wait_loadcnt 0x0
	v_dual_lshlrev_b32 v2, 16, v10 :: v_dual_lshlrev_b32 v3, 16, v20
	s_delay_alu instid0(VALU_DEP_1) | instskip(NEXT) | instid1(VALU_DEP_1)
	v_add_f32_e32 v2, v3, v2
	v_bfe_u32 v3, v2, 16, 1
	s_delay_alu instid0(VALU_DEP_1) | instskip(NEXT) | instid1(VALU_DEP_1)
	v_add3_u32 v3, v2, v3, 0x7fff
	v_lshrrev_b32_e32 v3, 16, v3
	v_cmp_o_f32_e64 s5, v2, v2
	s_delay_alu instid0(VALU_DEP_1)
	v_cndmask_b32_e64 v20, 0x7fc0, v3, s5
	s_or_b32 exec_lo, exec_lo, s6
	s_and_saveexec_b32 s5, s4
	s_cbranch_execz .LBB119_51
.LBB119_102:
	s_wait_loadcnt 0x0
	v_dual_lshlrev_b32 v2, 16, v9 :: v_dual_lshlrev_b32 v3, 16, v20
	s_delay_alu instid0(VALU_DEP_1) | instskip(NEXT) | instid1(VALU_DEP_1)
	v_add_f32_e32 v2, v3, v2
	v_bfe_u32 v3, v2, 16, 1
	s_delay_alu instid0(VALU_DEP_1) | instskip(NEXT) | instid1(VALU_DEP_1)
	v_add3_u32 v3, v2, v3, 0x7fff
	v_lshrrev_b32_e32 v3, 16, v3
	v_cmp_o_f32_e64 s4, v2, v2
	s_delay_alu instid0(VALU_DEP_1)
	v_cndmask_b32_e64 v20, 0x7fc0, v3, s4
	s_or_b32 exec_lo, exec_lo, s5
	s_and_saveexec_b32 s4, s3
	s_cbranch_execz .LBB119_52
.LBB119_103:
	s_wait_loadcnt 0x0
	v_lshlrev_b32_e32 v2, 16, v8
	v_lshlrev_b32_e32 v3, 16, v20
	s_delay_alu instid0(VALU_DEP_1) | instskip(NEXT) | instid1(VALU_DEP_1)
	v_add_f32_e32 v2, v3, v2
	v_bfe_u32 v3, v2, 16, 1
	v_cmp_o_f32_e64 s3, v2, v2
	s_delay_alu instid0(VALU_DEP_2) | instskip(NEXT) | instid1(VALU_DEP_1)
	v_add3_u32 v3, v2, v3, 0x7fff
	v_lshrrev_b32_e32 v3, 16, v3
	s_delay_alu instid0(VALU_DEP_1)
	v_cndmask_b32_e64 v20, 0x7fc0, v3, s3
	s_or_b32 exec_lo, exec_lo, s4
	s_and_saveexec_b32 s3, s2
	s_cbranch_execz .LBB119_53
.LBB119_104:
	s_wait_loadcnt 0x0
	v_dual_lshlrev_b32 v2, 16, v7 :: v_dual_lshlrev_b32 v3, 16, v20
	s_delay_alu instid0(VALU_DEP_1) | instskip(NEXT) | instid1(VALU_DEP_1)
	v_add_f32_e32 v2, v3, v2
	v_bfe_u32 v3, v2, 16, 1
	s_delay_alu instid0(VALU_DEP_1) | instskip(NEXT) | instid1(VALU_DEP_1)
	v_add3_u32 v3, v2, v3, 0x7fff
	v_lshrrev_b32_e32 v3, 16, v3
	v_cmp_o_f32_e64 s2, v2, v2
	s_delay_alu instid0(VALU_DEP_1)
	v_cndmask_b32_e64 v20, 0x7fc0, v3, s2
	s_or_b32 exec_lo, exec_lo, s3
	s_and_saveexec_b32 s2, s1
	s_cbranch_execz .LBB119_54
.LBB119_105:
	s_wait_loadcnt 0x0
	v_dual_lshlrev_b32 v2, 16, v6 :: v_dual_lshlrev_b32 v3, 16, v20
	s_delay_alu instid0(VALU_DEP_1) | instskip(NEXT) | instid1(VALU_DEP_1)
	v_add_f32_e32 v2, v3, v2
	v_bfe_u32 v3, v2, 16, 1
	s_delay_alu instid0(VALU_DEP_1) | instskip(NEXT) | instid1(VALU_DEP_1)
	v_add3_u32 v3, v2, v3, 0x7fff
	v_lshrrev_b32_e32 v3, 16, v3
	v_cmp_o_f32_e64 s1, v2, v2
	s_delay_alu instid0(VALU_DEP_1)
	v_cndmask_b32_e64 v20, 0x7fc0, v3, s1
	s_or_b32 exec_lo, exec_lo, s2
	s_and_saveexec_b32 s1, s0
	s_cbranch_execz .LBB119_55
.LBB119_106:
	s_wait_loadcnt 0x0
	v_lshlrev_b32_e32 v2, 16, v4
	v_lshlrev_b32_e32 v3, 16, v20
	s_delay_alu instid0(VALU_DEP_1) | instskip(NEXT) | instid1(VALU_DEP_1)
	v_add_f32_e32 v2, v3, v2
	v_bfe_u32 v3, v2, 16, 1
	v_cmp_o_f32_e64 s0, v2, v2
	s_delay_alu instid0(VALU_DEP_2) | instskip(NEXT) | instid1(VALU_DEP_1)
	v_add3_u32 v3, v2, v3, 0x7fff
	v_lshrrev_b32_e32 v3, 16, v3
	s_delay_alu instid0(VALU_DEP_1)
	v_cndmask_b32_e64 v20, 0x7fc0, v3, s0
	s_or_b32 exec_lo, exec_lo, s1
	s_and_saveexec_b32 s0, vcc_lo
	s_cbranch_execnz .LBB119_56
	s_branch .LBB119_57
.LBB119_107:
                                        ; implicit-def: $vgpr4
	s_cbranch_execz .LBB119_113
; %bb.108:
	s_delay_alu instid0(VALU_DEP_1) | instskip(SKIP_2) | instid1(VALU_DEP_2)
	v_mov_b32_dpp v4, v5 quad_perm:[1,0,3,2] row_mask:0xf bank_mask:0xf
	v_lshlrev_b32_e32 v3, 16, v3
	s_mov_b32 s0, exec_lo
	v_lshlrev_b32_e32 v4, 16, v4
	s_delay_alu instid0(VALU_DEP_1) | instskip(NEXT) | instid1(VALU_DEP_1)
	v_add_f32_e32 v3, v4, v3
	v_bfe_u32 v4, v3, 16, 1
	s_delay_alu instid0(VALU_DEP_1) | instskip(NEXT) | instid1(VALU_DEP_1)
	v_add3_u32 v4, v3, v4, 0x7fff
	v_lshrrev_b32_e32 v4, 16, v4
	v_cmp_o_f32_e32 vcc_lo, v3, v3
	s_delay_alu instid0(VALU_DEP_2) | instskip(NEXT) | instid1(VALU_DEP_1)
	v_cndmask_b32_e32 v3, 0x7fc0, v4, vcc_lo
	v_mov_b32_dpp v4, v3 quad_perm:[2,3,0,1] row_mask:0xf bank_mask:0xf
	s_delay_alu instid0(VALU_DEP_1) | instskip(NEXT) | instid1(VALU_DEP_1)
	v_dual_lshlrev_b32 v4, 16, v4 :: v_dual_lshlrev_b32 v3, 16, v3
	v_add_f32_e32 v3, v3, v4
	s_delay_alu instid0(VALU_DEP_1) | instskip(SKIP_1) | instid1(VALU_DEP_2)
	v_bfe_u32 v4, v3, 16, 1
	v_cmp_o_f32_e32 vcc_lo, v3, v3
	v_add3_u32 v4, v3, v4, 0x7fff
	s_delay_alu instid0(VALU_DEP_1) | instskip(NEXT) | instid1(VALU_DEP_1)
	v_lshrrev_b32_e32 v4, 16, v4
	v_cndmask_b32_e32 v3, 0x7fc0, v4, vcc_lo
	s_delay_alu instid0(VALU_DEP_1) | instskip(NEXT) | instid1(VALU_DEP_1)
	v_mov_b32_dpp v4, v3 row_ror:4 row_mask:0xf bank_mask:0xf
	v_dual_lshlrev_b32 v3, 16, v3 :: v_dual_lshlrev_b32 v4, 16, v4
	s_delay_alu instid0(VALU_DEP_1) | instskip(NEXT) | instid1(VALU_DEP_1)
	v_add_f32_e32 v3, v3, v4
	v_bfe_u32 v4, v3, 16, 1
	v_cmp_o_f32_e32 vcc_lo, v3, v3
	s_delay_alu instid0(VALU_DEP_2) | instskip(NEXT) | instid1(VALU_DEP_1)
	v_add3_u32 v4, v3, v4, 0x7fff
	v_lshrrev_b32_e32 v4, 16, v4
	s_delay_alu instid0(VALU_DEP_1) | instskip(NEXT) | instid1(VALU_DEP_1)
	v_cndmask_b32_e32 v3, 0x7fc0, v4, vcc_lo
	v_mov_b32_dpp v4, v3 row_ror:8 row_mask:0xf bank_mask:0xf
	s_delay_alu instid0(VALU_DEP_1) | instskip(NEXT) | instid1(VALU_DEP_1)
	v_dual_lshlrev_b32 v3, 16, v3 :: v_dual_lshlrev_b32 v4, 16, v4
	v_add_f32_e32 v3, v3, v4
	s_delay_alu instid0(VALU_DEP_1) | instskip(SKIP_1) | instid1(VALU_DEP_2)
	v_bfe_u32 v4, v3, 16, 1
	v_cmp_o_f32_e32 vcc_lo, v3, v3
	v_add3_u32 v4, v3, v4, 0x7fff
	s_delay_alu instid0(VALU_DEP_1) | instskip(NEXT) | instid1(VALU_DEP_1)
	v_lshrrev_b32_e32 v4, 16, v4
	v_cndmask_b32_e32 v3, 0x7fc0, v4, vcc_lo
	ds_swizzle_b32 v4, v3 offset:swizzle(BROADCAST,32,15)
	s_wait_dscnt 0x0
	v_dual_lshlrev_b32 v3, 16, v3 :: v_dual_lshlrev_b32 v4, 16, v4
	s_delay_alu instid0(VALU_DEP_1) | instskip(NEXT) | instid1(VALU_DEP_1)
	v_add_f32_e32 v3, v3, v4
	v_bfe_u32 v4, v3, 16, 1
	v_cmp_o_f32_e32 vcc_lo, v3, v3
	s_delay_alu instid0(VALU_DEP_2) | instskip(NEXT) | instid1(VALU_DEP_1)
	v_add3_u32 v4, v3, v4, 0x7fff
	v_lshrrev_b32_e32 v4, 16, v4
	s_delay_alu instid0(VALU_DEP_1)
	v_dual_cndmask_b32 v3, 0x7fc0, v4 :: v_dual_mov_b32 v4, 0
	ds_bpermute_b32 v4, v4, v3 offset:124
	v_cmpx_eq_u32_e32 0, v2
	s_cbranch_execz .LBB119_110
; %bb.109:
	v_lshrrev_b32_e32 v3, 4, v0
	s_delay_alu instid0(VALU_DEP_1)
	v_and_b32_e32 v3, 14, v3
	s_wait_dscnt 0x0
	ds_store_b16 v3, v4
.LBB119_110:
	s_or_b32 exec_lo, exec_lo, s0
	s_delay_alu instid0(SALU_CYCLE_1)
	s_mov_b32 s0, exec_lo
	s_wait_dscnt 0x0
	s_barrier_signal -1
	s_barrier_wait -1
	v_cmpx_gt_u32_e32 32, v0
	s_cbranch_execz .LBB119_112
; %bb.111:
	v_and_b32_e32 v3, 7, v2
	s_delay_alu instid0(VALU_DEP_1) | instskip(SKIP_1) | instid1(VALU_DEP_1)
	v_cmp_ne_u32_e32 vcc_lo, 7, v3
	v_add_co_ci_u32_e64 v5, null, 0, v2, vcc_lo
	v_dual_lshlrev_b32 v5, 2, v5 :: v_dual_lshlrev_b32 v4, 1, v3
	v_cmp_gt_u32_e32 vcc_lo, 6, v3
	ds_load_u16 v4, v4
	v_cndmask_b32_e64 v3, 0, 2, vcc_lo
	s_delay_alu instid0(VALU_DEP_1) | instskip(SKIP_1) | instid1(VALU_DEP_1)
	v_add_lshl_u32 v3, v3, v2, 2
	v_lshlrev_b32_e32 v2, 2, v2
	v_or_b32_e32 v2, 16, v2
	s_wait_dscnt 0x0
	ds_bpermute_b32 v5, v5, v4
	s_wait_dscnt 0x0
	v_dual_lshlrev_b32 v4, 16, v4 :: v_dual_lshlrev_b32 v5, 16, v5
	s_delay_alu instid0(VALU_DEP_1) | instskip(NEXT) | instid1(VALU_DEP_1)
	v_add_f32_e32 v4, v5, v4
	v_bfe_u32 v5, v4, 16, 1
	v_cmp_o_f32_e32 vcc_lo, v4, v4
	s_delay_alu instid0(VALU_DEP_2) | instskip(NEXT) | instid1(VALU_DEP_1)
	v_add3_u32 v5, v4, v5, 0x7fff
	v_lshrrev_b32_e32 v5, 16, v5
	s_delay_alu instid0(VALU_DEP_1) | instskip(SKIP_3) | instid1(VALU_DEP_1)
	v_cndmask_b32_e32 v4, 0x7fc0, v5, vcc_lo
	ds_bpermute_b32 v3, v3, v4
	s_wait_dscnt 0x0
	v_dual_lshlrev_b32 v4, 16, v4 :: v_dual_lshlrev_b32 v3, 16, v3
	v_add_f32_e32 v3, v4, v3
	s_delay_alu instid0(VALU_DEP_1) | instskip(NEXT) | instid1(VALU_DEP_1)
	v_bfe_u32 v4, v3, 16, 1
	v_add3_u32 v4, v3, v4, 0x7fff
	s_delay_alu instid0(VALU_DEP_1) | instskip(SKIP_1) | instid1(VALU_DEP_2)
	v_lshrrev_b32_e32 v4, 16, v4
	v_cmp_o_f32_e32 vcc_lo, v3, v3
	v_cndmask_b32_e32 v3, 0x7fc0, v4, vcc_lo
	ds_bpermute_b32 v2, v2, v3
	s_wait_dscnt 0x0
	v_dual_lshlrev_b32 v2, 16, v2 :: v_dual_lshlrev_b32 v3, 16, v3
	s_delay_alu instid0(VALU_DEP_1) | instskip(NEXT) | instid1(VALU_DEP_1)
	v_add_f32_e32 v2, v3, v2
	v_bfe_u32 v3, v2, 16, 1
	v_cmp_o_f32_e32 vcc_lo, v2, v2
	s_delay_alu instid0(VALU_DEP_2) | instskip(NEXT) | instid1(VALU_DEP_1)
	v_add3_u32 v3, v2, v3, 0x7fff
	v_lshrrev_b32_e32 v3, 16, v3
	s_delay_alu instid0(VALU_DEP_1)
	v_cndmask_b32_e32 v4, 0x7fc0, v3, vcc_lo
.LBB119_112:
	s_or_b32 exec_lo, exec_lo, s0
.LBB119_113:
	s_delay_alu instid0(SALU_CYCLE_1)
	s_mov_b32 s0, exec_lo
	v_cmpx_eq_u32_e32 0, v0
	s_cbranch_execz .LBB119_115
; %bb.114:
	s_wait_loadcnt 0x0
	v_dual_lshlrev_b32 v0, 16, v1 :: v_dual_lshlrev_b32 v1, 16, v4
	s_or_b32 s15, s15, exec_lo
	s_delay_alu instid0(VALU_DEP_1) | instskip(NEXT) | instid1(VALU_DEP_1)
	v_add_f32_e32 v0, v1, v0
	v_bfe_u32 v1, v0, 16, 1
	s_delay_alu instid0(VALU_DEP_1) | instskip(NEXT) | instid1(VALU_DEP_1)
	v_add3_u32 v1, v0, v1, 0x7fff
	v_lshrrev_b32_e32 v1, 16, v1
	v_cmp_o_f32_e32 vcc_lo, v0, v0
	s_delay_alu instid0(VALU_DEP_2)
	v_cndmask_b32_e32 v1, 0x7fc0, v1, vcc_lo
.LBB119_115:
	s_or_b32 exec_lo, exec_lo, s0
	s_and_saveexec_b32 s0, s15
	s_cbranch_execz .LBB119_3
.LBB119_116:
	s_lshl_b64 s[0:1], s[20:21], 1
	v_mov_b32_e32 v0, 0
	s_add_nc_u64 s[0:1], s[18:19], s[0:1]
	s_lshl_b64 s[2:3], s[22:23], 1
	s_delay_alu instid0(SALU_CYCLE_1)
	s_add_nc_u64 s[0:1], s[0:1], s[2:3]
	s_wait_loadcnt 0x0
	global_store_b16 v0, v1, s[0:1]
	s_endpgm
	.section	.rodata,"a",@progbits
	.p2align	6, 0x0
	.amdhsa_kernel _ZN7rocprim17ROCPRIM_400000_NS6detail17trampoline_kernelINS0_14default_configENS1_32segmented_reduce_config_selectorIN3c108BFloat16EEEZNS1_21segmented_reduce_implIS3_PKS6_PS6_PKiS6_N6hipcub16HIPCUB_304000_NS6detail27convert_result_type_wrapperISA_SB_N2at6native12_GLOBAL__N_19CustomSumEEEEE10hipError_tPvRmT0_T1_jT2_SS_T4_T3_P12ihipStream_tbEUlT_E_NS1_11comp_targetILNS1_3genE0ELNS1_11target_archE4294967295ELNS1_3gpuE0ELNS1_3repE0EEENS1_30default_config_static_selectorELNS0_4arch9wavefront6targetE0EEEvSR_
		.amdhsa_group_segment_fixed_size 16
		.amdhsa_private_segment_fixed_size 0
		.amdhsa_kernarg_size 48
		.amdhsa_user_sgpr_count 2
		.amdhsa_user_sgpr_dispatch_ptr 0
		.amdhsa_user_sgpr_queue_ptr 0
		.amdhsa_user_sgpr_kernarg_segment_ptr 1
		.amdhsa_user_sgpr_dispatch_id 0
		.amdhsa_user_sgpr_kernarg_preload_length 0
		.amdhsa_user_sgpr_kernarg_preload_offset 0
		.amdhsa_user_sgpr_private_segment_size 0
		.amdhsa_wavefront_size32 1
		.amdhsa_uses_dynamic_stack 0
		.amdhsa_enable_private_segment 0
		.amdhsa_system_sgpr_workgroup_id_x 1
		.amdhsa_system_sgpr_workgroup_id_y 0
		.amdhsa_system_sgpr_workgroup_id_z 0
		.amdhsa_system_sgpr_workgroup_info 0
		.amdhsa_system_vgpr_workitem_id 0
		.amdhsa_next_free_vgpr 24
		.amdhsa_next_free_sgpr 30
		.amdhsa_named_barrier_count 0
		.amdhsa_reserve_vcc 1
		.amdhsa_float_round_mode_32 0
		.amdhsa_float_round_mode_16_64 0
		.amdhsa_float_denorm_mode_32 3
		.amdhsa_float_denorm_mode_16_64 3
		.amdhsa_fp16_overflow 0
		.amdhsa_memory_ordered 1
		.amdhsa_forward_progress 1
		.amdhsa_inst_pref_size 64
		.amdhsa_round_robin_scheduling 0
		.amdhsa_exception_fp_ieee_invalid_op 0
		.amdhsa_exception_fp_denorm_src 0
		.amdhsa_exception_fp_ieee_div_zero 0
		.amdhsa_exception_fp_ieee_overflow 0
		.amdhsa_exception_fp_ieee_underflow 0
		.amdhsa_exception_fp_ieee_inexact 0
		.amdhsa_exception_int_div_zero 0
	.end_amdhsa_kernel
	.section	.text._ZN7rocprim17ROCPRIM_400000_NS6detail17trampoline_kernelINS0_14default_configENS1_32segmented_reduce_config_selectorIN3c108BFloat16EEEZNS1_21segmented_reduce_implIS3_PKS6_PS6_PKiS6_N6hipcub16HIPCUB_304000_NS6detail27convert_result_type_wrapperISA_SB_N2at6native12_GLOBAL__N_19CustomSumEEEEE10hipError_tPvRmT0_T1_jT2_SS_T4_T3_P12ihipStream_tbEUlT_E_NS1_11comp_targetILNS1_3genE0ELNS1_11target_archE4294967295ELNS1_3gpuE0ELNS1_3repE0EEENS1_30default_config_static_selectorELNS0_4arch9wavefront6targetE0EEEvSR_,"axG",@progbits,_ZN7rocprim17ROCPRIM_400000_NS6detail17trampoline_kernelINS0_14default_configENS1_32segmented_reduce_config_selectorIN3c108BFloat16EEEZNS1_21segmented_reduce_implIS3_PKS6_PS6_PKiS6_N6hipcub16HIPCUB_304000_NS6detail27convert_result_type_wrapperISA_SB_N2at6native12_GLOBAL__N_19CustomSumEEEEE10hipError_tPvRmT0_T1_jT2_SS_T4_T3_P12ihipStream_tbEUlT_E_NS1_11comp_targetILNS1_3genE0ELNS1_11target_archE4294967295ELNS1_3gpuE0ELNS1_3repE0EEENS1_30default_config_static_selectorELNS0_4arch9wavefront6targetE0EEEvSR_,comdat
.Lfunc_end119:
	.size	_ZN7rocprim17ROCPRIM_400000_NS6detail17trampoline_kernelINS0_14default_configENS1_32segmented_reduce_config_selectorIN3c108BFloat16EEEZNS1_21segmented_reduce_implIS3_PKS6_PS6_PKiS6_N6hipcub16HIPCUB_304000_NS6detail27convert_result_type_wrapperISA_SB_N2at6native12_GLOBAL__N_19CustomSumEEEEE10hipError_tPvRmT0_T1_jT2_SS_T4_T3_P12ihipStream_tbEUlT_E_NS1_11comp_targetILNS1_3genE0ELNS1_11target_archE4294967295ELNS1_3gpuE0ELNS1_3repE0EEENS1_30default_config_static_selectorELNS0_4arch9wavefront6targetE0EEEvSR_, .Lfunc_end119-_ZN7rocprim17ROCPRIM_400000_NS6detail17trampoline_kernelINS0_14default_configENS1_32segmented_reduce_config_selectorIN3c108BFloat16EEEZNS1_21segmented_reduce_implIS3_PKS6_PS6_PKiS6_N6hipcub16HIPCUB_304000_NS6detail27convert_result_type_wrapperISA_SB_N2at6native12_GLOBAL__N_19CustomSumEEEEE10hipError_tPvRmT0_T1_jT2_SS_T4_T3_P12ihipStream_tbEUlT_E_NS1_11comp_targetILNS1_3genE0ELNS1_11target_archE4294967295ELNS1_3gpuE0ELNS1_3repE0EEENS1_30default_config_static_selectorELNS0_4arch9wavefront6targetE0EEEvSR_
                                        ; -- End function
	.set _ZN7rocprim17ROCPRIM_400000_NS6detail17trampoline_kernelINS0_14default_configENS1_32segmented_reduce_config_selectorIN3c108BFloat16EEEZNS1_21segmented_reduce_implIS3_PKS6_PS6_PKiS6_N6hipcub16HIPCUB_304000_NS6detail27convert_result_type_wrapperISA_SB_N2at6native12_GLOBAL__N_19CustomSumEEEEE10hipError_tPvRmT0_T1_jT2_SS_T4_T3_P12ihipStream_tbEUlT_E_NS1_11comp_targetILNS1_3genE0ELNS1_11target_archE4294967295ELNS1_3gpuE0ELNS1_3repE0EEENS1_30default_config_static_selectorELNS0_4arch9wavefront6targetE0EEEvSR_.num_vgpr, 24
	.set _ZN7rocprim17ROCPRIM_400000_NS6detail17trampoline_kernelINS0_14default_configENS1_32segmented_reduce_config_selectorIN3c108BFloat16EEEZNS1_21segmented_reduce_implIS3_PKS6_PS6_PKiS6_N6hipcub16HIPCUB_304000_NS6detail27convert_result_type_wrapperISA_SB_N2at6native12_GLOBAL__N_19CustomSumEEEEE10hipError_tPvRmT0_T1_jT2_SS_T4_T3_P12ihipStream_tbEUlT_E_NS1_11comp_targetILNS1_3genE0ELNS1_11target_archE4294967295ELNS1_3gpuE0ELNS1_3repE0EEENS1_30default_config_static_selectorELNS0_4arch9wavefront6targetE0EEEvSR_.num_agpr, 0
	.set _ZN7rocprim17ROCPRIM_400000_NS6detail17trampoline_kernelINS0_14default_configENS1_32segmented_reduce_config_selectorIN3c108BFloat16EEEZNS1_21segmented_reduce_implIS3_PKS6_PS6_PKiS6_N6hipcub16HIPCUB_304000_NS6detail27convert_result_type_wrapperISA_SB_N2at6native12_GLOBAL__N_19CustomSumEEEEE10hipError_tPvRmT0_T1_jT2_SS_T4_T3_P12ihipStream_tbEUlT_E_NS1_11comp_targetILNS1_3genE0ELNS1_11target_archE4294967295ELNS1_3gpuE0ELNS1_3repE0EEENS1_30default_config_static_selectorELNS0_4arch9wavefront6targetE0EEEvSR_.numbered_sgpr, 30
	.set _ZN7rocprim17ROCPRIM_400000_NS6detail17trampoline_kernelINS0_14default_configENS1_32segmented_reduce_config_selectorIN3c108BFloat16EEEZNS1_21segmented_reduce_implIS3_PKS6_PS6_PKiS6_N6hipcub16HIPCUB_304000_NS6detail27convert_result_type_wrapperISA_SB_N2at6native12_GLOBAL__N_19CustomSumEEEEE10hipError_tPvRmT0_T1_jT2_SS_T4_T3_P12ihipStream_tbEUlT_E_NS1_11comp_targetILNS1_3genE0ELNS1_11target_archE4294967295ELNS1_3gpuE0ELNS1_3repE0EEENS1_30default_config_static_selectorELNS0_4arch9wavefront6targetE0EEEvSR_.num_named_barrier, 0
	.set _ZN7rocprim17ROCPRIM_400000_NS6detail17trampoline_kernelINS0_14default_configENS1_32segmented_reduce_config_selectorIN3c108BFloat16EEEZNS1_21segmented_reduce_implIS3_PKS6_PS6_PKiS6_N6hipcub16HIPCUB_304000_NS6detail27convert_result_type_wrapperISA_SB_N2at6native12_GLOBAL__N_19CustomSumEEEEE10hipError_tPvRmT0_T1_jT2_SS_T4_T3_P12ihipStream_tbEUlT_E_NS1_11comp_targetILNS1_3genE0ELNS1_11target_archE4294967295ELNS1_3gpuE0ELNS1_3repE0EEENS1_30default_config_static_selectorELNS0_4arch9wavefront6targetE0EEEvSR_.private_seg_size, 0
	.set _ZN7rocprim17ROCPRIM_400000_NS6detail17trampoline_kernelINS0_14default_configENS1_32segmented_reduce_config_selectorIN3c108BFloat16EEEZNS1_21segmented_reduce_implIS3_PKS6_PS6_PKiS6_N6hipcub16HIPCUB_304000_NS6detail27convert_result_type_wrapperISA_SB_N2at6native12_GLOBAL__N_19CustomSumEEEEE10hipError_tPvRmT0_T1_jT2_SS_T4_T3_P12ihipStream_tbEUlT_E_NS1_11comp_targetILNS1_3genE0ELNS1_11target_archE4294967295ELNS1_3gpuE0ELNS1_3repE0EEENS1_30default_config_static_selectorELNS0_4arch9wavefront6targetE0EEEvSR_.uses_vcc, 1
	.set _ZN7rocprim17ROCPRIM_400000_NS6detail17trampoline_kernelINS0_14default_configENS1_32segmented_reduce_config_selectorIN3c108BFloat16EEEZNS1_21segmented_reduce_implIS3_PKS6_PS6_PKiS6_N6hipcub16HIPCUB_304000_NS6detail27convert_result_type_wrapperISA_SB_N2at6native12_GLOBAL__N_19CustomSumEEEEE10hipError_tPvRmT0_T1_jT2_SS_T4_T3_P12ihipStream_tbEUlT_E_NS1_11comp_targetILNS1_3genE0ELNS1_11target_archE4294967295ELNS1_3gpuE0ELNS1_3repE0EEENS1_30default_config_static_selectorELNS0_4arch9wavefront6targetE0EEEvSR_.uses_flat_scratch, 0
	.set _ZN7rocprim17ROCPRIM_400000_NS6detail17trampoline_kernelINS0_14default_configENS1_32segmented_reduce_config_selectorIN3c108BFloat16EEEZNS1_21segmented_reduce_implIS3_PKS6_PS6_PKiS6_N6hipcub16HIPCUB_304000_NS6detail27convert_result_type_wrapperISA_SB_N2at6native12_GLOBAL__N_19CustomSumEEEEE10hipError_tPvRmT0_T1_jT2_SS_T4_T3_P12ihipStream_tbEUlT_E_NS1_11comp_targetILNS1_3genE0ELNS1_11target_archE4294967295ELNS1_3gpuE0ELNS1_3repE0EEENS1_30default_config_static_selectorELNS0_4arch9wavefront6targetE0EEEvSR_.has_dyn_sized_stack, 0
	.set _ZN7rocprim17ROCPRIM_400000_NS6detail17trampoline_kernelINS0_14default_configENS1_32segmented_reduce_config_selectorIN3c108BFloat16EEEZNS1_21segmented_reduce_implIS3_PKS6_PS6_PKiS6_N6hipcub16HIPCUB_304000_NS6detail27convert_result_type_wrapperISA_SB_N2at6native12_GLOBAL__N_19CustomSumEEEEE10hipError_tPvRmT0_T1_jT2_SS_T4_T3_P12ihipStream_tbEUlT_E_NS1_11comp_targetILNS1_3genE0ELNS1_11target_archE4294967295ELNS1_3gpuE0ELNS1_3repE0EEENS1_30default_config_static_selectorELNS0_4arch9wavefront6targetE0EEEvSR_.has_recursion, 0
	.set _ZN7rocprim17ROCPRIM_400000_NS6detail17trampoline_kernelINS0_14default_configENS1_32segmented_reduce_config_selectorIN3c108BFloat16EEEZNS1_21segmented_reduce_implIS3_PKS6_PS6_PKiS6_N6hipcub16HIPCUB_304000_NS6detail27convert_result_type_wrapperISA_SB_N2at6native12_GLOBAL__N_19CustomSumEEEEE10hipError_tPvRmT0_T1_jT2_SS_T4_T3_P12ihipStream_tbEUlT_E_NS1_11comp_targetILNS1_3genE0ELNS1_11target_archE4294967295ELNS1_3gpuE0ELNS1_3repE0EEENS1_30default_config_static_selectorELNS0_4arch9wavefront6targetE0EEEvSR_.has_indirect_call, 0
	.section	.AMDGPU.csdata,"",@progbits
; Kernel info:
; codeLenInByte = 8104
; TotalNumSgprs: 32
; NumVgprs: 24
; ScratchSize: 0
; MemoryBound: 0
; FloatMode: 240
; IeeeMode: 1
; LDSByteSize: 16 bytes/workgroup (compile time only)
; SGPRBlocks: 0
; VGPRBlocks: 1
; NumSGPRsForWavesPerEU: 32
; NumVGPRsForWavesPerEU: 24
; NamedBarCnt: 0
; Occupancy: 16
; WaveLimiterHint : 1
; COMPUTE_PGM_RSRC2:SCRATCH_EN: 0
; COMPUTE_PGM_RSRC2:USER_SGPR: 2
; COMPUTE_PGM_RSRC2:TRAP_HANDLER: 0
; COMPUTE_PGM_RSRC2:TGID_X_EN: 1
; COMPUTE_PGM_RSRC2:TGID_Y_EN: 0
; COMPUTE_PGM_RSRC2:TGID_Z_EN: 0
; COMPUTE_PGM_RSRC2:TIDIG_COMP_CNT: 0
	.section	.text._ZN7rocprim17ROCPRIM_400000_NS6detail17trampoline_kernelINS0_14default_configENS1_32segmented_reduce_config_selectorIN3c108BFloat16EEEZNS1_21segmented_reduce_implIS3_PKS6_PS6_PKiS6_N6hipcub16HIPCUB_304000_NS6detail27convert_result_type_wrapperISA_SB_N2at6native12_GLOBAL__N_19CustomSumEEEEE10hipError_tPvRmT0_T1_jT2_SS_T4_T3_P12ihipStream_tbEUlT_E_NS1_11comp_targetILNS1_3genE5ELNS1_11target_archE942ELNS1_3gpuE9ELNS1_3repE0EEENS1_30default_config_static_selectorELNS0_4arch9wavefront6targetE0EEEvSR_,"axG",@progbits,_ZN7rocprim17ROCPRIM_400000_NS6detail17trampoline_kernelINS0_14default_configENS1_32segmented_reduce_config_selectorIN3c108BFloat16EEEZNS1_21segmented_reduce_implIS3_PKS6_PS6_PKiS6_N6hipcub16HIPCUB_304000_NS6detail27convert_result_type_wrapperISA_SB_N2at6native12_GLOBAL__N_19CustomSumEEEEE10hipError_tPvRmT0_T1_jT2_SS_T4_T3_P12ihipStream_tbEUlT_E_NS1_11comp_targetILNS1_3genE5ELNS1_11target_archE942ELNS1_3gpuE9ELNS1_3repE0EEENS1_30default_config_static_selectorELNS0_4arch9wavefront6targetE0EEEvSR_,comdat
	.globl	_ZN7rocprim17ROCPRIM_400000_NS6detail17trampoline_kernelINS0_14default_configENS1_32segmented_reduce_config_selectorIN3c108BFloat16EEEZNS1_21segmented_reduce_implIS3_PKS6_PS6_PKiS6_N6hipcub16HIPCUB_304000_NS6detail27convert_result_type_wrapperISA_SB_N2at6native12_GLOBAL__N_19CustomSumEEEEE10hipError_tPvRmT0_T1_jT2_SS_T4_T3_P12ihipStream_tbEUlT_E_NS1_11comp_targetILNS1_3genE5ELNS1_11target_archE942ELNS1_3gpuE9ELNS1_3repE0EEENS1_30default_config_static_selectorELNS0_4arch9wavefront6targetE0EEEvSR_ ; -- Begin function _ZN7rocprim17ROCPRIM_400000_NS6detail17trampoline_kernelINS0_14default_configENS1_32segmented_reduce_config_selectorIN3c108BFloat16EEEZNS1_21segmented_reduce_implIS3_PKS6_PS6_PKiS6_N6hipcub16HIPCUB_304000_NS6detail27convert_result_type_wrapperISA_SB_N2at6native12_GLOBAL__N_19CustomSumEEEEE10hipError_tPvRmT0_T1_jT2_SS_T4_T3_P12ihipStream_tbEUlT_E_NS1_11comp_targetILNS1_3genE5ELNS1_11target_archE942ELNS1_3gpuE9ELNS1_3repE0EEENS1_30default_config_static_selectorELNS0_4arch9wavefront6targetE0EEEvSR_
	.p2align	8
	.type	_ZN7rocprim17ROCPRIM_400000_NS6detail17trampoline_kernelINS0_14default_configENS1_32segmented_reduce_config_selectorIN3c108BFloat16EEEZNS1_21segmented_reduce_implIS3_PKS6_PS6_PKiS6_N6hipcub16HIPCUB_304000_NS6detail27convert_result_type_wrapperISA_SB_N2at6native12_GLOBAL__N_19CustomSumEEEEE10hipError_tPvRmT0_T1_jT2_SS_T4_T3_P12ihipStream_tbEUlT_E_NS1_11comp_targetILNS1_3genE5ELNS1_11target_archE942ELNS1_3gpuE9ELNS1_3repE0EEENS1_30default_config_static_selectorELNS0_4arch9wavefront6targetE0EEEvSR_,@function
_ZN7rocprim17ROCPRIM_400000_NS6detail17trampoline_kernelINS0_14default_configENS1_32segmented_reduce_config_selectorIN3c108BFloat16EEEZNS1_21segmented_reduce_implIS3_PKS6_PS6_PKiS6_N6hipcub16HIPCUB_304000_NS6detail27convert_result_type_wrapperISA_SB_N2at6native12_GLOBAL__N_19CustomSumEEEEE10hipError_tPvRmT0_T1_jT2_SS_T4_T3_P12ihipStream_tbEUlT_E_NS1_11comp_targetILNS1_3genE5ELNS1_11target_archE942ELNS1_3gpuE9ELNS1_3repE0EEENS1_30default_config_static_selectorELNS0_4arch9wavefront6targetE0EEEvSR_: ; @_ZN7rocprim17ROCPRIM_400000_NS6detail17trampoline_kernelINS0_14default_configENS1_32segmented_reduce_config_selectorIN3c108BFloat16EEEZNS1_21segmented_reduce_implIS3_PKS6_PS6_PKiS6_N6hipcub16HIPCUB_304000_NS6detail27convert_result_type_wrapperISA_SB_N2at6native12_GLOBAL__N_19CustomSumEEEEE10hipError_tPvRmT0_T1_jT2_SS_T4_T3_P12ihipStream_tbEUlT_E_NS1_11comp_targetILNS1_3genE5ELNS1_11target_archE942ELNS1_3gpuE9ELNS1_3repE0EEENS1_30default_config_static_selectorELNS0_4arch9wavefront6targetE0EEEvSR_
; %bb.0:
	.section	.rodata,"a",@progbits
	.p2align	6, 0x0
	.amdhsa_kernel _ZN7rocprim17ROCPRIM_400000_NS6detail17trampoline_kernelINS0_14default_configENS1_32segmented_reduce_config_selectorIN3c108BFloat16EEEZNS1_21segmented_reduce_implIS3_PKS6_PS6_PKiS6_N6hipcub16HIPCUB_304000_NS6detail27convert_result_type_wrapperISA_SB_N2at6native12_GLOBAL__N_19CustomSumEEEEE10hipError_tPvRmT0_T1_jT2_SS_T4_T3_P12ihipStream_tbEUlT_E_NS1_11comp_targetILNS1_3genE5ELNS1_11target_archE942ELNS1_3gpuE9ELNS1_3repE0EEENS1_30default_config_static_selectorELNS0_4arch9wavefront6targetE0EEEvSR_
		.amdhsa_group_segment_fixed_size 0
		.amdhsa_private_segment_fixed_size 0
		.amdhsa_kernarg_size 48
		.amdhsa_user_sgpr_count 2
		.amdhsa_user_sgpr_dispatch_ptr 0
		.amdhsa_user_sgpr_queue_ptr 0
		.amdhsa_user_sgpr_kernarg_segment_ptr 1
		.amdhsa_user_sgpr_dispatch_id 0
		.amdhsa_user_sgpr_kernarg_preload_length 0
		.amdhsa_user_sgpr_kernarg_preload_offset 0
		.amdhsa_user_sgpr_private_segment_size 0
		.amdhsa_wavefront_size32 1
		.amdhsa_uses_dynamic_stack 0
		.amdhsa_enable_private_segment 0
		.amdhsa_system_sgpr_workgroup_id_x 1
		.amdhsa_system_sgpr_workgroup_id_y 0
		.amdhsa_system_sgpr_workgroup_id_z 0
		.amdhsa_system_sgpr_workgroup_info 0
		.amdhsa_system_vgpr_workitem_id 0
		.amdhsa_next_free_vgpr 1
		.amdhsa_next_free_sgpr 1
		.amdhsa_named_barrier_count 0
		.amdhsa_reserve_vcc 0
		.amdhsa_float_round_mode_32 0
		.amdhsa_float_round_mode_16_64 0
		.amdhsa_float_denorm_mode_32 3
		.amdhsa_float_denorm_mode_16_64 3
		.amdhsa_fp16_overflow 0
		.amdhsa_memory_ordered 1
		.amdhsa_forward_progress 1
		.amdhsa_inst_pref_size 0
		.amdhsa_round_robin_scheduling 0
		.amdhsa_exception_fp_ieee_invalid_op 0
		.amdhsa_exception_fp_denorm_src 0
		.amdhsa_exception_fp_ieee_div_zero 0
		.amdhsa_exception_fp_ieee_overflow 0
		.amdhsa_exception_fp_ieee_underflow 0
		.amdhsa_exception_fp_ieee_inexact 0
		.amdhsa_exception_int_div_zero 0
	.end_amdhsa_kernel
	.section	.text._ZN7rocprim17ROCPRIM_400000_NS6detail17trampoline_kernelINS0_14default_configENS1_32segmented_reduce_config_selectorIN3c108BFloat16EEEZNS1_21segmented_reduce_implIS3_PKS6_PS6_PKiS6_N6hipcub16HIPCUB_304000_NS6detail27convert_result_type_wrapperISA_SB_N2at6native12_GLOBAL__N_19CustomSumEEEEE10hipError_tPvRmT0_T1_jT2_SS_T4_T3_P12ihipStream_tbEUlT_E_NS1_11comp_targetILNS1_3genE5ELNS1_11target_archE942ELNS1_3gpuE9ELNS1_3repE0EEENS1_30default_config_static_selectorELNS0_4arch9wavefront6targetE0EEEvSR_,"axG",@progbits,_ZN7rocprim17ROCPRIM_400000_NS6detail17trampoline_kernelINS0_14default_configENS1_32segmented_reduce_config_selectorIN3c108BFloat16EEEZNS1_21segmented_reduce_implIS3_PKS6_PS6_PKiS6_N6hipcub16HIPCUB_304000_NS6detail27convert_result_type_wrapperISA_SB_N2at6native12_GLOBAL__N_19CustomSumEEEEE10hipError_tPvRmT0_T1_jT2_SS_T4_T3_P12ihipStream_tbEUlT_E_NS1_11comp_targetILNS1_3genE5ELNS1_11target_archE942ELNS1_3gpuE9ELNS1_3repE0EEENS1_30default_config_static_selectorELNS0_4arch9wavefront6targetE0EEEvSR_,comdat
.Lfunc_end120:
	.size	_ZN7rocprim17ROCPRIM_400000_NS6detail17trampoline_kernelINS0_14default_configENS1_32segmented_reduce_config_selectorIN3c108BFloat16EEEZNS1_21segmented_reduce_implIS3_PKS6_PS6_PKiS6_N6hipcub16HIPCUB_304000_NS6detail27convert_result_type_wrapperISA_SB_N2at6native12_GLOBAL__N_19CustomSumEEEEE10hipError_tPvRmT0_T1_jT2_SS_T4_T3_P12ihipStream_tbEUlT_E_NS1_11comp_targetILNS1_3genE5ELNS1_11target_archE942ELNS1_3gpuE9ELNS1_3repE0EEENS1_30default_config_static_selectorELNS0_4arch9wavefront6targetE0EEEvSR_, .Lfunc_end120-_ZN7rocprim17ROCPRIM_400000_NS6detail17trampoline_kernelINS0_14default_configENS1_32segmented_reduce_config_selectorIN3c108BFloat16EEEZNS1_21segmented_reduce_implIS3_PKS6_PS6_PKiS6_N6hipcub16HIPCUB_304000_NS6detail27convert_result_type_wrapperISA_SB_N2at6native12_GLOBAL__N_19CustomSumEEEEE10hipError_tPvRmT0_T1_jT2_SS_T4_T3_P12ihipStream_tbEUlT_E_NS1_11comp_targetILNS1_3genE5ELNS1_11target_archE942ELNS1_3gpuE9ELNS1_3repE0EEENS1_30default_config_static_selectorELNS0_4arch9wavefront6targetE0EEEvSR_
                                        ; -- End function
	.set _ZN7rocprim17ROCPRIM_400000_NS6detail17trampoline_kernelINS0_14default_configENS1_32segmented_reduce_config_selectorIN3c108BFloat16EEEZNS1_21segmented_reduce_implIS3_PKS6_PS6_PKiS6_N6hipcub16HIPCUB_304000_NS6detail27convert_result_type_wrapperISA_SB_N2at6native12_GLOBAL__N_19CustomSumEEEEE10hipError_tPvRmT0_T1_jT2_SS_T4_T3_P12ihipStream_tbEUlT_E_NS1_11comp_targetILNS1_3genE5ELNS1_11target_archE942ELNS1_3gpuE9ELNS1_3repE0EEENS1_30default_config_static_selectorELNS0_4arch9wavefront6targetE0EEEvSR_.num_vgpr, 0
	.set _ZN7rocprim17ROCPRIM_400000_NS6detail17trampoline_kernelINS0_14default_configENS1_32segmented_reduce_config_selectorIN3c108BFloat16EEEZNS1_21segmented_reduce_implIS3_PKS6_PS6_PKiS6_N6hipcub16HIPCUB_304000_NS6detail27convert_result_type_wrapperISA_SB_N2at6native12_GLOBAL__N_19CustomSumEEEEE10hipError_tPvRmT0_T1_jT2_SS_T4_T3_P12ihipStream_tbEUlT_E_NS1_11comp_targetILNS1_3genE5ELNS1_11target_archE942ELNS1_3gpuE9ELNS1_3repE0EEENS1_30default_config_static_selectorELNS0_4arch9wavefront6targetE0EEEvSR_.num_agpr, 0
	.set _ZN7rocprim17ROCPRIM_400000_NS6detail17trampoline_kernelINS0_14default_configENS1_32segmented_reduce_config_selectorIN3c108BFloat16EEEZNS1_21segmented_reduce_implIS3_PKS6_PS6_PKiS6_N6hipcub16HIPCUB_304000_NS6detail27convert_result_type_wrapperISA_SB_N2at6native12_GLOBAL__N_19CustomSumEEEEE10hipError_tPvRmT0_T1_jT2_SS_T4_T3_P12ihipStream_tbEUlT_E_NS1_11comp_targetILNS1_3genE5ELNS1_11target_archE942ELNS1_3gpuE9ELNS1_3repE0EEENS1_30default_config_static_selectorELNS0_4arch9wavefront6targetE0EEEvSR_.numbered_sgpr, 0
	.set _ZN7rocprim17ROCPRIM_400000_NS6detail17trampoline_kernelINS0_14default_configENS1_32segmented_reduce_config_selectorIN3c108BFloat16EEEZNS1_21segmented_reduce_implIS3_PKS6_PS6_PKiS6_N6hipcub16HIPCUB_304000_NS6detail27convert_result_type_wrapperISA_SB_N2at6native12_GLOBAL__N_19CustomSumEEEEE10hipError_tPvRmT0_T1_jT2_SS_T4_T3_P12ihipStream_tbEUlT_E_NS1_11comp_targetILNS1_3genE5ELNS1_11target_archE942ELNS1_3gpuE9ELNS1_3repE0EEENS1_30default_config_static_selectorELNS0_4arch9wavefront6targetE0EEEvSR_.num_named_barrier, 0
	.set _ZN7rocprim17ROCPRIM_400000_NS6detail17trampoline_kernelINS0_14default_configENS1_32segmented_reduce_config_selectorIN3c108BFloat16EEEZNS1_21segmented_reduce_implIS3_PKS6_PS6_PKiS6_N6hipcub16HIPCUB_304000_NS6detail27convert_result_type_wrapperISA_SB_N2at6native12_GLOBAL__N_19CustomSumEEEEE10hipError_tPvRmT0_T1_jT2_SS_T4_T3_P12ihipStream_tbEUlT_E_NS1_11comp_targetILNS1_3genE5ELNS1_11target_archE942ELNS1_3gpuE9ELNS1_3repE0EEENS1_30default_config_static_selectorELNS0_4arch9wavefront6targetE0EEEvSR_.private_seg_size, 0
	.set _ZN7rocprim17ROCPRIM_400000_NS6detail17trampoline_kernelINS0_14default_configENS1_32segmented_reduce_config_selectorIN3c108BFloat16EEEZNS1_21segmented_reduce_implIS3_PKS6_PS6_PKiS6_N6hipcub16HIPCUB_304000_NS6detail27convert_result_type_wrapperISA_SB_N2at6native12_GLOBAL__N_19CustomSumEEEEE10hipError_tPvRmT0_T1_jT2_SS_T4_T3_P12ihipStream_tbEUlT_E_NS1_11comp_targetILNS1_3genE5ELNS1_11target_archE942ELNS1_3gpuE9ELNS1_3repE0EEENS1_30default_config_static_selectorELNS0_4arch9wavefront6targetE0EEEvSR_.uses_vcc, 0
	.set _ZN7rocprim17ROCPRIM_400000_NS6detail17trampoline_kernelINS0_14default_configENS1_32segmented_reduce_config_selectorIN3c108BFloat16EEEZNS1_21segmented_reduce_implIS3_PKS6_PS6_PKiS6_N6hipcub16HIPCUB_304000_NS6detail27convert_result_type_wrapperISA_SB_N2at6native12_GLOBAL__N_19CustomSumEEEEE10hipError_tPvRmT0_T1_jT2_SS_T4_T3_P12ihipStream_tbEUlT_E_NS1_11comp_targetILNS1_3genE5ELNS1_11target_archE942ELNS1_3gpuE9ELNS1_3repE0EEENS1_30default_config_static_selectorELNS0_4arch9wavefront6targetE0EEEvSR_.uses_flat_scratch, 0
	.set _ZN7rocprim17ROCPRIM_400000_NS6detail17trampoline_kernelINS0_14default_configENS1_32segmented_reduce_config_selectorIN3c108BFloat16EEEZNS1_21segmented_reduce_implIS3_PKS6_PS6_PKiS6_N6hipcub16HIPCUB_304000_NS6detail27convert_result_type_wrapperISA_SB_N2at6native12_GLOBAL__N_19CustomSumEEEEE10hipError_tPvRmT0_T1_jT2_SS_T4_T3_P12ihipStream_tbEUlT_E_NS1_11comp_targetILNS1_3genE5ELNS1_11target_archE942ELNS1_3gpuE9ELNS1_3repE0EEENS1_30default_config_static_selectorELNS0_4arch9wavefront6targetE0EEEvSR_.has_dyn_sized_stack, 0
	.set _ZN7rocprim17ROCPRIM_400000_NS6detail17trampoline_kernelINS0_14default_configENS1_32segmented_reduce_config_selectorIN3c108BFloat16EEEZNS1_21segmented_reduce_implIS3_PKS6_PS6_PKiS6_N6hipcub16HIPCUB_304000_NS6detail27convert_result_type_wrapperISA_SB_N2at6native12_GLOBAL__N_19CustomSumEEEEE10hipError_tPvRmT0_T1_jT2_SS_T4_T3_P12ihipStream_tbEUlT_E_NS1_11comp_targetILNS1_3genE5ELNS1_11target_archE942ELNS1_3gpuE9ELNS1_3repE0EEENS1_30default_config_static_selectorELNS0_4arch9wavefront6targetE0EEEvSR_.has_recursion, 0
	.set _ZN7rocprim17ROCPRIM_400000_NS6detail17trampoline_kernelINS0_14default_configENS1_32segmented_reduce_config_selectorIN3c108BFloat16EEEZNS1_21segmented_reduce_implIS3_PKS6_PS6_PKiS6_N6hipcub16HIPCUB_304000_NS6detail27convert_result_type_wrapperISA_SB_N2at6native12_GLOBAL__N_19CustomSumEEEEE10hipError_tPvRmT0_T1_jT2_SS_T4_T3_P12ihipStream_tbEUlT_E_NS1_11comp_targetILNS1_3genE5ELNS1_11target_archE942ELNS1_3gpuE9ELNS1_3repE0EEENS1_30default_config_static_selectorELNS0_4arch9wavefront6targetE0EEEvSR_.has_indirect_call, 0
	.section	.AMDGPU.csdata,"",@progbits
; Kernel info:
; codeLenInByte = 0
; TotalNumSgprs: 0
; NumVgprs: 0
; ScratchSize: 0
; MemoryBound: 0
; FloatMode: 240
; IeeeMode: 1
; LDSByteSize: 0 bytes/workgroup (compile time only)
; SGPRBlocks: 0
; VGPRBlocks: 0
; NumSGPRsForWavesPerEU: 1
; NumVGPRsForWavesPerEU: 1
; NamedBarCnt: 0
; Occupancy: 16
; WaveLimiterHint : 0
; COMPUTE_PGM_RSRC2:SCRATCH_EN: 0
; COMPUTE_PGM_RSRC2:USER_SGPR: 2
; COMPUTE_PGM_RSRC2:TRAP_HANDLER: 0
; COMPUTE_PGM_RSRC2:TGID_X_EN: 1
; COMPUTE_PGM_RSRC2:TGID_Y_EN: 0
; COMPUTE_PGM_RSRC2:TGID_Z_EN: 0
; COMPUTE_PGM_RSRC2:TIDIG_COMP_CNT: 0
	.section	.text._ZN7rocprim17ROCPRIM_400000_NS6detail17trampoline_kernelINS0_14default_configENS1_32segmented_reduce_config_selectorIN3c108BFloat16EEEZNS1_21segmented_reduce_implIS3_PKS6_PS6_PKiS6_N6hipcub16HIPCUB_304000_NS6detail27convert_result_type_wrapperISA_SB_N2at6native12_GLOBAL__N_19CustomSumEEEEE10hipError_tPvRmT0_T1_jT2_SS_T4_T3_P12ihipStream_tbEUlT_E_NS1_11comp_targetILNS1_3genE10ELNS1_11target_archE1201ELNS1_3gpuE5ELNS1_3repE0EEENS1_30default_config_static_selectorELNS0_4arch9wavefront6targetE0EEEvSR_,"axG",@progbits,_ZN7rocprim17ROCPRIM_400000_NS6detail17trampoline_kernelINS0_14default_configENS1_32segmented_reduce_config_selectorIN3c108BFloat16EEEZNS1_21segmented_reduce_implIS3_PKS6_PS6_PKiS6_N6hipcub16HIPCUB_304000_NS6detail27convert_result_type_wrapperISA_SB_N2at6native12_GLOBAL__N_19CustomSumEEEEE10hipError_tPvRmT0_T1_jT2_SS_T4_T3_P12ihipStream_tbEUlT_E_NS1_11comp_targetILNS1_3genE10ELNS1_11target_archE1201ELNS1_3gpuE5ELNS1_3repE0EEENS1_30default_config_static_selectorELNS0_4arch9wavefront6targetE0EEEvSR_,comdat
	.globl	_ZN7rocprim17ROCPRIM_400000_NS6detail17trampoline_kernelINS0_14default_configENS1_32segmented_reduce_config_selectorIN3c108BFloat16EEEZNS1_21segmented_reduce_implIS3_PKS6_PS6_PKiS6_N6hipcub16HIPCUB_304000_NS6detail27convert_result_type_wrapperISA_SB_N2at6native12_GLOBAL__N_19CustomSumEEEEE10hipError_tPvRmT0_T1_jT2_SS_T4_T3_P12ihipStream_tbEUlT_E_NS1_11comp_targetILNS1_3genE10ELNS1_11target_archE1201ELNS1_3gpuE5ELNS1_3repE0EEENS1_30default_config_static_selectorELNS0_4arch9wavefront6targetE0EEEvSR_ ; -- Begin function _ZN7rocprim17ROCPRIM_400000_NS6detail17trampoline_kernelINS0_14default_configENS1_32segmented_reduce_config_selectorIN3c108BFloat16EEEZNS1_21segmented_reduce_implIS3_PKS6_PS6_PKiS6_N6hipcub16HIPCUB_304000_NS6detail27convert_result_type_wrapperISA_SB_N2at6native12_GLOBAL__N_19CustomSumEEEEE10hipError_tPvRmT0_T1_jT2_SS_T4_T3_P12ihipStream_tbEUlT_E_NS1_11comp_targetILNS1_3genE10ELNS1_11target_archE1201ELNS1_3gpuE5ELNS1_3repE0EEENS1_30default_config_static_selectorELNS0_4arch9wavefront6targetE0EEEvSR_
	.p2align	8
	.type	_ZN7rocprim17ROCPRIM_400000_NS6detail17trampoline_kernelINS0_14default_configENS1_32segmented_reduce_config_selectorIN3c108BFloat16EEEZNS1_21segmented_reduce_implIS3_PKS6_PS6_PKiS6_N6hipcub16HIPCUB_304000_NS6detail27convert_result_type_wrapperISA_SB_N2at6native12_GLOBAL__N_19CustomSumEEEEE10hipError_tPvRmT0_T1_jT2_SS_T4_T3_P12ihipStream_tbEUlT_E_NS1_11comp_targetILNS1_3genE10ELNS1_11target_archE1201ELNS1_3gpuE5ELNS1_3repE0EEENS1_30default_config_static_selectorELNS0_4arch9wavefront6targetE0EEEvSR_,@function
_ZN7rocprim17ROCPRIM_400000_NS6detail17trampoline_kernelINS0_14default_configENS1_32segmented_reduce_config_selectorIN3c108BFloat16EEEZNS1_21segmented_reduce_implIS3_PKS6_PS6_PKiS6_N6hipcub16HIPCUB_304000_NS6detail27convert_result_type_wrapperISA_SB_N2at6native12_GLOBAL__N_19CustomSumEEEEE10hipError_tPvRmT0_T1_jT2_SS_T4_T3_P12ihipStream_tbEUlT_E_NS1_11comp_targetILNS1_3genE10ELNS1_11target_archE1201ELNS1_3gpuE5ELNS1_3repE0EEENS1_30default_config_static_selectorELNS0_4arch9wavefront6targetE0EEEvSR_: ; @_ZN7rocprim17ROCPRIM_400000_NS6detail17trampoline_kernelINS0_14default_configENS1_32segmented_reduce_config_selectorIN3c108BFloat16EEEZNS1_21segmented_reduce_implIS3_PKS6_PS6_PKiS6_N6hipcub16HIPCUB_304000_NS6detail27convert_result_type_wrapperISA_SB_N2at6native12_GLOBAL__N_19CustomSumEEEEE10hipError_tPvRmT0_T1_jT2_SS_T4_T3_P12ihipStream_tbEUlT_E_NS1_11comp_targetILNS1_3genE10ELNS1_11target_archE1201ELNS1_3gpuE5ELNS1_3repE0EEENS1_30default_config_static_selectorELNS0_4arch9wavefront6targetE0EEEvSR_
; %bb.0:
	.section	.rodata,"a",@progbits
	.p2align	6, 0x0
	.amdhsa_kernel _ZN7rocprim17ROCPRIM_400000_NS6detail17trampoline_kernelINS0_14default_configENS1_32segmented_reduce_config_selectorIN3c108BFloat16EEEZNS1_21segmented_reduce_implIS3_PKS6_PS6_PKiS6_N6hipcub16HIPCUB_304000_NS6detail27convert_result_type_wrapperISA_SB_N2at6native12_GLOBAL__N_19CustomSumEEEEE10hipError_tPvRmT0_T1_jT2_SS_T4_T3_P12ihipStream_tbEUlT_E_NS1_11comp_targetILNS1_3genE10ELNS1_11target_archE1201ELNS1_3gpuE5ELNS1_3repE0EEENS1_30default_config_static_selectorELNS0_4arch9wavefront6targetE0EEEvSR_
		.amdhsa_group_segment_fixed_size 0
		.amdhsa_private_segment_fixed_size 0
		.amdhsa_kernarg_size 48
		.amdhsa_user_sgpr_count 2
		.amdhsa_user_sgpr_dispatch_ptr 0
		.amdhsa_user_sgpr_queue_ptr 0
		.amdhsa_user_sgpr_kernarg_segment_ptr 1
		.amdhsa_user_sgpr_dispatch_id 0
		.amdhsa_user_sgpr_kernarg_preload_length 0
		.amdhsa_user_sgpr_kernarg_preload_offset 0
		.amdhsa_user_sgpr_private_segment_size 0
		.amdhsa_wavefront_size32 1
		.amdhsa_uses_dynamic_stack 0
		.amdhsa_enable_private_segment 0
		.amdhsa_system_sgpr_workgroup_id_x 1
		.amdhsa_system_sgpr_workgroup_id_y 0
		.amdhsa_system_sgpr_workgroup_id_z 0
		.amdhsa_system_sgpr_workgroup_info 0
		.amdhsa_system_vgpr_workitem_id 0
		.amdhsa_next_free_vgpr 1
		.amdhsa_next_free_sgpr 1
		.amdhsa_named_barrier_count 0
		.amdhsa_reserve_vcc 0
		.amdhsa_float_round_mode_32 0
		.amdhsa_float_round_mode_16_64 0
		.amdhsa_float_denorm_mode_32 3
		.amdhsa_float_denorm_mode_16_64 3
		.amdhsa_fp16_overflow 0
		.amdhsa_memory_ordered 1
		.amdhsa_forward_progress 1
		.amdhsa_inst_pref_size 0
		.amdhsa_round_robin_scheduling 0
		.amdhsa_exception_fp_ieee_invalid_op 0
		.amdhsa_exception_fp_denorm_src 0
		.amdhsa_exception_fp_ieee_div_zero 0
		.amdhsa_exception_fp_ieee_overflow 0
		.amdhsa_exception_fp_ieee_underflow 0
		.amdhsa_exception_fp_ieee_inexact 0
		.amdhsa_exception_int_div_zero 0
	.end_amdhsa_kernel
	.section	.text._ZN7rocprim17ROCPRIM_400000_NS6detail17trampoline_kernelINS0_14default_configENS1_32segmented_reduce_config_selectorIN3c108BFloat16EEEZNS1_21segmented_reduce_implIS3_PKS6_PS6_PKiS6_N6hipcub16HIPCUB_304000_NS6detail27convert_result_type_wrapperISA_SB_N2at6native12_GLOBAL__N_19CustomSumEEEEE10hipError_tPvRmT0_T1_jT2_SS_T4_T3_P12ihipStream_tbEUlT_E_NS1_11comp_targetILNS1_3genE10ELNS1_11target_archE1201ELNS1_3gpuE5ELNS1_3repE0EEENS1_30default_config_static_selectorELNS0_4arch9wavefront6targetE0EEEvSR_,"axG",@progbits,_ZN7rocprim17ROCPRIM_400000_NS6detail17trampoline_kernelINS0_14default_configENS1_32segmented_reduce_config_selectorIN3c108BFloat16EEEZNS1_21segmented_reduce_implIS3_PKS6_PS6_PKiS6_N6hipcub16HIPCUB_304000_NS6detail27convert_result_type_wrapperISA_SB_N2at6native12_GLOBAL__N_19CustomSumEEEEE10hipError_tPvRmT0_T1_jT2_SS_T4_T3_P12ihipStream_tbEUlT_E_NS1_11comp_targetILNS1_3genE10ELNS1_11target_archE1201ELNS1_3gpuE5ELNS1_3repE0EEENS1_30default_config_static_selectorELNS0_4arch9wavefront6targetE0EEEvSR_,comdat
.Lfunc_end121:
	.size	_ZN7rocprim17ROCPRIM_400000_NS6detail17trampoline_kernelINS0_14default_configENS1_32segmented_reduce_config_selectorIN3c108BFloat16EEEZNS1_21segmented_reduce_implIS3_PKS6_PS6_PKiS6_N6hipcub16HIPCUB_304000_NS6detail27convert_result_type_wrapperISA_SB_N2at6native12_GLOBAL__N_19CustomSumEEEEE10hipError_tPvRmT0_T1_jT2_SS_T4_T3_P12ihipStream_tbEUlT_E_NS1_11comp_targetILNS1_3genE10ELNS1_11target_archE1201ELNS1_3gpuE5ELNS1_3repE0EEENS1_30default_config_static_selectorELNS0_4arch9wavefront6targetE0EEEvSR_, .Lfunc_end121-_ZN7rocprim17ROCPRIM_400000_NS6detail17trampoline_kernelINS0_14default_configENS1_32segmented_reduce_config_selectorIN3c108BFloat16EEEZNS1_21segmented_reduce_implIS3_PKS6_PS6_PKiS6_N6hipcub16HIPCUB_304000_NS6detail27convert_result_type_wrapperISA_SB_N2at6native12_GLOBAL__N_19CustomSumEEEEE10hipError_tPvRmT0_T1_jT2_SS_T4_T3_P12ihipStream_tbEUlT_E_NS1_11comp_targetILNS1_3genE10ELNS1_11target_archE1201ELNS1_3gpuE5ELNS1_3repE0EEENS1_30default_config_static_selectorELNS0_4arch9wavefront6targetE0EEEvSR_
                                        ; -- End function
	.set _ZN7rocprim17ROCPRIM_400000_NS6detail17trampoline_kernelINS0_14default_configENS1_32segmented_reduce_config_selectorIN3c108BFloat16EEEZNS1_21segmented_reduce_implIS3_PKS6_PS6_PKiS6_N6hipcub16HIPCUB_304000_NS6detail27convert_result_type_wrapperISA_SB_N2at6native12_GLOBAL__N_19CustomSumEEEEE10hipError_tPvRmT0_T1_jT2_SS_T4_T3_P12ihipStream_tbEUlT_E_NS1_11comp_targetILNS1_3genE10ELNS1_11target_archE1201ELNS1_3gpuE5ELNS1_3repE0EEENS1_30default_config_static_selectorELNS0_4arch9wavefront6targetE0EEEvSR_.num_vgpr, 0
	.set _ZN7rocprim17ROCPRIM_400000_NS6detail17trampoline_kernelINS0_14default_configENS1_32segmented_reduce_config_selectorIN3c108BFloat16EEEZNS1_21segmented_reduce_implIS3_PKS6_PS6_PKiS6_N6hipcub16HIPCUB_304000_NS6detail27convert_result_type_wrapperISA_SB_N2at6native12_GLOBAL__N_19CustomSumEEEEE10hipError_tPvRmT0_T1_jT2_SS_T4_T3_P12ihipStream_tbEUlT_E_NS1_11comp_targetILNS1_3genE10ELNS1_11target_archE1201ELNS1_3gpuE5ELNS1_3repE0EEENS1_30default_config_static_selectorELNS0_4arch9wavefront6targetE0EEEvSR_.num_agpr, 0
	.set _ZN7rocprim17ROCPRIM_400000_NS6detail17trampoline_kernelINS0_14default_configENS1_32segmented_reduce_config_selectorIN3c108BFloat16EEEZNS1_21segmented_reduce_implIS3_PKS6_PS6_PKiS6_N6hipcub16HIPCUB_304000_NS6detail27convert_result_type_wrapperISA_SB_N2at6native12_GLOBAL__N_19CustomSumEEEEE10hipError_tPvRmT0_T1_jT2_SS_T4_T3_P12ihipStream_tbEUlT_E_NS1_11comp_targetILNS1_3genE10ELNS1_11target_archE1201ELNS1_3gpuE5ELNS1_3repE0EEENS1_30default_config_static_selectorELNS0_4arch9wavefront6targetE0EEEvSR_.numbered_sgpr, 0
	.set _ZN7rocprim17ROCPRIM_400000_NS6detail17trampoline_kernelINS0_14default_configENS1_32segmented_reduce_config_selectorIN3c108BFloat16EEEZNS1_21segmented_reduce_implIS3_PKS6_PS6_PKiS6_N6hipcub16HIPCUB_304000_NS6detail27convert_result_type_wrapperISA_SB_N2at6native12_GLOBAL__N_19CustomSumEEEEE10hipError_tPvRmT0_T1_jT2_SS_T4_T3_P12ihipStream_tbEUlT_E_NS1_11comp_targetILNS1_3genE10ELNS1_11target_archE1201ELNS1_3gpuE5ELNS1_3repE0EEENS1_30default_config_static_selectorELNS0_4arch9wavefront6targetE0EEEvSR_.num_named_barrier, 0
	.set _ZN7rocprim17ROCPRIM_400000_NS6detail17trampoline_kernelINS0_14default_configENS1_32segmented_reduce_config_selectorIN3c108BFloat16EEEZNS1_21segmented_reduce_implIS3_PKS6_PS6_PKiS6_N6hipcub16HIPCUB_304000_NS6detail27convert_result_type_wrapperISA_SB_N2at6native12_GLOBAL__N_19CustomSumEEEEE10hipError_tPvRmT0_T1_jT2_SS_T4_T3_P12ihipStream_tbEUlT_E_NS1_11comp_targetILNS1_3genE10ELNS1_11target_archE1201ELNS1_3gpuE5ELNS1_3repE0EEENS1_30default_config_static_selectorELNS0_4arch9wavefront6targetE0EEEvSR_.private_seg_size, 0
	.set _ZN7rocprim17ROCPRIM_400000_NS6detail17trampoline_kernelINS0_14default_configENS1_32segmented_reduce_config_selectorIN3c108BFloat16EEEZNS1_21segmented_reduce_implIS3_PKS6_PS6_PKiS6_N6hipcub16HIPCUB_304000_NS6detail27convert_result_type_wrapperISA_SB_N2at6native12_GLOBAL__N_19CustomSumEEEEE10hipError_tPvRmT0_T1_jT2_SS_T4_T3_P12ihipStream_tbEUlT_E_NS1_11comp_targetILNS1_3genE10ELNS1_11target_archE1201ELNS1_3gpuE5ELNS1_3repE0EEENS1_30default_config_static_selectorELNS0_4arch9wavefront6targetE0EEEvSR_.uses_vcc, 0
	.set _ZN7rocprim17ROCPRIM_400000_NS6detail17trampoline_kernelINS0_14default_configENS1_32segmented_reduce_config_selectorIN3c108BFloat16EEEZNS1_21segmented_reduce_implIS3_PKS6_PS6_PKiS6_N6hipcub16HIPCUB_304000_NS6detail27convert_result_type_wrapperISA_SB_N2at6native12_GLOBAL__N_19CustomSumEEEEE10hipError_tPvRmT0_T1_jT2_SS_T4_T3_P12ihipStream_tbEUlT_E_NS1_11comp_targetILNS1_3genE10ELNS1_11target_archE1201ELNS1_3gpuE5ELNS1_3repE0EEENS1_30default_config_static_selectorELNS0_4arch9wavefront6targetE0EEEvSR_.uses_flat_scratch, 0
	.set _ZN7rocprim17ROCPRIM_400000_NS6detail17trampoline_kernelINS0_14default_configENS1_32segmented_reduce_config_selectorIN3c108BFloat16EEEZNS1_21segmented_reduce_implIS3_PKS6_PS6_PKiS6_N6hipcub16HIPCUB_304000_NS6detail27convert_result_type_wrapperISA_SB_N2at6native12_GLOBAL__N_19CustomSumEEEEE10hipError_tPvRmT0_T1_jT2_SS_T4_T3_P12ihipStream_tbEUlT_E_NS1_11comp_targetILNS1_3genE10ELNS1_11target_archE1201ELNS1_3gpuE5ELNS1_3repE0EEENS1_30default_config_static_selectorELNS0_4arch9wavefront6targetE0EEEvSR_.has_dyn_sized_stack, 0
	.set _ZN7rocprim17ROCPRIM_400000_NS6detail17trampoline_kernelINS0_14default_configENS1_32segmented_reduce_config_selectorIN3c108BFloat16EEEZNS1_21segmented_reduce_implIS3_PKS6_PS6_PKiS6_N6hipcub16HIPCUB_304000_NS6detail27convert_result_type_wrapperISA_SB_N2at6native12_GLOBAL__N_19CustomSumEEEEE10hipError_tPvRmT0_T1_jT2_SS_T4_T3_P12ihipStream_tbEUlT_E_NS1_11comp_targetILNS1_3genE10ELNS1_11target_archE1201ELNS1_3gpuE5ELNS1_3repE0EEENS1_30default_config_static_selectorELNS0_4arch9wavefront6targetE0EEEvSR_.has_recursion, 0
	.set _ZN7rocprim17ROCPRIM_400000_NS6detail17trampoline_kernelINS0_14default_configENS1_32segmented_reduce_config_selectorIN3c108BFloat16EEEZNS1_21segmented_reduce_implIS3_PKS6_PS6_PKiS6_N6hipcub16HIPCUB_304000_NS6detail27convert_result_type_wrapperISA_SB_N2at6native12_GLOBAL__N_19CustomSumEEEEE10hipError_tPvRmT0_T1_jT2_SS_T4_T3_P12ihipStream_tbEUlT_E_NS1_11comp_targetILNS1_3genE10ELNS1_11target_archE1201ELNS1_3gpuE5ELNS1_3repE0EEENS1_30default_config_static_selectorELNS0_4arch9wavefront6targetE0EEEvSR_.has_indirect_call, 0
	.section	.AMDGPU.csdata,"",@progbits
; Kernel info:
; codeLenInByte = 0
; TotalNumSgprs: 0
; NumVgprs: 0
; ScratchSize: 0
; MemoryBound: 0
; FloatMode: 240
; IeeeMode: 1
; LDSByteSize: 0 bytes/workgroup (compile time only)
; SGPRBlocks: 0
; VGPRBlocks: 0
; NumSGPRsForWavesPerEU: 1
; NumVGPRsForWavesPerEU: 1
; NamedBarCnt: 0
; Occupancy: 16
; WaveLimiterHint : 0
; COMPUTE_PGM_RSRC2:SCRATCH_EN: 0
; COMPUTE_PGM_RSRC2:USER_SGPR: 2
; COMPUTE_PGM_RSRC2:TRAP_HANDLER: 0
; COMPUTE_PGM_RSRC2:TGID_X_EN: 1
; COMPUTE_PGM_RSRC2:TGID_Y_EN: 0
; COMPUTE_PGM_RSRC2:TGID_Z_EN: 0
; COMPUTE_PGM_RSRC2:TIDIG_COMP_CNT: 0
	.section	.text._ZN7rocprim17ROCPRIM_400000_NS6detail17trampoline_kernelINS0_14default_configENS1_32segmented_reduce_config_selectorIN3c108BFloat16EEEZNS1_21segmented_reduce_implIS3_PKS6_PS6_PKiS6_N6hipcub16HIPCUB_304000_NS6detail27convert_result_type_wrapperISA_SB_N2at6native12_GLOBAL__N_19CustomSumEEEEE10hipError_tPvRmT0_T1_jT2_SS_T4_T3_P12ihipStream_tbEUlT_E_NS1_11comp_targetILNS1_3genE4ELNS1_11target_archE910ELNS1_3gpuE8ELNS1_3repE0EEENS1_30default_config_static_selectorELNS0_4arch9wavefront6targetE0EEEvSR_,"axG",@progbits,_ZN7rocprim17ROCPRIM_400000_NS6detail17trampoline_kernelINS0_14default_configENS1_32segmented_reduce_config_selectorIN3c108BFloat16EEEZNS1_21segmented_reduce_implIS3_PKS6_PS6_PKiS6_N6hipcub16HIPCUB_304000_NS6detail27convert_result_type_wrapperISA_SB_N2at6native12_GLOBAL__N_19CustomSumEEEEE10hipError_tPvRmT0_T1_jT2_SS_T4_T3_P12ihipStream_tbEUlT_E_NS1_11comp_targetILNS1_3genE4ELNS1_11target_archE910ELNS1_3gpuE8ELNS1_3repE0EEENS1_30default_config_static_selectorELNS0_4arch9wavefront6targetE0EEEvSR_,comdat
	.globl	_ZN7rocprim17ROCPRIM_400000_NS6detail17trampoline_kernelINS0_14default_configENS1_32segmented_reduce_config_selectorIN3c108BFloat16EEEZNS1_21segmented_reduce_implIS3_PKS6_PS6_PKiS6_N6hipcub16HIPCUB_304000_NS6detail27convert_result_type_wrapperISA_SB_N2at6native12_GLOBAL__N_19CustomSumEEEEE10hipError_tPvRmT0_T1_jT2_SS_T4_T3_P12ihipStream_tbEUlT_E_NS1_11comp_targetILNS1_3genE4ELNS1_11target_archE910ELNS1_3gpuE8ELNS1_3repE0EEENS1_30default_config_static_selectorELNS0_4arch9wavefront6targetE0EEEvSR_ ; -- Begin function _ZN7rocprim17ROCPRIM_400000_NS6detail17trampoline_kernelINS0_14default_configENS1_32segmented_reduce_config_selectorIN3c108BFloat16EEEZNS1_21segmented_reduce_implIS3_PKS6_PS6_PKiS6_N6hipcub16HIPCUB_304000_NS6detail27convert_result_type_wrapperISA_SB_N2at6native12_GLOBAL__N_19CustomSumEEEEE10hipError_tPvRmT0_T1_jT2_SS_T4_T3_P12ihipStream_tbEUlT_E_NS1_11comp_targetILNS1_3genE4ELNS1_11target_archE910ELNS1_3gpuE8ELNS1_3repE0EEENS1_30default_config_static_selectorELNS0_4arch9wavefront6targetE0EEEvSR_
	.p2align	8
	.type	_ZN7rocprim17ROCPRIM_400000_NS6detail17trampoline_kernelINS0_14default_configENS1_32segmented_reduce_config_selectorIN3c108BFloat16EEEZNS1_21segmented_reduce_implIS3_PKS6_PS6_PKiS6_N6hipcub16HIPCUB_304000_NS6detail27convert_result_type_wrapperISA_SB_N2at6native12_GLOBAL__N_19CustomSumEEEEE10hipError_tPvRmT0_T1_jT2_SS_T4_T3_P12ihipStream_tbEUlT_E_NS1_11comp_targetILNS1_3genE4ELNS1_11target_archE910ELNS1_3gpuE8ELNS1_3repE0EEENS1_30default_config_static_selectorELNS0_4arch9wavefront6targetE0EEEvSR_,@function
_ZN7rocprim17ROCPRIM_400000_NS6detail17trampoline_kernelINS0_14default_configENS1_32segmented_reduce_config_selectorIN3c108BFloat16EEEZNS1_21segmented_reduce_implIS3_PKS6_PS6_PKiS6_N6hipcub16HIPCUB_304000_NS6detail27convert_result_type_wrapperISA_SB_N2at6native12_GLOBAL__N_19CustomSumEEEEE10hipError_tPvRmT0_T1_jT2_SS_T4_T3_P12ihipStream_tbEUlT_E_NS1_11comp_targetILNS1_3genE4ELNS1_11target_archE910ELNS1_3gpuE8ELNS1_3repE0EEENS1_30default_config_static_selectorELNS0_4arch9wavefront6targetE0EEEvSR_: ; @_ZN7rocprim17ROCPRIM_400000_NS6detail17trampoline_kernelINS0_14default_configENS1_32segmented_reduce_config_selectorIN3c108BFloat16EEEZNS1_21segmented_reduce_implIS3_PKS6_PS6_PKiS6_N6hipcub16HIPCUB_304000_NS6detail27convert_result_type_wrapperISA_SB_N2at6native12_GLOBAL__N_19CustomSumEEEEE10hipError_tPvRmT0_T1_jT2_SS_T4_T3_P12ihipStream_tbEUlT_E_NS1_11comp_targetILNS1_3genE4ELNS1_11target_archE910ELNS1_3gpuE8ELNS1_3repE0EEENS1_30default_config_static_selectorELNS0_4arch9wavefront6targetE0EEEvSR_
; %bb.0:
	.section	.rodata,"a",@progbits
	.p2align	6, 0x0
	.amdhsa_kernel _ZN7rocprim17ROCPRIM_400000_NS6detail17trampoline_kernelINS0_14default_configENS1_32segmented_reduce_config_selectorIN3c108BFloat16EEEZNS1_21segmented_reduce_implIS3_PKS6_PS6_PKiS6_N6hipcub16HIPCUB_304000_NS6detail27convert_result_type_wrapperISA_SB_N2at6native12_GLOBAL__N_19CustomSumEEEEE10hipError_tPvRmT0_T1_jT2_SS_T4_T3_P12ihipStream_tbEUlT_E_NS1_11comp_targetILNS1_3genE4ELNS1_11target_archE910ELNS1_3gpuE8ELNS1_3repE0EEENS1_30default_config_static_selectorELNS0_4arch9wavefront6targetE0EEEvSR_
		.amdhsa_group_segment_fixed_size 0
		.amdhsa_private_segment_fixed_size 0
		.amdhsa_kernarg_size 48
		.amdhsa_user_sgpr_count 2
		.amdhsa_user_sgpr_dispatch_ptr 0
		.amdhsa_user_sgpr_queue_ptr 0
		.amdhsa_user_sgpr_kernarg_segment_ptr 1
		.amdhsa_user_sgpr_dispatch_id 0
		.amdhsa_user_sgpr_kernarg_preload_length 0
		.amdhsa_user_sgpr_kernarg_preload_offset 0
		.amdhsa_user_sgpr_private_segment_size 0
		.amdhsa_wavefront_size32 1
		.amdhsa_uses_dynamic_stack 0
		.amdhsa_enable_private_segment 0
		.amdhsa_system_sgpr_workgroup_id_x 1
		.amdhsa_system_sgpr_workgroup_id_y 0
		.amdhsa_system_sgpr_workgroup_id_z 0
		.amdhsa_system_sgpr_workgroup_info 0
		.amdhsa_system_vgpr_workitem_id 0
		.amdhsa_next_free_vgpr 1
		.amdhsa_next_free_sgpr 1
		.amdhsa_named_barrier_count 0
		.amdhsa_reserve_vcc 0
		.amdhsa_float_round_mode_32 0
		.amdhsa_float_round_mode_16_64 0
		.amdhsa_float_denorm_mode_32 3
		.amdhsa_float_denorm_mode_16_64 3
		.amdhsa_fp16_overflow 0
		.amdhsa_memory_ordered 1
		.amdhsa_forward_progress 1
		.amdhsa_inst_pref_size 0
		.amdhsa_round_robin_scheduling 0
		.amdhsa_exception_fp_ieee_invalid_op 0
		.amdhsa_exception_fp_denorm_src 0
		.amdhsa_exception_fp_ieee_div_zero 0
		.amdhsa_exception_fp_ieee_overflow 0
		.amdhsa_exception_fp_ieee_underflow 0
		.amdhsa_exception_fp_ieee_inexact 0
		.amdhsa_exception_int_div_zero 0
	.end_amdhsa_kernel
	.section	.text._ZN7rocprim17ROCPRIM_400000_NS6detail17trampoline_kernelINS0_14default_configENS1_32segmented_reduce_config_selectorIN3c108BFloat16EEEZNS1_21segmented_reduce_implIS3_PKS6_PS6_PKiS6_N6hipcub16HIPCUB_304000_NS6detail27convert_result_type_wrapperISA_SB_N2at6native12_GLOBAL__N_19CustomSumEEEEE10hipError_tPvRmT0_T1_jT2_SS_T4_T3_P12ihipStream_tbEUlT_E_NS1_11comp_targetILNS1_3genE4ELNS1_11target_archE910ELNS1_3gpuE8ELNS1_3repE0EEENS1_30default_config_static_selectorELNS0_4arch9wavefront6targetE0EEEvSR_,"axG",@progbits,_ZN7rocprim17ROCPRIM_400000_NS6detail17trampoline_kernelINS0_14default_configENS1_32segmented_reduce_config_selectorIN3c108BFloat16EEEZNS1_21segmented_reduce_implIS3_PKS6_PS6_PKiS6_N6hipcub16HIPCUB_304000_NS6detail27convert_result_type_wrapperISA_SB_N2at6native12_GLOBAL__N_19CustomSumEEEEE10hipError_tPvRmT0_T1_jT2_SS_T4_T3_P12ihipStream_tbEUlT_E_NS1_11comp_targetILNS1_3genE4ELNS1_11target_archE910ELNS1_3gpuE8ELNS1_3repE0EEENS1_30default_config_static_selectorELNS0_4arch9wavefront6targetE0EEEvSR_,comdat
.Lfunc_end122:
	.size	_ZN7rocprim17ROCPRIM_400000_NS6detail17trampoline_kernelINS0_14default_configENS1_32segmented_reduce_config_selectorIN3c108BFloat16EEEZNS1_21segmented_reduce_implIS3_PKS6_PS6_PKiS6_N6hipcub16HIPCUB_304000_NS6detail27convert_result_type_wrapperISA_SB_N2at6native12_GLOBAL__N_19CustomSumEEEEE10hipError_tPvRmT0_T1_jT2_SS_T4_T3_P12ihipStream_tbEUlT_E_NS1_11comp_targetILNS1_3genE4ELNS1_11target_archE910ELNS1_3gpuE8ELNS1_3repE0EEENS1_30default_config_static_selectorELNS0_4arch9wavefront6targetE0EEEvSR_, .Lfunc_end122-_ZN7rocprim17ROCPRIM_400000_NS6detail17trampoline_kernelINS0_14default_configENS1_32segmented_reduce_config_selectorIN3c108BFloat16EEEZNS1_21segmented_reduce_implIS3_PKS6_PS6_PKiS6_N6hipcub16HIPCUB_304000_NS6detail27convert_result_type_wrapperISA_SB_N2at6native12_GLOBAL__N_19CustomSumEEEEE10hipError_tPvRmT0_T1_jT2_SS_T4_T3_P12ihipStream_tbEUlT_E_NS1_11comp_targetILNS1_3genE4ELNS1_11target_archE910ELNS1_3gpuE8ELNS1_3repE0EEENS1_30default_config_static_selectorELNS0_4arch9wavefront6targetE0EEEvSR_
                                        ; -- End function
	.set _ZN7rocprim17ROCPRIM_400000_NS6detail17trampoline_kernelINS0_14default_configENS1_32segmented_reduce_config_selectorIN3c108BFloat16EEEZNS1_21segmented_reduce_implIS3_PKS6_PS6_PKiS6_N6hipcub16HIPCUB_304000_NS6detail27convert_result_type_wrapperISA_SB_N2at6native12_GLOBAL__N_19CustomSumEEEEE10hipError_tPvRmT0_T1_jT2_SS_T4_T3_P12ihipStream_tbEUlT_E_NS1_11comp_targetILNS1_3genE4ELNS1_11target_archE910ELNS1_3gpuE8ELNS1_3repE0EEENS1_30default_config_static_selectorELNS0_4arch9wavefront6targetE0EEEvSR_.num_vgpr, 0
	.set _ZN7rocprim17ROCPRIM_400000_NS6detail17trampoline_kernelINS0_14default_configENS1_32segmented_reduce_config_selectorIN3c108BFloat16EEEZNS1_21segmented_reduce_implIS3_PKS6_PS6_PKiS6_N6hipcub16HIPCUB_304000_NS6detail27convert_result_type_wrapperISA_SB_N2at6native12_GLOBAL__N_19CustomSumEEEEE10hipError_tPvRmT0_T1_jT2_SS_T4_T3_P12ihipStream_tbEUlT_E_NS1_11comp_targetILNS1_3genE4ELNS1_11target_archE910ELNS1_3gpuE8ELNS1_3repE0EEENS1_30default_config_static_selectorELNS0_4arch9wavefront6targetE0EEEvSR_.num_agpr, 0
	.set _ZN7rocprim17ROCPRIM_400000_NS6detail17trampoline_kernelINS0_14default_configENS1_32segmented_reduce_config_selectorIN3c108BFloat16EEEZNS1_21segmented_reduce_implIS3_PKS6_PS6_PKiS6_N6hipcub16HIPCUB_304000_NS6detail27convert_result_type_wrapperISA_SB_N2at6native12_GLOBAL__N_19CustomSumEEEEE10hipError_tPvRmT0_T1_jT2_SS_T4_T3_P12ihipStream_tbEUlT_E_NS1_11comp_targetILNS1_3genE4ELNS1_11target_archE910ELNS1_3gpuE8ELNS1_3repE0EEENS1_30default_config_static_selectorELNS0_4arch9wavefront6targetE0EEEvSR_.numbered_sgpr, 0
	.set _ZN7rocprim17ROCPRIM_400000_NS6detail17trampoline_kernelINS0_14default_configENS1_32segmented_reduce_config_selectorIN3c108BFloat16EEEZNS1_21segmented_reduce_implIS3_PKS6_PS6_PKiS6_N6hipcub16HIPCUB_304000_NS6detail27convert_result_type_wrapperISA_SB_N2at6native12_GLOBAL__N_19CustomSumEEEEE10hipError_tPvRmT0_T1_jT2_SS_T4_T3_P12ihipStream_tbEUlT_E_NS1_11comp_targetILNS1_3genE4ELNS1_11target_archE910ELNS1_3gpuE8ELNS1_3repE0EEENS1_30default_config_static_selectorELNS0_4arch9wavefront6targetE0EEEvSR_.num_named_barrier, 0
	.set _ZN7rocprim17ROCPRIM_400000_NS6detail17trampoline_kernelINS0_14default_configENS1_32segmented_reduce_config_selectorIN3c108BFloat16EEEZNS1_21segmented_reduce_implIS3_PKS6_PS6_PKiS6_N6hipcub16HIPCUB_304000_NS6detail27convert_result_type_wrapperISA_SB_N2at6native12_GLOBAL__N_19CustomSumEEEEE10hipError_tPvRmT0_T1_jT2_SS_T4_T3_P12ihipStream_tbEUlT_E_NS1_11comp_targetILNS1_3genE4ELNS1_11target_archE910ELNS1_3gpuE8ELNS1_3repE0EEENS1_30default_config_static_selectorELNS0_4arch9wavefront6targetE0EEEvSR_.private_seg_size, 0
	.set _ZN7rocprim17ROCPRIM_400000_NS6detail17trampoline_kernelINS0_14default_configENS1_32segmented_reduce_config_selectorIN3c108BFloat16EEEZNS1_21segmented_reduce_implIS3_PKS6_PS6_PKiS6_N6hipcub16HIPCUB_304000_NS6detail27convert_result_type_wrapperISA_SB_N2at6native12_GLOBAL__N_19CustomSumEEEEE10hipError_tPvRmT0_T1_jT2_SS_T4_T3_P12ihipStream_tbEUlT_E_NS1_11comp_targetILNS1_3genE4ELNS1_11target_archE910ELNS1_3gpuE8ELNS1_3repE0EEENS1_30default_config_static_selectorELNS0_4arch9wavefront6targetE0EEEvSR_.uses_vcc, 0
	.set _ZN7rocprim17ROCPRIM_400000_NS6detail17trampoline_kernelINS0_14default_configENS1_32segmented_reduce_config_selectorIN3c108BFloat16EEEZNS1_21segmented_reduce_implIS3_PKS6_PS6_PKiS6_N6hipcub16HIPCUB_304000_NS6detail27convert_result_type_wrapperISA_SB_N2at6native12_GLOBAL__N_19CustomSumEEEEE10hipError_tPvRmT0_T1_jT2_SS_T4_T3_P12ihipStream_tbEUlT_E_NS1_11comp_targetILNS1_3genE4ELNS1_11target_archE910ELNS1_3gpuE8ELNS1_3repE0EEENS1_30default_config_static_selectorELNS0_4arch9wavefront6targetE0EEEvSR_.uses_flat_scratch, 0
	.set _ZN7rocprim17ROCPRIM_400000_NS6detail17trampoline_kernelINS0_14default_configENS1_32segmented_reduce_config_selectorIN3c108BFloat16EEEZNS1_21segmented_reduce_implIS3_PKS6_PS6_PKiS6_N6hipcub16HIPCUB_304000_NS6detail27convert_result_type_wrapperISA_SB_N2at6native12_GLOBAL__N_19CustomSumEEEEE10hipError_tPvRmT0_T1_jT2_SS_T4_T3_P12ihipStream_tbEUlT_E_NS1_11comp_targetILNS1_3genE4ELNS1_11target_archE910ELNS1_3gpuE8ELNS1_3repE0EEENS1_30default_config_static_selectorELNS0_4arch9wavefront6targetE0EEEvSR_.has_dyn_sized_stack, 0
	.set _ZN7rocprim17ROCPRIM_400000_NS6detail17trampoline_kernelINS0_14default_configENS1_32segmented_reduce_config_selectorIN3c108BFloat16EEEZNS1_21segmented_reduce_implIS3_PKS6_PS6_PKiS6_N6hipcub16HIPCUB_304000_NS6detail27convert_result_type_wrapperISA_SB_N2at6native12_GLOBAL__N_19CustomSumEEEEE10hipError_tPvRmT0_T1_jT2_SS_T4_T3_P12ihipStream_tbEUlT_E_NS1_11comp_targetILNS1_3genE4ELNS1_11target_archE910ELNS1_3gpuE8ELNS1_3repE0EEENS1_30default_config_static_selectorELNS0_4arch9wavefront6targetE0EEEvSR_.has_recursion, 0
	.set _ZN7rocprim17ROCPRIM_400000_NS6detail17trampoline_kernelINS0_14default_configENS1_32segmented_reduce_config_selectorIN3c108BFloat16EEEZNS1_21segmented_reduce_implIS3_PKS6_PS6_PKiS6_N6hipcub16HIPCUB_304000_NS6detail27convert_result_type_wrapperISA_SB_N2at6native12_GLOBAL__N_19CustomSumEEEEE10hipError_tPvRmT0_T1_jT2_SS_T4_T3_P12ihipStream_tbEUlT_E_NS1_11comp_targetILNS1_3genE4ELNS1_11target_archE910ELNS1_3gpuE8ELNS1_3repE0EEENS1_30default_config_static_selectorELNS0_4arch9wavefront6targetE0EEEvSR_.has_indirect_call, 0
	.section	.AMDGPU.csdata,"",@progbits
; Kernel info:
; codeLenInByte = 0
; TotalNumSgprs: 0
; NumVgprs: 0
; ScratchSize: 0
; MemoryBound: 0
; FloatMode: 240
; IeeeMode: 1
; LDSByteSize: 0 bytes/workgroup (compile time only)
; SGPRBlocks: 0
; VGPRBlocks: 0
; NumSGPRsForWavesPerEU: 1
; NumVGPRsForWavesPerEU: 1
; NamedBarCnt: 0
; Occupancy: 16
; WaveLimiterHint : 0
; COMPUTE_PGM_RSRC2:SCRATCH_EN: 0
; COMPUTE_PGM_RSRC2:USER_SGPR: 2
; COMPUTE_PGM_RSRC2:TRAP_HANDLER: 0
; COMPUTE_PGM_RSRC2:TGID_X_EN: 1
; COMPUTE_PGM_RSRC2:TGID_Y_EN: 0
; COMPUTE_PGM_RSRC2:TGID_Z_EN: 0
; COMPUTE_PGM_RSRC2:TIDIG_COMP_CNT: 0
	.section	.text._ZN7rocprim17ROCPRIM_400000_NS6detail17trampoline_kernelINS0_14default_configENS1_32segmented_reduce_config_selectorIN3c108BFloat16EEEZNS1_21segmented_reduce_implIS3_PKS6_PS6_PKiS6_N6hipcub16HIPCUB_304000_NS6detail27convert_result_type_wrapperISA_SB_N2at6native12_GLOBAL__N_19CustomSumEEEEE10hipError_tPvRmT0_T1_jT2_SS_T4_T3_P12ihipStream_tbEUlT_E_NS1_11comp_targetILNS1_3genE3ELNS1_11target_archE908ELNS1_3gpuE7ELNS1_3repE0EEENS1_30default_config_static_selectorELNS0_4arch9wavefront6targetE0EEEvSR_,"axG",@progbits,_ZN7rocprim17ROCPRIM_400000_NS6detail17trampoline_kernelINS0_14default_configENS1_32segmented_reduce_config_selectorIN3c108BFloat16EEEZNS1_21segmented_reduce_implIS3_PKS6_PS6_PKiS6_N6hipcub16HIPCUB_304000_NS6detail27convert_result_type_wrapperISA_SB_N2at6native12_GLOBAL__N_19CustomSumEEEEE10hipError_tPvRmT0_T1_jT2_SS_T4_T3_P12ihipStream_tbEUlT_E_NS1_11comp_targetILNS1_3genE3ELNS1_11target_archE908ELNS1_3gpuE7ELNS1_3repE0EEENS1_30default_config_static_selectorELNS0_4arch9wavefront6targetE0EEEvSR_,comdat
	.globl	_ZN7rocprim17ROCPRIM_400000_NS6detail17trampoline_kernelINS0_14default_configENS1_32segmented_reduce_config_selectorIN3c108BFloat16EEEZNS1_21segmented_reduce_implIS3_PKS6_PS6_PKiS6_N6hipcub16HIPCUB_304000_NS6detail27convert_result_type_wrapperISA_SB_N2at6native12_GLOBAL__N_19CustomSumEEEEE10hipError_tPvRmT0_T1_jT2_SS_T4_T3_P12ihipStream_tbEUlT_E_NS1_11comp_targetILNS1_3genE3ELNS1_11target_archE908ELNS1_3gpuE7ELNS1_3repE0EEENS1_30default_config_static_selectorELNS0_4arch9wavefront6targetE0EEEvSR_ ; -- Begin function _ZN7rocprim17ROCPRIM_400000_NS6detail17trampoline_kernelINS0_14default_configENS1_32segmented_reduce_config_selectorIN3c108BFloat16EEEZNS1_21segmented_reduce_implIS3_PKS6_PS6_PKiS6_N6hipcub16HIPCUB_304000_NS6detail27convert_result_type_wrapperISA_SB_N2at6native12_GLOBAL__N_19CustomSumEEEEE10hipError_tPvRmT0_T1_jT2_SS_T4_T3_P12ihipStream_tbEUlT_E_NS1_11comp_targetILNS1_3genE3ELNS1_11target_archE908ELNS1_3gpuE7ELNS1_3repE0EEENS1_30default_config_static_selectorELNS0_4arch9wavefront6targetE0EEEvSR_
	.p2align	8
	.type	_ZN7rocprim17ROCPRIM_400000_NS6detail17trampoline_kernelINS0_14default_configENS1_32segmented_reduce_config_selectorIN3c108BFloat16EEEZNS1_21segmented_reduce_implIS3_PKS6_PS6_PKiS6_N6hipcub16HIPCUB_304000_NS6detail27convert_result_type_wrapperISA_SB_N2at6native12_GLOBAL__N_19CustomSumEEEEE10hipError_tPvRmT0_T1_jT2_SS_T4_T3_P12ihipStream_tbEUlT_E_NS1_11comp_targetILNS1_3genE3ELNS1_11target_archE908ELNS1_3gpuE7ELNS1_3repE0EEENS1_30default_config_static_selectorELNS0_4arch9wavefront6targetE0EEEvSR_,@function
_ZN7rocprim17ROCPRIM_400000_NS6detail17trampoline_kernelINS0_14default_configENS1_32segmented_reduce_config_selectorIN3c108BFloat16EEEZNS1_21segmented_reduce_implIS3_PKS6_PS6_PKiS6_N6hipcub16HIPCUB_304000_NS6detail27convert_result_type_wrapperISA_SB_N2at6native12_GLOBAL__N_19CustomSumEEEEE10hipError_tPvRmT0_T1_jT2_SS_T4_T3_P12ihipStream_tbEUlT_E_NS1_11comp_targetILNS1_3genE3ELNS1_11target_archE908ELNS1_3gpuE7ELNS1_3repE0EEENS1_30default_config_static_selectorELNS0_4arch9wavefront6targetE0EEEvSR_: ; @_ZN7rocprim17ROCPRIM_400000_NS6detail17trampoline_kernelINS0_14default_configENS1_32segmented_reduce_config_selectorIN3c108BFloat16EEEZNS1_21segmented_reduce_implIS3_PKS6_PS6_PKiS6_N6hipcub16HIPCUB_304000_NS6detail27convert_result_type_wrapperISA_SB_N2at6native12_GLOBAL__N_19CustomSumEEEEE10hipError_tPvRmT0_T1_jT2_SS_T4_T3_P12ihipStream_tbEUlT_E_NS1_11comp_targetILNS1_3genE3ELNS1_11target_archE908ELNS1_3gpuE7ELNS1_3repE0EEENS1_30default_config_static_selectorELNS0_4arch9wavefront6targetE0EEEvSR_
; %bb.0:
	.section	.rodata,"a",@progbits
	.p2align	6, 0x0
	.amdhsa_kernel _ZN7rocprim17ROCPRIM_400000_NS6detail17trampoline_kernelINS0_14default_configENS1_32segmented_reduce_config_selectorIN3c108BFloat16EEEZNS1_21segmented_reduce_implIS3_PKS6_PS6_PKiS6_N6hipcub16HIPCUB_304000_NS6detail27convert_result_type_wrapperISA_SB_N2at6native12_GLOBAL__N_19CustomSumEEEEE10hipError_tPvRmT0_T1_jT2_SS_T4_T3_P12ihipStream_tbEUlT_E_NS1_11comp_targetILNS1_3genE3ELNS1_11target_archE908ELNS1_3gpuE7ELNS1_3repE0EEENS1_30default_config_static_selectorELNS0_4arch9wavefront6targetE0EEEvSR_
		.amdhsa_group_segment_fixed_size 0
		.amdhsa_private_segment_fixed_size 0
		.amdhsa_kernarg_size 48
		.amdhsa_user_sgpr_count 2
		.amdhsa_user_sgpr_dispatch_ptr 0
		.amdhsa_user_sgpr_queue_ptr 0
		.amdhsa_user_sgpr_kernarg_segment_ptr 1
		.amdhsa_user_sgpr_dispatch_id 0
		.amdhsa_user_sgpr_kernarg_preload_length 0
		.amdhsa_user_sgpr_kernarg_preload_offset 0
		.amdhsa_user_sgpr_private_segment_size 0
		.amdhsa_wavefront_size32 1
		.amdhsa_uses_dynamic_stack 0
		.amdhsa_enable_private_segment 0
		.amdhsa_system_sgpr_workgroup_id_x 1
		.amdhsa_system_sgpr_workgroup_id_y 0
		.amdhsa_system_sgpr_workgroup_id_z 0
		.amdhsa_system_sgpr_workgroup_info 0
		.amdhsa_system_vgpr_workitem_id 0
		.amdhsa_next_free_vgpr 1
		.amdhsa_next_free_sgpr 1
		.amdhsa_named_barrier_count 0
		.amdhsa_reserve_vcc 0
		.amdhsa_float_round_mode_32 0
		.amdhsa_float_round_mode_16_64 0
		.amdhsa_float_denorm_mode_32 3
		.amdhsa_float_denorm_mode_16_64 3
		.amdhsa_fp16_overflow 0
		.amdhsa_memory_ordered 1
		.amdhsa_forward_progress 1
		.amdhsa_inst_pref_size 0
		.amdhsa_round_robin_scheduling 0
		.amdhsa_exception_fp_ieee_invalid_op 0
		.amdhsa_exception_fp_denorm_src 0
		.amdhsa_exception_fp_ieee_div_zero 0
		.amdhsa_exception_fp_ieee_overflow 0
		.amdhsa_exception_fp_ieee_underflow 0
		.amdhsa_exception_fp_ieee_inexact 0
		.amdhsa_exception_int_div_zero 0
	.end_amdhsa_kernel
	.section	.text._ZN7rocprim17ROCPRIM_400000_NS6detail17trampoline_kernelINS0_14default_configENS1_32segmented_reduce_config_selectorIN3c108BFloat16EEEZNS1_21segmented_reduce_implIS3_PKS6_PS6_PKiS6_N6hipcub16HIPCUB_304000_NS6detail27convert_result_type_wrapperISA_SB_N2at6native12_GLOBAL__N_19CustomSumEEEEE10hipError_tPvRmT0_T1_jT2_SS_T4_T3_P12ihipStream_tbEUlT_E_NS1_11comp_targetILNS1_3genE3ELNS1_11target_archE908ELNS1_3gpuE7ELNS1_3repE0EEENS1_30default_config_static_selectorELNS0_4arch9wavefront6targetE0EEEvSR_,"axG",@progbits,_ZN7rocprim17ROCPRIM_400000_NS6detail17trampoline_kernelINS0_14default_configENS1_32segmented_reduce_config_selectorIN3c108BFloat16EEEZNS1_21segmented_reduce_implIS3_PKS6_PS6_PKiS6_N6hipcub16HIPCUB_304000_NS6detail27convert_result_type_wrapperISA_SB_N2at6native12_GLOBAL__N_19CustomSumEEEEE10hipError_tPvRmT0_T1_jT2_SS_T4_T3_P12ihipStream_tbEUlT_E_NS1_11comp_targetILNS1_3genE3ELNS1_11target_archE908ELNS1_3gpuE7ELNS1_3repE0EEENS1_30default_config_static_selectorELNS0_4arch9wavefront6targetE0EEEvSR_,comdat
.Lfunc_end123:
	.size	_ZN7rocprim17ROCPRIM_400000_NS6detail17trampoline_kernelINS0_14default_configENS1_32segmented_reduce_config_selectorIN3c108BFloat16EEEZNS1_21segmented_reduce_implIS3_PKS6_PS6_PKiS6_N6hipcub16HIPCUB_304000_NS6detail27convert_result_type_wrapperISA_SB_N2at6native12_GLOBAL__N_19CustomSumEEEEE10hipError_tPvRmT0_T1_jT2_SS_T4_T3_P12ihipStream_tbEUlT_E_NS1_11comp_targetILNS1_3genE3ELNS1_11target_archE908ELNS1_3gpuE7ELNS1_3repE0EEENS1_30default_config_static_selectorELNS0_4arch9wavefront6targetE0EEEvSR_, .Lfunc_end123-_ZN7rocprim17ROCPRIM_400000_NS6detail17trampoline_kernelINS0_14default_configENS1_32segmented_reduce_config_selectorIN3c108BFloat16EEEZNS1_21segmented_reduce_implIS3_PKS6_PS6_PKiS6_N6hipcub16HIPCUB_304000_NS6detail27convert_result_type_wrapperISA_SB_N2at6native12_GLOBAL__N_19CustomSumEEEEE10hipError_tPvRmT0_T1_jT2_SS_T4_T3_P12ihipStream_tbEUlT_E_NS1_11comp_targetILNS1_3genE3ELNS1_11target_archE908ELNS1_3gpuE7ELNS1_3repE0EEENS1_30default_config_static_selectorELNS0_4arch9wavefront6targetE0EEEvSR_
                                        ; -- End function
	.set _ZN7rocprim17ROCPRIM_400000_NS6detail17trampoline_kernelINS0_14default_configENS1_32segmented_reduce_config_selectorIN3c108BFloat16EEEZNS1_21segmented_reduce_implIS3_PKS6_PS6_PKiS6_N6hipcub16HIPCUB_304000_NS6detail27convert_result_type_wrapperISA_SB_N2at6native12_GLOBAL__N_19CustomSumEEEEE10hipError_tPvRmT0_T1_jT2_SS_T4_T3_P12ihipStream_tbEUlT_E_NS1_11comp_targetILNS1_3genE3ELNS1_11target_archE908ELNS1_3gpuE7ELNS1_3repE0EEENS1_30default_config_static_selectorELNS0_4arch9wavefront6targetE0EEEvSR_.num_vgpr, 0
	.set _ZN7rocprim17ROCPRIM_400000_NS6detail17trampoline_kernelINS0_14default_configENS1_32segmented_reduce_config_selectorIN3c108BFloat16EEEZNS1_21segmented_reduce_implIS3_PKS6_PS6_PKiS6_N6hipcub16HIPCUB_304000_NS6detail27convert_result_type_wrapperISA_SB_N2at6native12_GLOBAL__N_19CustomSumEEEEE10hipError_tPvRmT0_T1_jT2_SS_T4_T3_P12ihipStream_tbEUlT_E_NS1_11comp_targetILNS1_3genE3ELNS1_11target_archE908ELNS1_3gpuE7ELNS1_3repE0EEENS1_30default_config_static_selectorELNS0_4arch9wavefront6targetE0EEEvSR_.num_agpr, 0
	.set _ZN7rocprim17ROCPRIM_400000_NS6detail17trampoline_kernelINS0_14default_configENS1_32segmented_reduce_config_selectorIN3c108BFloat16EEEZNS1_21segmented_reduce_implIS3_PKS6_PS6_PKiS6_N6hipcub16HIPCUB_304000_NS6detail27convert_result_type_wrapperISA_SB_N2at6native12_GLOBAL__N_19CustomSumEEEEE10hipError_tPvRmT0_T1_jT2_SS_T4_T3_P12ihipStream_tbEUlT_E_NS1_11comp_targetILNS1_3genE3ELNS1_11target_archE908ELNS1_3gpuE7ELNS1_3repE0EEENS1_30default_config_static_selectorELNS0_4arch9wavefront6targetE0EEEvSR_.numbered_sgpr, 0
	.set _ZN7rocprim17ROCPRIM_400000_NS6detail17trampoline_kernelINS0_14default_configENS1_32segmented_reduce_config_selectorIN3c108BFloat16EEEZNS1_21segmented_reduce_implIS3_PKS6_PS6_PKiS6_N6hipcub16HIPCUB_304000_NS6detail27convert_result_type_wrapperISA_SB_N2at6native12_GLOBAL__N_19CustomSumEEEEE10hipError_tPvRmT0_T1_jT2_SS_T4_T3_P12ihipStream_tbEUlT_E_NS1_11comp_targetILNS1_3genE3ELNS1_11target_archE908ELNS1_3gpuE7ELNS1_3repE0EEENS1_30default_config_static_selectorELNS0_4arch9wavefront6targetE0EEEvSR_.num_named_barrier, 0
	.set _ZN7rocprim17ROCPRIM_400000_NS6detail17trampoline_kernelINS0_14default_configENS1_32segmented_reduce_config_selectorIN3c108BFloat16EEEZNS1_21segmented_reduce_implIS3_PKS6_PS6_PKiS6_N6hipcub16HIPCUB_304000_NS6detail27convert_result_type_wrapperISA_SB_N2at6native12_GLOBAL__N_19CustomSumEEEEE10hipError_tPvRmT0_T1_jT2_SS_T4_T3_P12ihipStream_tbEUlT_E_NS1_11comp_targetILNS1_3genE3ELNS1_11target_archE908ELNS1_3gpuE7ELNS1_3repE0EEENS1_30default_config_static_selectorELNS0_4arch9wavefront6targetE0EEEvSR_.private_seg_size, 0
	.set _ZN7rocprim17ROCPRIM_400000_NS6detail17trampoline_kernelINS0_14default_configENS1_32segmented_reduce_config_selectorIN3c108BFloat16EEEZNS1_21segmented_reduce_implIS3_PKS6_PS6_PKiS6_N6hipcub16HIPCUB_304000_NS6detail27convert_result_type_wrapperISA_SB_N2at6native12_GLOBAL__N_19CustomSumEEEEE10hipError_tPvRmT0_T1_jT2_SS_T4_T3_P12ihipStream_tbEUlT_E_NS1_11comp_targetILNS1_3genE3ELNS1_11target_archE908ELNS1_3gpuE7ELNS1_3repE0EEENS1_30default_config_static_selectorELNS0_4arch9wavefront6targetE0EEEvSR_.uses_vcc, 0
	.set _ZN7rocprim17ROCPRIM_400000_NS6detail17trampoline_kernelINS0_14default_configENS1_32segmented_reduce_config_selectorIN3c108BFloat16EEEZNS1_21segmented_reduce_implIS3_PKS6_PS6_PKiS6_N6hipcub16HIPCUB_304000_NS6detail27convert_result_type_wrapperISA_SB_N2at6native12_GLOBAL__N_19CustomSumEEEEE10hipError_tPvRmT0_T1_jT2_SS_T4_T3_P12ihipStream_tbEUlT_E_NS1_11comp_targetILNS1_3genE3ELNS1_11target_archE908ELNS1_3gpuE7ELNS1_3repE0EEENS1_30default_config_static_selectorELNS0_4arch9wavefront6targetE0EEEvSR_.uses_flat_scratch, 0
	.set _ZN7rocprim17ROCPRIM_400000_NS6detail17trampoline_kernelINS0_14default_configENS1_32segmented_reduce_config_selectorIN3c108BFloat16EEEZNS1_21segmented_reduce_implIS3_PKS6_PS6_PKiS6_N6hipcub16HIPCUB_304000_NS6detail27convert_result_type_wrapperISA_SB_N2at6native12_GLOBAL__N_19CustomSumEEEEE10hipError_tPvRmT0_T1_jT2_SS_T4_T3_P12ihipStream_tbEUlT_E_NS1_11comp_targetILNS1_3genE3ELNS1_11target_archE908ELNS1_3gpuE7ELNS1_3repE0EEENS1_30default_config_static_selectorELNS0_4arch9wavefront6targetE0EEEvSR_.has_dyn_sized_stack, 0
	.set _ZN7rocprim17ROCPRIM_400000_NS6detail17trampoline_kernelINS0_14default_configENS1_32segmented_reduce_config_selectorIN3c108BFloat16EEEZNS1_21segmented_reduce_implIS3_PKS6_PS6_PKiS6_N6hipcub16HIPCUB_304000_NS6detail27convert_result_type_wrapperISA_SB_N2at6native12_GLOBAL__N_19CustomSumEEEEE10hipError_tPvRmT0_T1_jT2_SS_T4_T3_P12ihipStream_tbEUlT_E_NS1_11comp_targetILNS1_3genE3ELNS1_11target_archE908ELNS1_3gpuE7ELNS1_3repE0EEENS1_30default_config_static_selectorELNS0_4arch9wavefront6targetE0EEEvSR_.has_recursion, 0
	.set _ZN7rocprim17ROCPRIM_400000_NS6detail17trampoline_kernelINS0_14default_configENS1_32segmented_reduce_config_selectorIN3c108BFloat16EEEZNS1_21segmented_reduce_implIS3_PKS6_PS6_PKiS6_N6hipcub16HIPCUB_304000_NS6detail27convert_result_type_wrapperISA_SB_N2at6native12_GLOBAL__N_19CustomSumEEEEE10hipError_tPvRmT0_T1_jT2_SS_T4_T3_P12ihipStream_tbEUlT_E_NS1_11comp_targetILNS1_3genE3ELNS1_11target_archE908ELNS1_3gpuE7ELNS1_3repE0EEENS1_30default_config_static_selectorELNS0_4arch9wavefront6targetE0EEEvSR_.has_indirect_call, 0
	.section	.AMDGPU.csdata,"",@progbits
; Kernel info:
; codeLenInByte = 0
; TotalNumSgprs: 0
; NumVgprs: 0
; ScratchSize: 0
; MemoryBound: 0
; FloatMode: 240
; IeeeMode: 1
; LDSByteSize: 0 bytes/workgroup (compile time only)
; SGPRBlocks: 0
; VGPRBlocks: 0
; NumSGPRsForWavesPerEU: 1
; NumVGPRsForWavesPerEU: 1
; NamedBarCnt: 0
; Occupancy: 16
; WaveLimiterHint : 0
; COMPUTE_PGM_RSRC2:SCRATCH_EN: 0
; COMPUTE_PGM_RSRC2:USER_SGPR: 2
; COMPUTE_PGM_RSRC2:TRAP_HANDLER: 0
; COMPUTE_PGM_RSRC2:TGID_X_EN: 1
; COMPUTE_PGM_RSRC2:TGID_Y_EN: 0
; COMPUTE_PGM_RSRC2:TGID_Z_EN: 0
; COMPUTE_PGM_RSRC2:TIDIG_COMP_CNT: 0
	.section	.text._ZN7rocprim17ROCPRIM_400000_NS6detail17trampoline_kernelINS0_14default_configENS1_32segmented_reduce_config_selectorIN3c108BFloat16EEEZNS1_21segmented_reduce_implIS3_PKS6_PS6_PKiS6_N6hipcub16HIPCUB_304000_NS6detail27convert_result_type_wrapperISA_SB_N2at6native12_GLOBAL__N_19CustomSumEEEEE10hipError_tPvRmT0_T1_jT2_SS_T4_T3_P12ihipStream_tbEUlT_E_NS1_11comp_targetILNS1_3genE2ELNS1_11target_archE906ELNS1_3gpuE6ELNS1_3repE0EEENS1_30default_config_static_selectorELNS0_4arch9wavefront6targetE0EEEvSR_,"axG",@progbits,_ZN7rocprim17ROCPRIM_400000_NS6detail17trampoline_kernelINS0_14default_configENS1_32segmented_reduce_config_selectorIN3c108BFloat16EEEZNS1_21segmented_reduce_implIS3_PKS6_PS6_PKiS6_N6hipcub16HIPCUB_304000_NS6detail27convert_result_type_wrapperISA_SB_N2at6native12_GLOBAL__N_19CustomSumEEEEE10hipError_tPvRmT0_T1_jT2_SS_T4_T3_P12ihipStream_tbEUlT_E_NS1_11comp_targetILNS1_3genE2ELNS1_11target_archE906ELNS1_3gpuE6ELNS1_3repE0EEENS1_30default_config_static_selectorELNS0_4arch9wavefront6targetE0EEEvSR_,comdat
	.globl	_ZN7rocprim17ROCPRIM_400000_NS6detail17trampoline_kernelINS0_14default_configENS1_32segmented_reduce_config_selectorIN3c108BFloat16EEEZNS1_21segmented_reduce_implIS3_PKS6_PS6_PKiS6_N6hipcub16HIPCUB_304000_NS6detail27convert_result_type_wrapperISA_SB_N2at6native12_GLOBAL__N_19CustomSumEEEEE10hipError_tPvRmT0_T1_jT2_SS_T4_T3_P12ihipStream_tbEUlT_E_NS1_11comp_targetILNS1_3genE2ELNS1_11target_archE906ELNS1_3gpuE6ELNS1_3repE0EEENS1_30default_config_static_selectorELNS0_4arch9wavefront6targetE0EEEvSR_ ; -- Begin function _ZN7rocprim17ROCPRIM_400000_NS6detail17trampoline_kernelINS0_14default_configENS1_32segmented_reduce_config_selectorIN3c108BFloat16EEEZNS1_21segmented_reduce_implIS3_PKS6_PS6_PKiS6_N6hipcub16HIPCUB_304000_NS6detail27convert_result_type_wrapperISA_SB_N2at6native12_GLOBAL__N_19CustomSumEEEEE10hipError_tPvRmT0_T1_jT2_SS_T4_T3_P12ihipStream_tbEUlT_E_NS1_11comp_targetILNS1_3genE2ELNS1_11target_archE906ELNS1_3gpuE6ELNS1_3repE0EEENS1_30default_config_static_selectorELNS0_4arch9wavefront6targetE0EEEvSR_
	.p2align	8
	.type	_ZN7rocprim17ROCPRIM_400000_NS6detail17trampoline_kernelINS0_14default_configENS1_32segmented_reduce_config_selectorIN3c108BFloat16EEEZNS1_21segmented_reduce_implIS3_PKS6_PS6_PKiS6_N6hipcub16HIPCUB_304000_NS6detail27convert_result_type_wrapperISA_SB_N2at6native12_GLOBAL__N_19CustomSumEEEEE10hipError_tPvRmT0_T1_jT2_SS_T4_T3_P12ihipStream_tbEUlT_E_NS1_11comp_targetILNS1_3genE2ELNS1_11target_archE906ELNS1_3gpuE6ELNS1_3repE0EEENS1_30default_config_static_selectorELNS0_4arch9wavefront6targetE0EEEvSR_,@function
_ZN7rocprim17ROCPRIM_400000_NS6detail17trampoline_kernelINS0_14default_configENS1_32segmented_reduce_config_selectorIN3c108BFloat16EEEZNS1_21segmented_reduce_implIS3_PKS6_PS6_PKiS6_N6hipcub16HIPCUB_304000_NS6detail27convert_result_type_wrapperISA_SB_N2at6native12_GLOBAL__N_19CustomSumEEEEE10hipError_tPvRmT0_T1_jT2_SS_T4_T3_P12ihipStream_tbEUlT_E_NS1_11comp_targetILNS1_3genE2ELNS1_11target_archE906ELNS1_3gpuE6ELNS1_3repE0EEENS1_30default_config_static_selectorELNS0_4arch9wavefront6targetE0EEEvSR_: ; @_ZN7rocprim17ROCPRIM_400000_NS6detail17trampoline_kernelINS0_14default_configENS1_32segmented_reduce_config_selectorIN3c108BFloat16EEEZNS1_21segmented_reduce_implIS3_PKS6_PS6_PKiS6_N6hipcub16HIPCUB_304000_NS6detail27convert_result_type_wrapperISA_SB_N2at6native12_GLOBAL__N_19CustomSumEEEEE10hipError_tPvRmT0_T1_jT2_SS_T4_T3_P12ihipStream_tbEUlT_E_NS1_11comp_targetILNS1_3genE2ELNS1_11target_archE906ELNS1_3gpuE6ELNS1_3repE0EEENS1_30default_config_static_selectorELNS0_4arch9wavefront6targetE0EEEvSR_
; %bb.0:
	.section	.rodata,"a",@progbits
	.p2align	6, 0x0
	.amdhsa_kernel _ZN7rocprim17ROCPRIM_400000_NS6detail17trampoline_kernelINS0_14default_configENS1_32segmented_reduce_config_selectorIN3c108BFloat16EEEZNS1_21segmented_reduce_implIS3_PKS6_PS6_PKiS6_N6hipcub16HIPCUB_304000_NS6detail27convert_result_type_wrapperISA_SB_N2at6native12_GLOBAL__N_19CustomSumEEEEE10hipError_tPvRmT0_T1_jT2_SS_T4_T3_P12ihipStream_tbEUlT_E_NS1_11comp_targetILNS1_3genE2ELNS1_11target_archE906ELNS1_3gpuE6ELNS1_3repE0EEENS1_30default_config_static_selectorELNS0_4arch9wavefront6targetE0EEEvSR_
		.amdhsa_group_segment_fixed_size 0
		.amdhsa_private_segment_fixed_size 0
		.amdhsa_kernarg_size 48
		.amdhsa_user_sgpr_count 2
		.amdhsa_user_sgpr_dispatch_ptr 0
		.amdhsa_user_sgpr_queue_ptr 0
		.amdhsa_user_sgpr_kernarg_segment_ptr 1
		.amdhsa_user_sgpr_dispatch_id 0
		.amdhsa_user_sgpr_kernarg_preload_length 0
		.amdhsa_user_sgpr_kernarg_preload_offset 0
		.amdhsa_user_sgpr_private_segment_size 0
		.amdhsa_wavefront_size32 1
		.amdhsa_uses_dynamic_stack 0
		.amdhsa_enable_private_segment 0
		.amdhsa_system_sgpr_workgroup_id_x 1
		.amdhsa_system_sgpr_workgroup_id_y 0
		.amdhsa_system_sgpr_workgroup_id_z 0
		.amdhsa_system_sgpr_workgroup_info 0
		.amdhsa_system_vgpr_workitem_id 0
		.amdhsa_next_free_vgpr 1
		.amdhsa_next_free_sgpr 1
		.amdhsa_named_barrier_count 0
		.amdhsa_reserve_vcc 0
		.amdhsa_float_round_mode_32 0
		.amdhsa_float_round_mode_16_64 0
		.amdhsa_float_denorm_mode_32 3
		.amdhsa_float_denorm_mode_16_64 3
		.amdhsa_fp16_overflow 0
		.amdhsa_memory_ordered 1
		.amdhsa_forward_progress 1
		.amdhsa_inst_pref_size 0
		.amdhsa_round_robin_scheduling 0
		.amdhsa_exception_fp_ieee_invalid_op 0
		.amdhsa_exception_fp_denorm_src 0
		.amdhsa_exception_fp_ieee_div_zero 0
		.amdhsa_exception_fp_ieee_overflow 0
		.amdhsa_exception_fp_ieee_underflow 0
		.amdhsa_exception_fp_ieee_inexact 0
		.amdhsa_exception_int_div_zero 0
	.end_amdhsa_kernel
	.section	.text._ZN7rocprim17ROCPRIM_400000_NS6detail17trampoline_kernelINS0_14default_configENS1_32segmented_reduce_config_selectorIN3c108BFloat16EEEZNS1_21segmented_reduce_implIS3_PKS6_PS6_PKiS6_N6hipcub16HIPCUB_304000_NS6detail27convert_result_type_wrapperISA_SB_N2at6native12_GLOBAL__N_19CustomSumEEEEE10hipError_tPvRmT0_T1_jT2_SS_T4_T3_P12ihipStream_tbEUlT_E_NS1_11comp_targetILNS1_3genE2ELNS1_11target_archE906ELNS1_3gpuE6ELNS1_3repE0EEENS1_30default_config_static_selectorELNS0_4arch9wavefront6targetE0EEEvSR_,"axG",@progbits,_ZN7rocprim17ROCPRIM_400000_NS6detail17trampoline_kernelINS0_14default_configENS1_32segmented_reduce_config_selectorIN3c108BFloat16EEEZNS1_21segmented_reduce_implIS3_PKS6_PS6_PKiS6_N6hipcub16HIPCUB_304000_NS6detail27convert_result_type_wrapperISA_SB_N2at6native12_GLOBAL__N_19CustomSumEEEEE10hipError_tPvRmT0_T1_jT2_SS_T4_T3_P12ihipStream_tbEUlT_E_NS1_11comp_targetILNS1_3genE2ELNS1_11target_archE906ELNS1_3gpuE6ELNS1_3repE0EEENS1_30default_config_static_selectorELNS0_4arch9wavefront6targetE0EEEvSR_,comdat
.Lfunc_end124:
	.size	_ZN7rocprim17ROCPRIM_400000_NS6detail17trampoline_kernelINS0_14default_configENS1_32segmented_reduce_config_selectorIN3c108BFloat16EEEZNS1_21segmented_reduce_implIS3_PKS6_PS6_PKiS6_N6hipcub16HIPCUB_304000_NS6detail27convert_result_type_wrapperISA_SB_N2at6native12_GLOBAL__N_19CustomSumEEEEE10hipError_tPvRmT0_T1_jT2_SS_T4_T3_P12ihipStream_tbEUlT_E_NS1_11comp_targetILNS1_3genE2ELNS1_11target_archE906ELNS1_3gpuE6ELNS1_3repE0EEENS1_30default_config_static_selectorELNS0_4arch9wavefront6targetE0EEEvSR_, .Lfunc_end124-_ZN7rocprim17ROCPRIM_400000_NS6detail17trampoline_kernelINS0_14default_configENS1_32segmented_reduce_config_selectorIN3c108BFloat16EEEZNS1_21segmented_reduce_implIS3_PKS6_PS6_PKiS6_N6hipcub16HIPCUB_304000_NS6detail27convert_result_type_wrapperISA_SB_N2at6native12_GLOBAL__N_19CustomSumEEEEE10hipError_tPvRmT0_T1_jT2_SS_T4_T3_P12ihipStream_tbEUlT_E_NS1_11comp_targetILNS1_3genE2ELNS1_11target_archE906ELNS1_3gpuE6ELNS1_3repE0EEENS1_30default_config_static_selectorELNS0_4arch9wavefront6targetE0EEEvSR_
                                        ; -- End function
	.set _ZN7rocprim17ROCPRIM_400000_NS6detail17trampoline_kernelINS0_14default_configENS1_32segmented_reduce_config_selectorIN3c108BFloat16EEEZNS1_21segmented_reduce_implIS3_PKS6_PS6_PKiS6_N6hipcub16HIPCUB_304000_NS6detail27convert_result_type_wrapperISA_SB_N2at6native12_GLOBAL__N_19CustomSumEEEEE10hipError_tPvRmT0_T1_jT2_SS_T4_T3_P12ihipStream_tbEUlT_E_NS1_11comp_targetILNS1_3genE2ELNS1_11target_archE906ELNS1_3gpuE6ELNS1_3repE0EEENS1_30default_config_static_selectorELNS0_4arch9wavefront6targetE0EEEvSR_.num_vgpr, 0
	.set _ZN7rocprim17ROCPRIM_400000_NS6detail17trampoline_kernelINS0_14default_configENS1_32segmented_reduce_config_selectorIN3c108BFloat16EEEZNS1_21segmented_reduce_implIS3_PKS6_PS6_PKiS6_N6hipcub16HIPCUB_304000_NS6detail27convert_result_type_wrapperISA_SB_N2at6native12_GLOBAL__N_19CustomSumEEEEE10hipError_tPvRmT0_T1_jT2_SS_T4_T3_P12ihipStream_tbEUlT_E_NS1_11comp_targetILNS1_3genE2ELNS1_11target_archE906ELNS1_3gpuE6ELNS1_3repE0EEENS1_30default_config_static_selectorELNS0_4arch9wavefront6targetE0EEEvSR_.num_agpr, 0
	.set _ZN7rocprim17ROCPRIM_400000_NS6detail17trampoline_kernelINS0_14default_configENS1_32segmented_reduce_config_selectorIN3c108BFloat16EEEZNS1_21segmented_reduce_implIS3_PKS6_PS6_PKiS6_N6hipcub16HIPCUB_304000_NS6detail27convert_result_type_wrapperISA_SB_N2at6native12_GLOBAL__N_19CustomSumEEEEE10hipError_tPvRmT0_T1_jT2_SS_T4_T3_P12ihipStream_tbEUlT_E_NS1_11comp_targetILNS1_3genE2ELNS1_11target_archE906ELNS1_3gpuE6ELNS1_3repE0EEENS1_30default_config_static_selectorELNS0_4arch9wavefront6targetE0EEEvSR_.numbered_sgpr, 0
	.set _ZN7rocprim17ROCPRIM_400000_NS6detail17trampoline_kernelINS0_14default_configENS1_32segmented_reduce_config_selectorIN3c108BFloat16EEEZNS1_21segmented_reduce_implIS3_PKS6_PS6_PKiS6_N6hipcub16HIPCUB_304000_NS6detail27convert_result_type_wrapperISA_SB_N2at6native12_GLOBAL__N_19CustomSumEEEEE10hipError_tPvRmT0_T1_jT2_SS_T4_T3_P12ihipStream_tbEUlT_E_NS1_11comp_targetILNS1_3genE2ELNS1_11target_archE906ELNS1_3gpuE6ELNS1_3repE0EEENS1_30default_config_static_selectorELNS0_4arch9wavefront6targetE0EEEvSR_.num_named_barrier, 0
	.set _ZN7rocprim17ROCPRIM_400000_NS6detail17trampoline_kernelINS0_14default_configENS1_32segmented_reduce_config_selectorIN3c108BFloat16EEEZNS1_21segmented_reduce_implIS3_PKS6_PS6_PKiS6_N6hipcub16HIPCUB_304000_NS6detail27convert_result_type_wrapperISA_SB_N2at6native12_GLOBAL__N_19CustomSumEEEEE10hipError_tPvRmT0_T1_jT2_SS_T4_T3_P12ihipStream_tbEUlT_E_NS1_11comp_targetILNS1_3genE2ELNS1_11target_archE906ELNS1_3gpuE6ELNS1_3repE0EEENS1_30default_config_static_selectorELNS0_4arch9wavefront6targetE0EEEvSR_.private_seg_size, 0
	.set _ZN7rocprim17ROCPRIM_400000_NS6detail17trampoline_kernelINS0_14default_configENS1_32segmented_reduce_config_selectorIN3c108BFloat16EEEZNS1_21segmented_reduce_implIS3_PKS6_PS6_PKiS6_N6hipcub16HIPCUB_304000_NS6detail27convert_result_type_wrapperISA_SB_N2at6native12_GLOBAL__N_19CustomSumEEEEE10hipError_tPvRmT0_T1_jT2_SS_T4_T3_P12ihipStream_tbEUlT_E_NS1_11comp_targetILNS1_3genE2ELNS1_11target_archE906ELNS1_3gpuE6ELNS1_3repE0EEENS1_30default_config_static_selectorELNS0_4arch9wavefront6targetE0EEEvSR_.uses_vcc, 0
	.set _ZN7rocprim17ROCPRIM_400000_NS6detail17trampoline_kernelINS0_14default_configENS1_32segmented_reduce_config_selectorIN3c108BFloat16EEEZNS1_21segmented_reduce_implIS3_PKS6_PS6_PKiS6_N6hipcub16HIPCUB_304000_NS6detail27convert_result_type_wrapperISA_SB_N2at6native12_GLOBAL__N_19CustomSumEEEEE10hipError_tPvRmT0_T1_jT2_SS_T4_T3_P12ihipStream_tbEUlT_E_NS1_11comp_targetILNS1_3genE2ELNS1_11target_archE906ELNS1_3gpuE6ELNS1_3repE0EEENS1_30default_config_static_selectorELNS0_4arch9wavefront6targetE0EEEvSR_.uses_flat_scratch, 0
	.set _ZN7rocprim17ROCPRIM_400000_NS6detail17trampoline_kernelINS0_14default_configENS1_32segmented_reduce_config_selectorIN3c108BFloat16EEEZNS1_21segmented_reduce_implIS3_PKS6_PS6_PKiS6_N6hipcub16HIPCUB_304000_NS6detail27convert_result_type_wrapperISA_SB_N2at6native12_GLOBAL__N_19CustomSumEEEEE10hipError_tPvRmT0_T1_jT2_SS_T4_T3_P12ihipStream_tbEUlT_E_NS1_11comp_targetILNS1_3genE2ELNS1_11target_archE906ELNS1_3gpuE6ELNS1_3repE0EEENS1_30default_config_static_selectorELNS0_4arch9wavefront6targetE0EEEvSR_.has_dyn_sized_stack, 0
	.set _ZN7rocprim17ROCPRIM_400000_NS6detail17trampoline_kernelINS0_14default_configENS1_32segmented_reduce_config_selectorIN3c108BFloat16EEEZNS1_21segmented_reduce_implIS3_PKS6_PS6_PKiS6_N6hipcub16HIPCUB_304000_NS6detail27convert_result_type_wrapperISA_SB_N2at6native12_GLOBAL__N_19CustomSumEEEEE10hipError_tPvRmT0_T1_jT2_SS_T4_T3_P12ihipStream_tbEUlT_E_NS1_11comp_targetILNS1_3genE2ELNS1_11target_archE906ELNS1_3gpuE6ELNS1_3repE0EEENS1_30default_config_static_selectorELNS0_4arch9wavefront6targetE0EEEvSR_.has_recursion, 0
	.set _ZN7rocprim17ROCPRIM_400000_NS6detail17trampoline_kernelINS0_14default_configENS1_32segmented_reduce_config_selectorIN3c108BFloat16EEEZNS1_21segmented_reduce_implIS3_PKS6_PS6_PKiS6_N6hipcub16HIPCUB_304000_NS6detail27convert_result_type_wrapperISA_SB_N2at6native12_GLOBAL__N_19CustomSumEEEEE10hipError_tPvRmT0_T1_jT2_SS_T4_T3_P12ihipStream_tbEUlT_E_NS1_11comp_targetILNS1_3genE2ELNS1_11target_archE906ELNS1_3gpuE6ELNS1_3repE0EEENS1_30default_config_static_selectorELNS0_4arch9wavefront6targetE0EEEvSR_.has_indirect_call, 0
	.section	.AMDGPU.csdata,"",@progbits
; Kernel info:
; codeLenInByte = 0
; TotalNumSgprs: 0
; NumVgprs: 0
; ScratchSize: 0
; MemoryBound: 0
; FloatMode: 240
; IeeeMode: 1
; LDSByteSize: 0 bytes/workgroup (compile time only)
; SGPRBlocks: 0
; VGPRBlocks: 0
; NumSGPRsForWavesPerEU: 1
; NumVGPRsForWavesPerEU: 1
; NamedBarCnt: 0
; Occupancy: 16
; WaveLimiterHint : 0
; COMPUTE_PGM_RSRC2:SCRATCH_EN: 0
; COMPUTE_PGM_RSRC2:USER_SGPR: 2
; COMPUTE_PGM_RSRC2:TRAP_HANDLER: 0
; COMPUTE_PGM_RSRC2:TGID_X_EN: 1
; COMPUTE_PGM_RSRC2:TGID_Y_EN: 0
; COMPUTE_PGM_RSRC2:TGID_Z_EN: 0
; COMPUTE_PGM_RSRC2:TIDIG_COMP_CNT: 0
	.section	.text._ZN7rocprim17ROCPRIM_400000_NS6detail17trampoline_kernelINS0_14default_configENS1_32segmented_reduce_config_selectorIN3c108BFloat16EEEZNS1_21segmented_reduce_implIS3_PKS6_PS6_PKiS6_N6hipcub16HIPCUB_304000_NS6detail27convert_result_type_wrapperISA_SB_N2at6native12_GLOBAL__N_19CustomSumEEEEE10hipError_tPvRmT0_T1_jT2_SS_T4_T3_P12ihipStream_tbEUlT_E_NS1_11comp_targetILNS1_3genE9ELNS1_11target_archE1100ELNS1_3gpuE3ELNS1_3repE0EEENS1_30default_config_static_selectorELNS0_4arch9wavefront6targetE0EEEvSR_,"axG",@progbits,_ZN7rocprim17ROCPRIM_400000_NS6detail17trampoline_kernelINS0_14default_configENS1_32segmented_reduce_config_selectorIN3c108BFloat16EEEZNS1_21segmented_reduce_implIS3_PKS6_PS6_PKiS6_N6hipcub16HIPCUB_304000_NS6detail27convert_result_type_wrapperISA_SB_N2at6native12_GLOBAL__N_19CustomSumEEEEE10hipError_tPvRmT0_T1_jT2_SS_T4_T3_P12ihipStream_tbEUlT_E_NS1_11comp_targetILNS1_3genE9ELNS1_11target_archE1100ELNS1_3gpuE3ELNS1_3repE0EEENS1_30default_config_static_selectorELNS0_4arch9wavefront6targetE0EEEvSR_,comdat
	.globl	_ZN7rocprim17ROCPRIM_400000_NS6detail17trampoline_kernelINS0_14default_configENS1_32segmented_reduce_config_selectorIN3c108BFloat16EEEZNS1_21segmented_reduce_implIS3_PKS6_PS6_PKiS6_N6hipcub16HIPCUB_304000_NS6detail27convert_result_type_wrapperISA_SB_N2at6native12_GLOBAL__N_19CustomSumEEEEE10hipError_tPvRmT0_T1_jT2_SS_T4_T3_P12ihipStream_tbEUlT_E_NS1_11comp_targetILNS1_3genE9ELNS1_11target_archE1100ELNS1_3gpuE3ELNS1_3repE0EEENS1_30default_config_static_selectorELNS0_4arch9wavefront6targetE0EEEvSR_ ; -- Begin function _ZN7rocprim17ROCPRIM_400000_NS6detail17trampoline_kernelINS0_14default_configENS1_32segmented_reduce_config_selectorIN3c108BFloat16EEEZNS1_21segmented_reduce_implIS3_PKS6_PS6_PKiS6_N6hipcub16HIPCUB_304000_NS6detail27convert_result_type_wrapperISA_SB_N2at6native12_GLOBAL__N_19CustomSumEEEEE10hipError_tPvRmT0_T1_jT2_SS_T4_T3_P12ihipStream_tbEUlT_E_NS1_11comp_targetILNS1_3genE9ELNS1_11target_archE1100ELNS1_3gpuE3ELNS1_3repE0EEENS1_30default_config_static_selectorELNS0_4arch9wavefront6targetE0EEEvSR_
	.p2align	8
	.type	_ZN7rocprim17ROCPRIM_400000_NS6detail17trampoline_kernelINS0_14default_configENS1_32segmented_reduce_config_selectorIN3c108BFloat16EEEZNS1_21segmented_reduce_implIS3_PKS6_PS6_PKiS6_N6hipcub16HIPCUB_304000_NS6detail27convert_result_type_wrapperISA_SB_N2at6native12_GLOBAL__N_19CustomSumEEEEE10hipError_tPvRmT0_T1_jT2_SS_T4_T3_P12ihipStream_tbEUlT_E_NS1_11comp_targetILNS1_3genE9ELNS1_11target_archE1100ELNS1_3gpuE3ELNS1_3repE0EEENS1_30default_config_static_selectorELNS0_4arch9wavefront6targetE0EEEvSR_,@function
_ZN7rocprim17ROCPRIM_400000_NS6detail17trampoline_kernelINS0_14default_configENS1_32segmented_reduce_config_selectorIN3c108BFloat16EEEZNS1_21segmented_reduce_implIS3_PKS6_PS6_PKiS6_N6hipcub16HIPCUB_304000_NS6detail27convert_result_type_wrapperISA_SB_N2at6native12_GLOBAL__N_19CustomSumEEEEE10hipError_tPvRmT0_T1_jT2_SS_T4_T3_P12ihipStream_tbEUlT_E_NS1_11comp_targetILNS1_3genE9ELNS1_11target_archE1100ELNS1_3gpuE3ELNS1_3repE0EEENS1_30default_config_static_selectorELNS0_4arch9wavefront6targetE0EEEvSR_: ; @_ZN7rocprim17ROCPRIM_400000_NS6detail17trampoline_kernelINS0_14default_configENS1_32segmented_reduce_config_selectorIN3c108BFloat16EEEZNS1_21segmented_reduce_implIS3_PKS6_PS6_PKiS6_N6hipcub16HIPCUB_304000_NS6detail27convert_result_type_wrapperISA_SB_N2at6native12_GLOBAL__N_19CustomSumEEEEE10hipError_tPvRmT0_T1_jT2_SS_T4_T3_P12ihipStream_tbEUlT_E_NS1_11comp_targetILNS1_3genE9ELNS1_11target_archE1100ELNS1_3gpuE3ELNS1_3repE0EEENS1_30default_config_static_selectorELNS0_4arch9wavefront6targetE0EEEvSR_
; %bb.0:
	.section	.rodata,"a",@progbits
	.p2align	6, 0x0
	.amdhsa_kernel _ZN7rocprim17ROCPRIM_400000_NS6detail17trampoline_kernelINS0_14default_configENS1_32segmented_reduce_config_selectorIN3c108BFloat16EEEZNS1_21segmented_reduce_implIS3_PKS6_PS6_PKiS6_N6hipcub16HIPCUB_304000_NS6detail27convert_result_type_wrapperISA_SB_N2at6native12_GLOBAL__N_19CustomSumEEEEE10hipError_tPvRmT0_T1_jT2_SS_T4_T3_P12ihipStream_tbEUlT_E_NS1_11comp_targetILNS1_3genE9ELNS1_11target_archE1100ELNS1_3gpuE3ELNS1_3repE0EEENS1_30default_config_static_selectorELNS0_4arch9wavefront6targetE0EEEvSR_
		.amdhsa_group_segment_fixed_size 0
		.amdhsa_private_segment_fixed_size 0
		.amdhsa_kernarg_size 48
		.amdhsa_user_sgpr_count 2
		.amdhsa_user_sgpr_dispatch_ptr 0
		.amdhsa_user_sgpr_queue_ptr 0
		.amdhsa_user_sgpr_kernarg_segment_ptr 1
		.amdhsa_user_sgpr_dispatch_id 0
		.amdhsa_user_sgpr_kernarg_preload_length 0
		.amdhsa_user_sgpr_kernarg_preload_offset 0
		.amdhsa_user_sgpr_private_segment_size 0
		.amdhsa_wavefront_size32 1
		.amdhsa_uses_dynamic_stack 0
		.amdhsa_enable_private_segment 0
		.amdhsa_system_sgpr_workgroup_id_x 1
		.amdhsa_system_sgpr_workgroup_id_y 0
		.amdhsa_system_sgpr_workgroup_id_z 0
		.amdhsa_system_sgpr_workgroup_info 0
		.amdhsa_system_vgpr_workitem_id 0
		.amdhsa_next_free_vgpr 1
		.amdhsa_next_free_sgpr 1
		.amdhsa_named_barrier_count 0
		.amdhsa_reserve_vcc 0
		.amdhsa_float_round_mode_32 0
		.amdhsa_float_round_mode_16_64 0
		.amdhsa_float_denorm_mode_32 3
		.amdhsa_float_denorm_mode_16_64 3
		.amdhsa_fp16_overflow 0
		.amdhsa_memory_ordered 1
		.amdhsa_forward_progress 1
		.amdhsa_inst_pref_size 0
		.amdhsa_round_robin_scheduling 0
		.amdhsa_exception_fp_ieee_invalid_op 0
		.amdhsa_exception_fp_denorm_src 0
		.amdhsa_exception_fp_ieee_div_zero 0
		.amdhsa_exception_fp_ieee_overflow 0
		.amdhsa_exception_fp_ieee_underflow 0
		.amdhsa_exception_fp_ieee_inexact 0
		.amdhsa_exception_int_div_zero 0
	.end_amdhsa_kernel
	.section	.text._ZN7rocprim17ROCPRIM_400000_NS6detail17trampoline_kernelINS0_14default_configENS1_32segmented_reduce_config_selectorIN3c108BFloat16EEEZNS1_21segmented_reduce_implIS3_PKS6_PS6_PKiS6_N6hipcub16HIPCUB_304000_NS6detail27convert_result_type_wrapperISA_SB_N2at6native12_GLOBAL__N_19CustomSumEEEEE10hipError_tPvRmT0_T1_jT2_SS_T4_T3_P12ihipStream_tbEUlT_E_NS1_11comp_targetILNS1_3genE9ELNS1_11target_archE1100ELNS1_3gpuE3ELNS1_3repE0EEENS1_30default_config_static_selectorELNS0_4arch9wavefront6targetE0EEEvSR_,"axG",@progbits,_ZN7rocprim17ROCPRIM_400000_NS6detail17trampoline_kernelINS0_14default_configENS1_32segmented_reduce_config_selectorIN3c108BFloat16EEEZNS1_21segmented_reduce_implIS3_PKS6_PS6_PKiS6_N6hipcub16HIPCUB_304000_NS6detail27convert_result_type_wrapperISA_SB_N2at6native12_GLOBAL__N_19CustomSumEEEEE10hipError_tPvRmT0_T1_jT2_SS_T4_T3_P12ihipStream_tbEUlT_E_NS1_11comp_targetILNS1_3genE9ELNS1_11target_archE1100ELNS1_3gpuE3ELNS1_3repE0EEENS1_30default_config_static_selectorELNS0_4arch9wavefront6targetE0EEEvSR_,comdat
.Lfunc_end125:
	.size	_ZN7rocprim17ROCPRIM_400000_NS6detail17trampoline_kernelINS0_14default_configENS1_32segmented_reduce_config_selectorIN3c108BFloat16EEEZNS1_21segmented_reduce_implIS3_PKS6_PS6_PKiS6_N6hipcub16HIPCUB_304000_NS6detail27convert_result_type_wrapperISA_SB_N2at6native12_GLOBAL__N_19CustomSumEEEEE10hipError_tPvRmT0_T1_jT2_SS_T4_T3_P12ihipStream_tbEUlT_E_NS1_11comp_targetILNS1_3genE9ELNS1_11target_archE1100ELNS1_3gpuE3ELNS1_3repE0EEENS1_30default_config_static_selectorELNS0_4arch9wavefront6targetE0EEEvSR_, .Lfunc_end125-_ZN7rocprim17ROCPRIM_400000_NS6detail17trampoline_kernelINS0_14default_configENS1_32segmented_reduce_config_selectorIN3c108BFloat16EEEZNS1_21segmented_reduce_implIS3_PKS6_PS6_PKiS6_N6hipcub16HIPCUB_304000_NS6detail27convert_result_type_wrapperISA_SB_N2at6native12_GLOBAL__N_19CustomSumEEEEE10hipError_tPvRmT0_T1_jT2_SS_T4_T3_P12ihipStream_tbEUlT_E_NS1_11comp_targetILNS1_3genE9ELNS1_11target_archE1100ELNS1_3gpuE3ELNS1_3repE0EEENS1_30default_config_static_selectorELNS0_4arch9wavefront6targetE0EEEvSR_
                                        ; -- End function
	.set _ZN7rocprim17ROCPRIM_400000_NS6detail17trampoline_kernelINS0_14default_configENS1_32segmented_reduce_config_selectorIN3c108BFloat16EEEZNS1_21segmented_reduce_implIS3_PKS6_PS6_PKiS6_N6hipcub16HIPCUB_304000_NS6detail27convert_result_type_wrapperISA_SB_N2at6native12_GLOBAL__N_19CustomSumEEEEE10hipError_tPvRmT0_T1_jT2_SS_T4_T3_P12ihipStream_tbEUlT_E_NS1_11comp_targetILNS1_3genE9ELNS1_11target_archE1100ELNS1_3gpuE3ELNS1_3repE0EEENS1_30default_config_static_selectorELNS0_4arch9wavefront6targetE0EEEvSR_.num_vgpr, 0
	.set _ZN7rocprim17ROCPRIM_400000_NS6detail17trampoline_kernelINS0_14default_configENS1_32segmented_reduce_config_selectorIN3c108BFloat16EEEZNS1_21segmented_reduce_implIS3_PKS6_PS6_PKiS6_N6hipcub16HIPCUB_304000_NS6detail27convert_result_type_wrapperISA_SB_N2at6native12_GLOBAL__N_19CustomSumEEEEE10hipError_tPvRmT0_T1_jT2_SS_T4_T3_P12ihipStream_tbEUlT_E_NS1_11comp_targetILNS1_3genE9ELNS1_11target_archE1100ELNS1_3gpuE3ELNS1_3repE0EEENS1_30default_config_static_selectorELNS0_4arch9wavefront6targetE0EEEvSR_.num_agpr, 0
	.set _ZN7rocprim17ROCPRIM_400000_NS6detail17trampoline_kernelINS0_14default_configENS1_32segmented_reduce_config_selectorIN3c108BFloat16EEEZNS1_21segmented_reduce_implIS3_PKS6_PS6_PKiS6_N6hipcub16HIPCUB_304000_NS6detail27convert_result_type_wrapperISA_SB_N2at6native12_GLOBAL__N_19CustomSumEEEEE10hipError_tPvRmT0_T1_jT2_SS_T4_T3_P12ihipStream_tbEUlT_E_NS1_11comp_targetILNS1_3genE9ELNS1_11target_archE1100ELNS1_3gpuE3ELNS1_3repE0EEENS1_30default_config_static_selectorELNS0_4arch9wavefront6targetE0EEEvSR_.numbered_sgpr, 0
	.set _ZN7rocprim17ROCPRIM_400000_NS6detail17trampoline_kernelINS0_14default_configENS1_32segmented_reduce_config_selectorIN3c108BFloat16EEEZNS1_21segmented_reduce_implIS3_PKS6_PS6_PKiS6_N6hipcub16HIPCUB_304000_NS6detail27convert_result_type_wrapperISA_SB_N2at6native12_GLOBAL__N_19CustomSumEEEEE10hipError_tPvRmT0_T1_jT2_SS_T4_T3_P12ihipStream_tbEUlT_E_NS1_11comp_targetILNS1_3genE9ELNS1_11target_archE1100ELNS1_3gpuE3ELNS1_3repE0EEENS1_30default_config_static_selectorELNS0_4arch9wavefront6targetE0EEEvSR_.num_named_barrier, 0
	.set _ZN7rocprim17ROCPRIM_400000_NS6detail17trampoline_kernelINS0_14default_configENS1_32segmented_reduce_config_selectorIN3c108BFloat16EEEZNS1_21segmented_reduce_implIS3_PKS6_PS6_PKiS6_N6hipcub16HIPCUB_304000_NS6detail27convert_result_type_wrapperISA_SB_N2at6native12_GLOBAL__N_19CustomSumEEEEE10hipError_tPvRmT0_T1_jT2_SS_T4_T3_P12ihipStream_tbEUlT_E_NS1_11comp_targetILNS1_3genE9ELNS1_11target_archE1100ELNS1_3gpuE3ELNS1_3repE0EEENS1_30default_config_static_selectorELNS0_4arch9wavefront6targetE0EEEvSR_.private_seg_size, 0
	.set _ZN7rocprim17ROCPRIM_400000_NS6detail17trampoline_kernelINS0_14default_configENS1_32segmented_reduce_config_selectorIN3c108BFloat16EEEZNS1_21segmented_reduce_implIS3_PKS6_PS6_PKiS6_N6hipcub16HIPCUB_304000_NS6detail27convert_result_type_wrapperISA_SB_N2at6native12_GLOBAL__N_19CustomSumEEEEE10hipError_tPvRmT0_T1_jT2_SS_T4_T3_P12ihipStream_tbEUlT_E_NS1_11comp_targetILNS1_3genE9ELNS1_11target_archE1100ELNS1_3gpuE3ELNS1_3repE0EEENS1_30default_config_static_selectorELNS0_4arch9wavefront6targetE0EEEvSR_.uses_vcc, 0
	.set _ZN7rocprim17ROCPRIM_400000_NS6detail17trampoline_kernelINS0_14default_configENS1_32segmented_reduce_config_selectorIN3c108BFloat16EEEZNS1_21segmented_reduce_implIS3_PKS6_PS6_PKiS6_N6hipcub16HIPCUB_304000_NS6detail27convert_result_type_wrapperISA_SB_N2at6native12_GLOBAL__N_19CustomSumEEEEE10hipError_tPvRmT0_T1_jT2_SS_T4_T3_P12ihipStream_tbEUlT_E_NS1_11comp_targetILNS1_3genE9ELNS1_11target_archE1100ELNS1_3gpuE3ELNS1_3repE0EEENS1_30default_config_static_selectorELNS0_4arch9wavefront6targetE0EEEvSR_.uses_flat_scratch, 0
	.set _ZN7rocprim17ROCPRIM_400000_NS6detail17trampoline_kernelINS0_14default_configENS1_32segmented_reduce_config_selectorIN3c108BFloat16EEEZNS1_21segmented_reduce_implIS3_PKS6_PS6_PKiS6_N6hipcub16HIPCUB_304000_NS6detail27convert_result_type_wrapperISA_SB_N2at6native12_GLOBAL__N_19CustomSumEEEEE10hipError_tPvRmT0_T1_jT2_SS_T4_T3_P12ihipStream_tbEUlT_E_NS1_11comp_targetILNS1_3genE9ELNS1_11target_archE1100ELNS1_3gpuE3ELNS1_3repE0EEENS1_30default_config_static_selectorELNS0_4arch9wavefront6targetE0EEEvSR_.has_dyn_sized_stack, 0
	.set _ZN7rocprim17ROCPRIM_400000_NS6detail17trampoline_kernelINS0_14default_configENS1_32segmented_reduce_config_selectorIN3c108BFloat16EEEZNS1_21segmented_reduce_implIS3_PKS6_PS6_PKiS6_N6hipcub16HIPCUB_304000_NS6detail27convert_result_type_wrapperISA_SB_N2at6native12_GLOBAL__N_19CustomSumEEEEE10hipError_tPvRmT0_T1_jT2_SS_T4_T3_P12ihipStream_tbEUlT_E_NS1_11comp_targetILNS1_3genE9ELNS1_11target_archE1100ELNS1_3gpuE3ELNS1_3repE0EEENS1_30default_config_static_selectorELNS0_4arch9wavefront6targetE0EEEvSR_.has_recursion, 0
	.set _ZN7rocprim17ROCPRIM_400000_NS6detail17trampoline_kernelINS0_14default_configENS1_32segmented_reduce_config_selectorIN3c108BFloat16EEEZNS1_21segmented_reduce_implIS3_PKS6_PS6_PKiS6_N6hipcub16HIPCUB_304000_NS6detail27convert_result_type_wrapperISA_SB_N2at6native12_GLOBAL__N_19CustomSumEEEEE10hipError_tPvRmT0_T1_jT2_SS_T4_T3_P12ihipStream_tbEUlT_E_NS1_11comp_targetILNS1_3genE9ELNS1_11target_archE1100ELNS1_3gpuE3ELNS1_3repE0EEENS1_30default_config_static_selectorELNS0_4arch9wavefront6targetE0EEEvSR_.has_indirect_call, 0
	.section	.AMDGPU.csdata,"",@progbits
; Kernel info:
; codeLenInByte = 0
; TotalNumSgprs: 0
; NumVgprs: 0
; ScratchSize: 0
; MemoryBound: 0
; FloatMode: 240
; IeeeMode: 1
; LDSByteSize: 0 bytes/workgroup (compile time only)
; SGPRBlocks: 0
; VGPRBlocks: 0
; NumSGPRsForWavesPerEU: 1
; NumVGPRsForWavesPerEU: 1
; NamedBarCnt: 0
; Occupancy: 16
; WaveLimiterHint : 0
; COMPUTE_PGM_RSRC2:SCRATCH_EN: 0
; COMPUTE_PGM_RSRC2:USER_SGPR: 2
; COMPUTE_PGM_RSRC2:TRAP_HANDLER: 0
; COMPUTE_PGM_RSRC2:TGID_X_EN: 1
; COMPUTE_PGM_RSRC2:TGID_Y_EN: 0
; COMPUTE_PGM_RSRC2:TGID_Z_EN: 0
; COMPUTE_PGM_RSRC2:TIDIG_COMP_CNT: 0
	.section	.text._ZN7rocprim17ROCPRIM_400000_NS6detail17trampoline_kernelINS0_14default_configENS1_32segmented_reduce_config_selectorIN3c108BFloat16EEEZNS1_21segmented_reduce_implIS3_PKS6_PS6_PKiS6_N6hipcub16HIPCUB_304000_NS6detail27convert_result_type_wrapperISA_SB_N2at6native12_GLOBAL__N_19CustomSumEEEEE10hipError_tPvRmT0_T1_jT2_SS_T4_T3_P12ihipStream_tbEUlT_E_NS1_11comp_targetILNS1_3genE8ELNS1_11target_archE1030ELNS1_3gpuE2ELNS1_3repE0EEENS1_30default_config_static_selectorELNS0_4arch9wavefront6targetE0EEEvSR_,"axG",@progbits,_ZN7rocprim17ROCPRIM_400000_NS6detail17trampoline_kernelINS0_14default_configENS1_32segmented_reduce_config_selectorIN3c108BFloat16EEEZNS1_21segmented_reduce_implIS3_PKS6_PS6_PKiS6_N6hipcub16HIPCUB_304000_NS6detail27convert_result_type_wrapperISA_SB_N2at6native12_GLOBAL__N_19CustomSumEEEEE10hipError_tPvRmT0_T1_jT2_SS_T4_T3_P12ihipStream_tbEUlT_E_NS1_11comp_targetILNS1_3genE8ELNS1_11target_archE1030ELNS1_3gpuE2ELNS1_3repE0EEENS1_30default_config_static_selectorELNS0_4arch9wavefront6targetE0EEEvSR_,comdat
	.globl	_ZN7rocprim17ROCPRIM_400000_NS6detail17trampoline_kernelINS0_14default_configENS1_32segmented_reduce_config_selectorIN3c108BFloat16EEEZNS1_21segmented_reduce_implIS3_PKS6_PS6_PKiS6_N6hipcub16HIPCUB_304000_NS6detail27convert_result_type_wrapperISA_SB_N2at6native12_GLOBAL__N_19CustomSumEEEEE10hipError_tPvRmT0_T1_jT2_SS_T4_T3_P12ihipStream_tbEUlT_E_NS1_11comp_targetILNS1_3genE8ELNS1_11target_archE1030ELNS1_3gpuE2ELNS1_3repE0EEENS1_30default_config_static_selectorELNS0_4arch9wavefront6targetE0EEEvSR_ ; -- Begin function _ZN7rocprim17ROCPRIM_400000_NS6detail17trampoline_kernelINS0_14default_configENS1_32segmented_reduce_config_selectorIN3c108BFloat16EEEZNS1_21segmented_reduce_implIS3_PKS6_PS6_PKiS6_N6hipcub16HIPCUB_304000_NS6detail27convert_result_type_wrapperISA_SB_N2at6native12_GLOBAL__N_19CustomSumEEEEE10hipError_tPvRmT0_T1_jT2_SS_T4_T3_P12ihipStream_tbEUlT_E_NS1_11comp_targetILNS1_3genE8ELNS1_11target_archE1030ELNS1_3gpuE2ELNS1_3repE0EEENS1_30default_config_static_selectorELNS0_4arch9wavefront6targetE0EEEvSR_
	.p2align	8
	.type	_ZN7rocprim17ROCPRIM_400000_NS6detail17trampoline_kernelINS0_14default_configENS1_32segmented_reduce_config_selectorIN3c108BFloat16EEEZNS1_21segmented_reduce_implIS3_PKS6_PS6_PKiS6_N6hipcub16HIPCUB_304000_NS6detail27convert_result_type_wrapperISA_SB_N2at6native12_GLOBAL__N_19CustomSumEEEEE10hipError_tPvRmT0_T1_jT2_SS_T4_T3_P12ihipStream_tbEUlT_E_NS1_11comp_targetILNS1_3genE8ELNS1_11target_archE1030ELNS1_3gpuE2ELNS1_3repE0EEENS1_30default_config_static_selectorELNS0_4arch9wavefront6targetE0EEEvSR_,@function
_ZN7rocprim17ROCPRIM_400000_NS6detail17trampoline_kernelINS0_14default_configENS1_32segmented_reduce_config_selectorIN3c108BFloat16EEEZNS1_21segmented_reduce_implIS3_PKS6_PS6_PKiS6_N6hipcub16HIPCUB_304000_NS6detail27convert_result_type_wrapperISA_SB_N2at6native12_GLOBAL__N_19CustomSumEEEEE10hipError_tPvRmT0_T1_jT2_SS_T4_T3_P12ihipStream_tbEUlT_E_NS1_11comp_targetILNS1_3genE8ELNS1_11target_archE1030ELNS1_3gpuE2ELNS1_3repE0EEENS1_30default_config_static_selectorELNS0_4arch9wavefront6targetE0EEEvSR_: ; @_ZN7rocprim17ROCPRIM_400000_NS6detail17trampoline_kernelINS0_14default_configENS1_32segmented_reduce_config_selectorIN3c108BFloat16EEEZNS1_21segmented_reduce_implIS3_PKS6_PS6_PKiS6_N6hipcub16HIPCUB_304000_NS6detail27convert_result_type_wrapperISA_SB_N2at6native12_GLOBAL__N_19CustomSumEEEEE10hipError_tPvRmT0_T1_jT2_SS_T4_T3_P12ihipStream_tbEUlT_E_NS1_11comp_targetILNS1_3genE8ELNS1_11target_archE1030ELNS1_3gpuE2ELNS1_3repE0EEENS1_30default_config_static_selectorELNS0_4arch9wavefront6targetE0EEEvSR_
; %bb.0:
	.section	.rodata,"a",@progbits
	.p2align	6, 0x0
	.amdhsa_kernel _ZN7rocprim17ROCPRIM_400000_NS6detail17trampoline_kernelINS0_14default_configENS1_32segmented_reduce_config_selectorIN3c108BFloat16EEEZNS1_21segmented_reduce_implIS3_PKS6_PS6_PKiS6_N6hipcub16HIPCUB_304000_NS6detail27convert_result_type_wrapperISA_SB_N2at6native12_GLOBAL__N_19CustomSumEEEEE10hipError_tPvRmT0_T1_jT2_SS_T4_T3_P12ihipStream_tbEUlT_E_NS1_11comp_targetILNS1_3genE8ELNS1_11target_archE1030ELNS1_3gpuE2ELNS1_3repE0EEENS1_30default_config_static_selectorELNS0_4arch9wavefront6targetE0EEEvSR_
		.amdhsa_group_segment_fixed_size 0
		.amdhsa_private_segment_fixed_size 0
		.amdhsa_kernarg_size 48
		.amdhsa_user_sgpr_count 2
		.amdhsa_user_sgpr_dispatch_ptr 0
		.amdhsa_user_sgpr_queue_ptr 0
		.amdhsa_user_sgpr_kernarg_segment_ptr 1
		.amdhsa_user_sgpr_dispatch_id 0
		.amdhsa_user_sgpr_kernarg_preload_length 0
		.amdhsa_user_sgpr_kernarg_preload_offset 0
		.amdhsa_user_sgpr_private_segment_size 0
		.amdhsa_wavefront_size32 1
		.amdhsa_uses_dynamic_stack 0
		.amdhsa_enable_private_segment 0
		.amdhsa_system_sgpr_workgroup_id_x 1
		.amdhsa_system_sgpr_workgroup_id_y 0
		.amdhsa_system_sgpr_workgroup_id_z 0
		.amdhsa_system_sgpr_workgroup_info 0
		.amdhsa_system_vgpr_workitem_id 0
		.amdhsa_next_free_vgpr 1
		.amdhsa_next_free_sgpr 1
		.amdhsa_named_barrier_count 0
		.amdhsa_reserve_vcc 0
		.amdhsa_float_round_mode_32 0
		.amdhsa_float_round_mode_16_64 0
		.amdhsa_float_denorm_mode_32 3
		.amdhsa_float_denorm_mode_16_64 3
		.amdhsa_fp16_overflow 0
		.amdhsa_memory_ordered 1
		.amdhsa_forward_progress 1
		.amdhsa_inst_pref_size 0
		.amdhsa_round_robin_scheduling 0
		.amdhsa_exception_fp_ieee_invalid_op 0
		.amdhsa_exception_fp_denorm_src 0
		.amdhsa_exception_fp_ieee_div_zero 0
		.amdhsa_exception_fp_ieee_overflow 0
		.amdhsa_exception_fp_ieee_underflow 0
		.amdhsa_exception_fp_ieee_inexact 0
		.amdhsa_exception_int_div_zero 0
	.end_amdhsa_kernel
	.section	.text._ZN7rocprim17ROCPRIM_400000_NS6detail17trampoline_kernelINS0_14default_configENS1_32segmented_reduce_config_selectorIN3c108BFloat16EEEZNS1_21segmented_reduce_implIS3_PKS6_PS6_PKiS6_N6hipcub16HIPCUB_304000_NS6detail27convert_result_type_wrapperISA_SB_N2at6native12_GLOBAL__N_19CustomSumEEEEE10hipError_tPvRmT0_T1_jT2_SS_T4_T3_P12ihipStream_tbEUlT_E_NS1_11comp_targetILNS1_3genE8ELNS1_11target_archE1030ELNS1_3gpuE2ELNS1_3repE0EEENS1_30default_config_static_selectorELNS0_4arch9wavefront6targetE0EEEvSR_,"axG",@progbits,_ZN7rocprim17ROCPRIM_400000_NS6detail17trampoline_kernelINS0_14default_configENS1_32segmented_reduce_config_selectorIN3c108BFloat16EEEZNS1_21segmented_reduce_implIS3_PKS6_PS6_PKiS6_N6hipcub16HIPCUB_304000_NS6detail27convert_result_type_wrapperISA_SB_N2at6native12_GLOBAL__N_19CustomSumEEEEE10hipError_tPvRmT0_T1_jT2_SS_T4_T3_P12ihipStream_tbEUlT_E_NS1_11comp_targetILNS1_3genE8ELNS1_11target_archE1030ELNS1_3gpuE2ELNS1_3repE0EEENS1_30default_config_static_selectorELNS0_4arch9wavefront6targetE0EEEvSR_,comdat
.Lfunc_end126:
	.size	_ZN7rocprim17ROCPRIM_400000_NS6detail17trampoline_kernelINS0_14default_configENS1_32segmented_reduce_config_selectorIN3c108BFloat16EEEZNS1_21segmented_reduce_implIS3_PKS6_PS6_PKiS6_N6hipcub16HIPCUB_304000_NS6detail27convert_result_type_wrapperISA_SB_N2at6native12_GLOBAL__N_19CustomSumEEEEE10hipError_tPvRmT0_T1_jT2_SS_T4_T3_P12ihipStream_tbEUlT_E_NS1_11comp_targetILNS1_3genE8ELNS1_11target_archE1030ELNS1_3gpuE2ELNS1_3repE0EEENS1_30default_config_static_selectorELNS0_4arch9wavefront6targetE0EEEvSR_, .Lfunc_end126-_ZN7rocprim17ROCPRIM_400000_NS6detail17trampoline_kernelINS0_14default_configENS1_32segmented_reduce_config_selectorIN3c108BFloat16EEEZNS1_21segmented_reduce_implIS3_PKS6_PS6_PKiS6_N6hipcub16HIPCUB_304000_NS6detail27convert_result_type_wrapperISA_SB_N2at6native12_GLOBAL__N_19CustomSumEEEEE10hipError_tPvRmT0_T1_jT2_SS_T4_T3_P12ihipStream_tbEUlT_E_NS1_11comp_targetILNS1_3genE8ELNS1_11target_archE1030ELNS1_3gpuE2ELNS1_3repE0EEENS1_30default_config_static_selectorELNS0_4arch9wavefront6targetE0EEEvSR_
                                        ; -- End function
	.set _ZN7rocprim17ROCPRIM_400000_NS6detail17trampoline_kernelINS0_14default_configENS1_32segmented_reduce_config_selectorIN3c108BFloat16EEEZNS1_21segmented_reduce_implIS3_PKS6_PS6_PKiS6_N6hipcub16HIPCUB_304000_NS6detail27convert_result_type_wrapperISA_SB_N2at6native12_GLOBAL__N_19CustomSumEEEEE10hipError_tPvRmT0_T1_jT2_SS_T4_T3_P12ihipStream_tbEUlT_E_NS1_11comp_targetILNS1_3genE8ELNS1_11target_archE1030ELNS1_3gpuE2ELNS1_3repE0EEENS1_30default_config_static_selectorELNS0_4arch9wavefront6targetE0EEEvSR_.num_vgpr, 0
	.set _ZN7rocprim17ROCPRIM_400000_NS6detail17trampoline_kernelINS0_14default_configENS1_32segmented_reduce_config_selectorIN3c108BFloat16EEEZNS1_21segmented_reduce_implIS3_PKS6_PS6_PKiS6_N6hipcub16HIPCUB_304000_NS6detail27convert_result_type_wrapperISA_SB_N2at6native12_GLOBAL__N_19CustomSumEEEEE10hipError_tPvRmT0_T1_jT2_SS_T4_T3_P12ihipStream_tbEUlT_E_NS1_11comp_targetILNS1_3genE8ELNS1_11target_archE1030ELNS1_3gpuE2ELNS1_3repE0EEENS1_30default_config_static_selectorELNS0_4arch9wavefront6targetE0EEEvSR_.num_agpr, 0
	.set _ZN7rocprim17ROCPRIM_400000_NS6detail17trampoline_kernelINS0_14default_configENS1_32segmented_reduce_config_selectorIN3c108BFloat16EEEZNS1_21segmented_reduce_implIS3_PKS6_PS6_PKiS6_N6hipcub16HIPCUB_304000_NS6detail27convert_result_type_wrapperISA_SB_N2at6native12_GLOBAL__N_19CustomSumEEEEE10hipError_tPvRmT0_T1_jT2_SS_T4_T3_P12ihipStream_tbEUlT_E_NS1_11comp_targetILNS1_3genE8ELNS1_11target_archE1030ELNS1_3gpuE2ELNS1_3repE0EEENS1_30default_config_static_selectorELNS0_4arch9wavefront6targetE0EEEvSR_.numbered_sgpr, 0
	.set _ZN7rocprim17ROCPRIM_400000_NS6detail17trampoline_kernelINS0_14default_configENS1_32segmented_reduce_config_selectorIN3c108BFloat16EEEZNS1_21segmented_reduce_implIS3_PKS6_PS6_PKiS6_N6hipcub16HIPCUB_304000_NS6detail27convert_result_type_wrapperISA_SB_N2at6native12_GLOBAL__N_19CustomSumEEEEE10hipError_tPvRmT0_T1_jT2_SS_T4_T3_P12ihipStream_tbEUlT_E_NS1_11comp_targetILNS1_3genE8ELNS1_11target_archE1030ELNS1_3gpuE2ELNS1_3repE0EEENS1_30default_config_static_selectorELNS0_4arch9wavefront6targetE0EEEvSR_.num_named_barrier, 0
	.set _ZN7rocprim17ROCPRIM_400000_NS6detail17trampoline_kernelINS0_14default_configENS1_32segmented_reduce_config_selectorIN3c108BFloat16EEEZNS1_21segmented_reduce_implIS3_PKS6_PS6_PKiS6_N6hipcub16HIPCUB_304000_NS6detail27convert_result_type_wrapperISA_SB_N2at6native12_GLOBAL__N_19CustomSumEEEEE10hipError_tPvRmT0_T1_jT2_SS_T4_T3_P12ihipStream_tbEUlT_E_NS1_11comp_targetILNS1_3genE8ELNS1_11target_archE1030ELNS1_3gpuE2ELNS1_3repE0EEENS1_30default_config_static_selectorELNS0_4arch9wavefront6targetE0EEEvSR_.private_seg_size, 0
	.set _ZN7rocprim17ROCPRIM_400000_NS6detail17trampoline_kernelINS0_14default_configENS1_32segmented_reduce_config_selectorIN3c108BFloat16EEEZNS1_21segmented_reduce_implIS3_PKS6_PS6_PKiS6_N6hipcub16HIPCUB_304000_NS6detail27convert_result_type_wrapperISA_SB_N2at6native12_GLOBAL__N_19CustomSumEEEEE10hipError_tPvRmT0_T1_jT2_SS_T4_T3_P12ihipStream_tbEUlT_E_NS1_11comp_targetILNS1_3genE8ELNS1_11target_archE1030ELNS1_3gpuE2ELNS1_3repE0EEENS1_30default_config_static_selectorELNS0_4arch9wavefront6targetE0EEEvSR_.uses_vcc, 0
	.set _ZN7rocprim17ROCPRIM_400000_NS6detail17trampoline_kernelINS0_14default_configENS1_32segmented_reduce_config_selectorIN3c108BFloat16EEEZNS1_21segmented_reduce_implIS3_PKS6_PS6_PKiS6_N6hipcub16HIPCUB_304000_NS6detail27convert_result_type_wrapperISA_SB_N2at6native12_GLOBAL__N_19CustomSumEEEEE10hipError_tPvRmT0_T1_jT2_SS_T4_T3_P12ihipStream_tbEUlT_E_NS1_11comp_targetILNS1_3genE8ELNS1_11target_archE1030ELNS1_3gpuE2ELNS1_3repE0EEENS1_30default_config_static_selectorELNS0_4arch9wavefront6targetE0EEEvSR_.uses_flat_scratch, 0
	.set _ZN7rocprim17ROCPRIM_400000_NS6detail17trampoline_kernelINS0_14default_configENS1_32segmented_reduce_config_selectorIN3c108BFloat16EEEZNS1_21segmented_reduce_implIS3_PKS6_PS6_PKiS6_N6hipcub16HIPCUB_304000_NS6detail27convert_result_type_wrapperISA_SB_N2at6native12_GLOBAL__N_19CustomSumEEEEE10hipError_tPvRmT0_T1_jT2_SS_T4_T3_P12ihipStream_tbEUlT_E_NS1_11comp_targetILNS1_3genE8ELNS1_11target_archE1030ELNS1_3gpuE2ELNS1_3repE0EEENS1_30default_config_static_selectorELNS0_4arch9wavefront6targetE0EEEvSR_.has_dyn_sized_stack, 0
	.set _ZN7rocprim17ROCPRIM_400000_NS6detail17trampoline_kernelINS0_14default_configENS1_32segmented_reduce_config_selectorIN3c108BFloat16EEEZNS1_21segmented_reduce_implIS3_PKS6_PS6_PKiS6_N6hipcub16HIPCUB_304000_NS6detail27convert_result_type_wrapperISA_SB_N2at6native12_GLOBAL__N_19CustomSumEEEEE10hipError_tPvRmT0_T1_jT2_SS_T4_T3_P12ihipStream_tbEUlT_E_NS1_11comp_targetILNS1_3genE8ELNS1_11target_archE1030ELNS1_3gpuE2ELNS1_3repE0EEENS1_30default_config_static_selectorELNS0_4arch9wavefront6targetE0EEEvSR_.has_recursion, 0
	.set _ZN7rocprim17ROCPRIM_400000_NS6detail17trampoline_kernelINS0_14default_configENS1_32segmented_reduce_config_selectorIN3c108BFloat16EEEZNS1_21segmented_reduce_implIS3_PKS6_PS6_PKiS6_N6hipcub16HIPCUB_304000_NS6detail27convert_result_type_wrapperISA_SB_N2at6native12_GLOBAL__N_19CustomSumEEEEE10hipError_tPvRmT0_T1_jT2_SS_T4_T3_P12ihipStream_tbEUlT_E_NS1_11comp_targetILNS1_3genE8ELNS1_11target_archE1030ELNS1_3gpuE2ELNS1_3repE0EEENS1_30default_config_static_selectorELNS0_4arch9wavefront6targetE0EEEvSR_.has_indirect_call, 0
	.section	.AMDGPU.csdata,"",@progbits
; Kernel info:
; codeLenInByte = 0
; TotalNumSgprs: 0
; NumVgprs: 0
; ScratchSize: 0
; MemoryBound: 0
; FloatMode: 240
; IeeeMode: 1
; LDSByteSize: 0 bytes/workgroup (compile time only)
; SGPRBlocks: 0
; VGPRBlocks: 0
; NumSGPRsForWavesPerEU: 1
; NumVGPRsForWavesPerEU: 1
; NamedBarCnt: 0
; Occupancy: 16
; WaveLimiterHint : 0
; COMPUTE_PGM_RSRC2:SCRATCH_EN: 0
; COMPUTE_PGM_RSRC2:USER_SGPR: 2
; COMPUTE_PGM_RSRC2:TRAP_HANDLER: 0
; COMPUTE_PGM_RSRC2:TGID_X_EN: 1
; COMPUTE_PGM_RSRC2:TGID_Y_EN: 0
; COMPUTE_PGM_RSRC2:TGID_Z_EN: 0
; COMPUTE_PGM_RSRC2:TIDIG_COMP_CNT: 0
	.section	.text._ZN2at6native12_GLOBAL__N_119post_sum_div_kernelIN3c108BFloat16EiEEvPT_PKT0_lbS5_,"axG",@progbits,_ZN2at6native12_GLOBAL__N_119post_sum_div_kernelIN3c108BFloat16EiEEvPT_PKT0_lbS5_,comdat
	.globl	_ZN2at6native12_GLOBAL__N_119post_sum_div_kernelIN3c108BFloat16EiEEvPT_PKT0_lbS5_ ; -- Begin function _ZN2at6native12_GLOBAL__N_119post_sum_div_kernelIN3c108BFloat16EiEEvPT_PKT0_lbS5_
	.p2align	8
	.type	_ZN2at6native12_GLOBAL__N_119post_sum_div_kernelIN3c108BFloat16EiEEvPT_PKT0_lbS5_,@function
_ZN2at6native12_GLOBAL__N_119post_sum_div_kernelIN3c108BFloat16EiEEvPT_PKT0_lbS5_: ; @_ZN2at6native12_GLOBAL__N_119post_sum_div_kernelIN3c108BFloat16EiEEvPT_PKT0_lbS5_
; %bb.0:
	s_clause 0x1
	s_load_b32 s4, s[0:1], 0x2c
	s_load_b64 s[2:3], s[0:1], 0x10
	s_bfe_u32 s5, ttmp6, 0x4000c
	s_and_b32 s6, ttmp6, 15
	s_add_co_i32 s5, s5, 1
	s_getreg_b32 s7, hwreg(HW_REG_IB_STS2, 6, 4)
	s_mul_i32 s5, ttmp9, s5
	v_mov_b32_e32 v1, 0
	s_add_co_i32 s6, s6, s5
	s_mov_b32 s9, 0
	s_wait_kmcnt 0x0
	s_and_b32 s8, s4, 0xffff
	s_cmp_eq_u32 s7, 0
	s_cselect_b32 s4, ttmp9, s6
	s_delay_alu instid0(SALU_CYCLE_1) | instskip(SKIP_1) | instid1(VALU_DEP_1)
	v_mad_nc_u64_u32 v[2:3], s8, s4, v[0:1]
	s_mov_b32 s4, exec_lo
	v_cmpx_gt_i64_e64 s[2:3], v[2:3]
	s_cbranch_execz .LBB127_12
; %bb.1:
	s_load_b32 s12, s[0:1], 0x18
	s_add_nc_u64 s[10:11], s[0:1], 32
	s_load_b32 s13, s[10:11], 0x0
	s_load_b128 s[4:7], s[0:1], 0x0
	v_dual_mov_b32 v0, v1 :: v_dual_mov_b32 v1, v2
	s_wait_xcnt 0x0
	s_mov_b32 s0, s9
	s_mov_b32 s11, s9
                                        ; implicit-def: $sgpr14
	s_wait_kmcnt 0x0
	s_and_b32 s1, 1, s12
	s_lshr_b32 s10, s12, 16
	s_cmp_eq_u32 s1, 1
	s_mul_i32 s8, s13, s8
	s_cselect_b32 s10, s10, 0x7fc0
	s_mov_b32 s1, s8
                                        ; implicit-def: $sgpr12
                                        ; implicit-def: $sgpr13
.LBB127_2:                              ; =>This Inner Loop Header: Depth=1
	v_ashrrev_i64 v[4:5], 30, v[0:1]
	s_or_b32 s13, s13, exec_lo
	s_or_b32 s14, s14, exec_lo
	s_mov_b32 s15, exec_lo
	s_delay_alu instid0(VALU_DEP_1)
	v_add_nc_u64_e32 v[4:5], s[6:7], v[4:5]
	global_load_b32 v6, v[4:5], off
	s_wait_loadcnt 0x0
	s_wait_xcnt 0x0
	v_cmpx_lt_i32_e32 -1, v6
	s_cbranch_execz .LBB127_10
; %bb.3:                                ;   in Loop: Header=BB127_2 Depth=1
	v_dual_mov_b32 v4, v1 :: v_dual_ashrrev_i32 v5, 31, v1
	v_mov_b32_e32 v7, s10
	s_mov_b32 s17, -1
	s_mov_b32 s16, exec_lo
	s_delay_alu instid0(VALU_DEP_2)
	v_lshl_add_u64 v[4:5], v[4:5], 1, s[4:5]
	v_cmpx_ne_u32_e32 0, v6
	s_cbranch_execz .LBB127_7
; %bb.4:                                ;   in Loop: Header=BB127_2 Depth=1
	global_load_u16 v7, v[4:5], off
	s_mov_b32 s17, 0
	s_mov_b32 s18, exec_lo
	s_wait_loadcnt 0x0
	v_lshlrev_b32_e32 v8, 16, v7
                                        ; implicit-def: $vgpr7
	s_wait_xcnt 0x0
	s_delay_alu instid0(VALU_DEP_1)
	v_cmpx_o_f32_e32 v8, v8
	s_cbranch_execz .LBB127_6
; %bb.5:                                ;   in Loop: Header=BB127_2 Depth=1
	v_cvt_f32_u32_e32 v6, v6
	s_mov_b32 s17, exec_lo
	s_delay_alu instid0(VALU_DEP_1) | instskip(NEXT) | instid1(VALU_DEP_1)
	v_bfe_u32 v7, v6, 16, 1
	v_add3_u32 v6, v6, v7, 0x7fff
	s_delay_alu instid0(VALU_DEP_1) | instskip(NEXT) | instid1(VALU_DEP_1)
	v_and_b32_e32 v6, 0xffff0000, v6
	v_div_scale_f32 v7, null, v6, v6, v8
	s_delay_alu instid0(VALU_DEP_1) | instskip(SKIP_1) | instid1(TRANS32_DEP_1)
	v_rcp_f32_e32 v9, v7
	v_nop
	v_fma_f32 v10, -v7, v9, 1.0
	s_delay_alu instid0(VALU_DEP_1) | instskip(SKIP_1) | instid1(VALU_DEP_1)
	v_fmac_f32_e32 v9, v10, v9
	v_div_scale_f32 v10, vcc_lo, v8, v6, v8
	v_mul_f32_e32 v11, v10, v9
	s_delay_alu instid0(VALU_DEP_1) | instskip(NEXT) | instid1(VALU_DEP_1)
	v_fma_f32 v12, -v7, v11, v10
	v_fmac_f32_e32 v11, v12, v9
	s_delay_alu instid0(VALU_DEP_1) | instskip(NEXT) | instid1(VALU_DEP_1)
	v_fma_f32 v7, -v7, v11, v10
	v_div_fmas_f32 v7, v7, v9, v11
	s_delay_alu instid0(VALU_DEP_1) | instskip(NEXT) | instid1(VALU_DEP_1)
	v_div_fixup_f32 v6, v7, v6, v8
	v_bfe_u32 v7, v6, 16, 1
	v_cmp_o_f32_e32 vcc_lo, v6, v6
	s_delay_alu instid0(VALU_DEP_2) | instskip(NEXT) | instid1(VALU_DEP_1)
	v_add3_u32 v7, v6, v7, 0x7fff
	v_lshrrev_b32_e32 v7, 16, v7
	s_delay_alu instid0(VALU_DEP_1)
	v_cndmask_b32_e32 v7, 0x7fc0, v7, vcc_lo
.LBB127_6:                              ;   in Loop: Header=BB127_2 Depth=1
	s_or_b32 exec_lo, exec_lo, s18
	s_delay_alu instid0(SALU_CYCLE_1)
	s_or_not1_b32 s17, s17, exec_lo
.LBB127_7:                              ;   in Loop: Header=BB127_2 Depth=1
	s_or_b32 exec_lo, exec_lo, s16
	s_and_saveexec_b32 s16, s17
	s_cbranch_execz .LBB127_9
; %bb.8:                                ;   in Loop: Header=BB127_2 Depth=1
	global_store_b16 v[4:5], v7, off
.LBB127_9:                              ;   in Loop: Header=BB127_2 Depth=1
	s_wait_xcnt 0x0
	s_or_b32 exec_lo, exec_lo, s16
	v_add_nc_u64_e32 v[2:3], s[8:9], v[2:3]
	v_add_nc_u64_e32 v[0:1], s[0:1], v[0:1]
	s_and_not1_b32 s14, s14, exec_lo
	s_and_not1_b32 s13, s13, exec_lo
	s_delay_alu instid0(VALU_DEP_2) | instskip(SKIP_1) | instid1(SALU_CYCLE_1)
	v_cmp_le_i64_e32 vcc_lo, s[2:3], v[2:3]
	s_and_b32 s16, vcc_lo, exec_lo
	s_or_b32 s14, s14, s16
.LBB127_10:                             ;   in Loop: Header=BB127_2 Depth=1
	s_or_b32 exec_lo, exec_lo, s15
	s_delay_alu instid0(SALU_CYCLE_1) | instskip(NEXT) | instid1(SALU_CYCLE_1)
	s_and_b32 s15, exec_lo, s14
	s_or_b32 s11, s15, s11
	s_and_not1_b32 s12, s12, exec_lo
	s_and_b32 s15, s13, exec_lo
	s_delay_alu instid0(SALU_CYCLE_1)
	s_or_b32 s12, s12, s15
	s_and_not1_b32 exec_lo, exec_lo, s11
	s_cbranch_execnz .LBB127_2
; %bb.11:
	s_or_b32 exec_lo, exec_lo, s11
	s_and_saveexec_b32 s0, s12
	s_delay_alu instid0(SALU_CYCLE_1)
	s_xor_b32 s0, exec_lo, s0
	s_cbranch_execnz .LBB127_13
.LBB127_12:
	s_endpgm
.LBB127_13:
	s_trap 2
	; divergent unreachable
	s_endpgm
	.section	.rodata,"a",@progbits
	.p2align	6, 0x0
	.amdhsa_kernel _ZN2at6native12_GLOBAL__N_119post_sum_div_kernelIN3c108BFloat16EiEEvPT_PKT0_lbS5_
		.amdhsa_group_segment_fixed_size 0
		.amdhsa_private_segment_fixed_size 0
		.amdhsa_kernarg_size 288
		.amdhsa_user_sgpr_count 2
		.amdhsa_user_sgpr_dispatch_ptr 0
		.amdhsa_user_sgpr_queue_ptr 0
		.amdhsa_user_sgpr_kernarg_segment_ptr 1
		.amdhsa_user_sgpr_dispatch_id 0
		.amdhsa_user_sgpr_kernarg_preload_length 0
		.amdhsa_user_sgpr_kernarg_preload_offset 0
		.amdhsa_user_sgpr_private_segment_size 0
		.amdhsa_wavefront_size32 1
		.amdhsa_uses_dynamic_stack 0
		.amdhsa_enable_private_segment 0
		.amdhsa_system_sgpr_workgroup_id_x 1
		.amdhsa_system_sgpr_workgroup_id_y 0
		.amdhsa_system_sgpr_workgroup_id_z 0
		.amdhsa_system_sgpr_workgroup_info 0
		.amdhsa_system_vgpr_workitem_id 0
		.amdhsa_next_free_vgpr 13
		.amdhsa_next_free_sgpr 19
		.amdhsa_named_barrier_count 0
		.amdhsa_reserve_vcc 1
		.amdhsa_float_round_mode_32 0
		.amdhsa_float_round_mode_16_64 0
		.amdhsa_float_denorm_mode_32 3
		.amdhsa_float_denorm_mode_16_64 3
		.amdhsa_fp16_overflow 0
		.amdhsa_memory_ordered 1
		.amdhsa_forward_progress 1
		.amdhsa_inst_pref_size 6
		.amdhsa_round_robin_scheduling 0
		.amdhsa_exception_fp_ieee_invalid_op 0
		.amdhsa_exception_fp_denorm_src 0
		.amdhsa_exception_fp_ieee_div_zero 0
		.amdhsa_exception_fp_ieee_overflow 0
		.amdhsa_exception_fp_ieee_underflow 0
		.amdhsa_exception_fp_ieee_inexact 0
		.amdhsa_exception_int_div_zero 0
	.end_amdhsa_kernel
	.section	.text._ZN2at6native12_GLOBAL__N_119post_sum_div_kernelIN3c108BFloat16EiEEvPT_PKT0_lbS5_,"axG",@progbits,_ZN2at6native12_GLOBAL__N_119post_sum_div_kernelIN3c108BFloat16EiEEvPT_PKT0_lbS5_,comdat
.Lfunc_end127:
	.size	_ZN2at6native12_GLOBAL__N_119post_sum_div_kernelIN3c108BFloat16EiEEvPT_PKT0_lbS5_, .Lfunc_end127-_ZN2at6native12_GLOBAL__N_119post_sum_div_kernelIN3c108BFloat16EiEEvPT_PKT0_lbS5_
                                        ; -- End function
	.set _ZN2at6native12_GLOBAL__N_119post_sum_div_kernelIN3c108BFloat16EiEEvPT_PKT0_lbS5_.num_vgpr, 13
	.set _ZN2at6native12_GLOBAL__N_119post_sum_div_kernelIN3c108BFloat16EiEEvPT_PKT0_lbS5_.num_agpr, 0
	.set _ZN2at6native12_GLOBAL__N_119post_sum_div_kernelIN3c108BFloat16EiEEvPT_PKT0_lbS5_.numbered_sgpr, 19
	.set _ZN2at6native12_GLOBAL__N_119post_sum_div_kernelIN3c108BFloat16EiEEvPT_PKT0_lbS5_.num_named_barrier, 0
	.set _ZN2at6native12_GLOBAL__N_119post_sum_div_kernelIN3c108BFloat16EiEEvPT_PKT0_lbS5_.private_seg_size, 0
	.set _ZN2at6native12_GLOBAL__N_119post_sum_div_kernelIN3c108BFloat16EiEEvPT_PKT0_lbS5_.uses_vcc, 1
	.set _ZN2at6native12_GLOBAL__N_119post_sum_div_kernelIN3c108BFloat16EiEEvPT_PKT0_lbS5_.uses_flat_scratch, 0
	.set _ZN2at6native12_GLOBAL__N_119post_sum_div_kernelIN3c108BFloat16EiEEvPT_PKT0_lbS5_.has_dyn_sized_stack, 0
	.set _ZN2at6native12_GLOBAL__N_119post_sum_div_kernelIN3c108BFloat16EiEEvPT_PKT0_lbS5_.has_recursion, 0
	.set _ZN2at6native12_GLOBAL__N_119post_sum_div_kernelIN3c108BFloat16EiEEvPT_PKT0_lbS5_.has_indirect_call, 0
	.section	.AMDGPU.csdata,"",@progbits
; Kernel info:
; codeLenInByte = 656
; TotalNumSgprs: 21
; NumVgprs: 13
; ScratchSize: 0
; MemoryBound: 0
; FloatMode: 240
; IeeeMode: 1
; LDSByteSize: 0 bytes/workgroup (compile time only)
; SGPRBlocks: 0
; VGPRBlocks: 0
; NumSGPRsForWavesPerEU: 21
; NumVGPRsForWavesPerEU: 13
; NamedBarCnt: 0
; Occupancy: 16
; WaveLimiterHint : 0
; COMPUTE_PGM_RSRC2:SCRATCH_EN: 0
; COMPUTE_PGM_RSRC2:USER_SGPR: 2
; COMPUTE_PGM_RSRC2:TRAP_HANDLER: 0
; COMPUTE_PGM_RSRC2:TGID_X_EN: 1
; COMPUTE_PGM_RSRC2:TGID_Y_EN: 0
; COMPUTE_PGM_RSRC2:TGID_Z_EN: 0
; COMPUTE_PGM_RSRC2:TIDIG_COMP_CNT: 0
	.section	.text._ZN7rocprim17ROCPRIM_400000_NS6detail17trampoline_kernelINS0_14default_configENS1_32segmented_reduce_config_selectorIN3c108BFloat16EEEZNS1_21segmented_reduce_implIS3_PKS6_PS6_PKiS6_N6hipcub16HIPCUB_304000_NS6detail27convert_result_type_wrapperISA_SB_N2at6native12_GLOBAL__N_19CustomMinEEEEE10hipError_tPvRmT0_T1_jT2_SS_T4_T3_P12ihipStream_tbEUlT_E_NS1_11comp_targetILNS1_3genE0ELNS1_11target_archE4294967295ELNS1_3gpuE0ELNS1_3repE0EEENS1_30default_config_static_selectorELNS0_4arch9wavefront6targetE0EEEvSR_,"axG",@progbits,_ZN7rocprim17ROCPRIM_400000_NS6detail17trampoline_kernelINS0_14default_configENS1_32segmented_reduce_config_selectorIN3c108BFloat16EEEZNS1_21segmented_reduce_implIS3_PKS6_PS6_PKiS6_N6hipcub16HIPCUB_304000_NS6detail27convert_result_type_wrapperISA_SB_N2at6native12_GLOBAL__N_19CustomMinEEEEE10hipError_tPvRmT0_T1_jT2_SS_T4_T3_P12ihipStream_tbEUlT_E_NS1_11comp_targetILNS1_3genE0ELNS1_11target_archE4294967295ELNS1_3gpuE0ELNS1_3repE0EEENS1_30default_config_static_selectorELNS0_4arch9wavefront6targetE0EEEvSR_,comdat
	.globl	_ZN7rocprim17ROCPRIM_400000_NS6detail17trampoline_kernelINS0_14default_configENS1_32segmented_reduce_config_selectorIN3c108BFloat16EEEZNS1_21segmented_reduce_implIS3_PKS6_PS6_PKiS6_N6hipcub16HIPCUB_304000_NS6detail27convert_result_type_wrapperISA_SB_N2at6native12_GLOBAL__N_19CustomMinEEEEE10hipError_tPvRmT0_T1_jT2_SS_T4_T3_P12ihipStream_tbEUlT_E_NS1_11comp_targetILNS1_3genE0ELNS1_11target_archE4294967295ELNS1_3gpuE0ELNS1_3repE0EEENS1_30default_config_static_selectorELNS0_4arch9wavefront6targetE0EEEvSR_ ; -- Begin function _ZN7rocprim17ROCPRIM_400000_NS6detail17trampoline_kernelINS0_14default_configENS1_32segmented_reduce_config_selectorIN3c108BFloat16EEEZNS1_21segmented_reduce_implIS3_PKS6_PS6_PKiS6_N6hipcub16HIPCUB_304000_NS6detail27convert_result_type_wrapperISA_SB_N2at6native12_GLOBAL__N_19CustomMinEEEEE10hipError_tPvRmT0_T1_jT2_SS_T4_T3_P12ihipStream_tbEUlT_E_NS1_11comp_targetILNS1_3genE0ELNS1_11target_archE4294967295ELNS1_3gpuE0ELNS1_3repE0EEENS1_30default_config_static_selectorELNS0_4arch9wavefront6targetE0EEEvSR_
	.p2align	8
	.type	_ZN7rocprim17ROCPRIM_400000_NS6detail17trampoline_kernelINS0_14default_configENS1_32segmented_reduce_config_selectorIN3c108BFloat16EEEZNS1_21segmented_reduce_implIS3_PKS6_PS6_PKiS6_N6hipcub16HIPCUB_304000_NS6detail27convert_result_type_wrapperISA_SB_N2at6native12_GLOBAL__N_19CustomMinEEEEE10hipError_tPvRmT0_T1_jT2_SS_T4_T3_P12ihipStream_tbEUlT_E_NS1_11comp_targetILNS1_3genE0ELNS1_11target_archE4294967295ELNS1_3gpuE0ELNS1_3repE0EEENS1_30default_config_static_selectorELNS0_4arch9wavefront6targetE0EEEvSR_,@function
_ZN7rocprim17ROCPRIM_400000_NS6detail17trampoline_kernelINS0_14default_configENS1_32segmented_reduce_config_selectorIN3c108BFloat16EEEZNS1_21segmented_reduce_implIS3_PKS6_PS6_PKiS6_N6hipcub16HIPCUB_304000_NS6detail27convert_result_type_wrapperISA_SB_N2at6native12_GLOBAL__N_19CustomMinEEEEE10hipError_tPvRmT0_T1_jT2_SS_T4_T3_P12ihipStream_tbEUlT_E_NS1_11comp_targetILNS1_3genE0ELNS1_11target_archE4294967295ELNS1_3gpuE0ELNS1_3repE0EEENS1_30default_config_static_selectorELNS0_4arch9wavefront6targetE0EEEvSR_: ; @_ZN7rocprim17ROCPRIM_400000_NS6detail17trampoline_kernelINS0_14default_configENS1_32segmented_reduce_config_selectorIN3c108BFloat16EEEZNS1_21segmented_reduce_implIS3_PKS6_PS6_PKiS6_N6hipcub16HIPCUB_304000_NS6detail27convert_result_type_wrapperISA_SB_N2at6native12_GLOBAL__N_19CustomMinEEEEE10hipError_tPvRmT0_T1_jT2_SS_T4_T3_P12ihipStream_tbEUlT_E_NS1_11comp_targetILNS1_3genE0ELNS1_11target_archE4294967295ELNS1_3gpuE0ELNS1_3repE0EEENS1_30default_config_static_selectorELNS0_4arch9wavefront6targetE0EEEvSR_
; %bb.0:
	v_mov_b32_e32 v1, 0
	s_clause 0x1
	s_load_b256 s[16:23], s[0:1], 0x0
	s_load_b64 s[2:3], s[0:1], 0x20
	s_bfe_u32 s4, ttmp6, 0x4000c
	s_and_b32 s5, ttmp6, 15
	s_add_co_i32 s4, s4, 1
	global_load_u16 v1, v1, s[0:1] offset:42
	s_mul_i32 s4, ttmp9, s4
	s_getreg_b32 s6, hwreg(HW_REG_IB_STS2, 6, 4)
	s_add_co_i32 s7, s5, s4
	s_mov_b32 s15, 0
	v_cmp_eq_u32_e32 vcc_lo, 0, v0
	s_wait_kmcnt 0x0
	s_lshl_b64 s[0:1], s[20:21], 2
	s_cmp_eq_u32 s6, 0
	s_add_nc_u64 s[4:5], s[22:23], s[0:1]
	s_cselect_b32 s22, ttmp9, s7
	s_add_nc_u64 s[0:1], s[2:3], s[0:1]
	s_load_b32 s24, s[4:5], s22 offset:0x0 scale_offset
	s_load_b32 s28, s[0:1], s22 offset:0x0 scale_offset
	s_mov_b32 s23, 0
	s_wait_xcnt 0x0
	s_mov_b32 s0, -1
	s_wait_kmcnt 0x0
	s_cmp_gt_i32 s28, s24
	s_cbranch_scc0 .LBB128_4
; %bb.1:
	s_and_not1_b32 vcc_lo, exec_lo, s0
	s_cbranch_vccz .LBB128_5
.LBB128_2:
	s_and_saveexec_b32 s0, s15
	s_cbranch_execnz .LBB128_408
.LBB128_3:
	s_endpgm
.LBB128_4:
	s_and_b32 s15, vcc_lo, exec_lo
	s_cbranch_execnz .LBB128_2
.LBB128_5:
	s_add_co_i32 s0, s24, 0x1000
	s_delay_alu instid0(SALU_CYCLE_1)
	s_cmp_le_i32 s0, s28
	s_cbranch_scc0 .LBB128_133
; %bb.6:
	s_ashr_i32 s25, s24, 31
	s_mov_b32 s1, exec_lo
	s_lshl_b64 s[2:3], s[24:25], 1
	s_delay_alu instid0(SALU_CYCLE_1)
	s_add_nc_u64 s[2:3], s[16:17], s[2:3]
	s_clause 0xf
	global_load_u16 v20, v0, s[2:3] scale_offset
	global_load_u16 v19, v0, s[2:3] offset:512 scale_offset
	global_load_u16 v18, v0, s[2:3] offset:1024 scale_offset
	;; [unrolled: 1-line block ×15, first 2 shown]
	s_wait_loadcnt 0xf
	v_dual_lshlrev_b32 v2, 16, v20 :: v_dual_mov_b32 v12, v20
	s_wait_xcnt 0x0
	s_delay_alu instid0(VALU_DEP_1)
	v_cmpx_o_f32_e32 v2, v2
	s_cbranch_execz .LBB128_10
; %bb.7:
	s_wait_loadcnt 0xe
	v_dual_mov_b32 v12, v19 :: v_dual_lshlrev_b32 v3, 16, v19
	s_mov_b32 s2, exec_lo
	s_delay_alu instid0(VALU_DEP_1)
	v_cmpx_o_f32_e32 v3, v3
; %bb.8:
	v_cmp_lt_f32_e32 vcc_lo, v3, v2
	v_cndmask_b32_e32 v12, v20, v19, vcc_lo
	s_delay_alu instid0(VALU_DEP_1)
	v_lshlrev_b32_e32 v3, 16, v12
; %bb.9:
	s_or_b32 exec_lo, exec_lo, s2
	s_delay_alu instid0(VALU_DEP_1)
	v_mov_b32_e32 v2, v3
.LBB128_10:
	s_or_b32 exec_lo, exec_lo, s1
	s_delay_alu instid0(SALU_CYCLE_1) | instskip(NEXT) | instid1(VALU_DEP_1)
	s_mov_b32 s1, exec_lo
	v_cmpx_o_f32_e32 v2, v2
	s_cbranch_execz .LBB128_14
; %bb.11:
	s_wait_loadcnt 0xd
	v_dual_lshlrev_b32 v3, 16, v18 :: v_dual_mov_b32 v21, v18
	s_mov_b32 s2, exec_lo
	s_delay_alu instid0(VALU_DEP_1)
	v_cmpx_o_f32_e32 v3, v3
; %bb.12:
	v_cmp_gt_f32_e32 vcc_lo, v2, v3
	v_cndmask_b32_e32 v21, v12, v18, vcc_lo
	s_delay_alu instid0(VALU_DEP_1)
	v_lshlrev_b32_e32 v3, 16, v21
; %bb.13:
	s_or_b32 exec_lo, exec_lo, s2
	s_delay_alu instid0(VALU_DEP_1)
	v_dual_mov_b32 v2, v3 :: v_dual_mov_b32 v12, v21
.LBB128_14:
	s_or_b32 exec_lo, exec_lo, s1
	s_delay_alu instid0(SALU_CYCLE_1) | instskip(NEXT) | instid1(VALU_DEP_1)
	s_mov_b32 s1, exec_lo
	v_cmpx_o_f32_e32 v2, v2
	s_cbranch_execz .LBB128_18
; %bb.15:
	s_wait_loadcnt 0xc
	v_dual_lshlrev_b32 v3, 16, v17 :: v_dual_mov_b32 v21, v17
	s_mov_b32 s2, exec_lo
	s_delay_alu instid0(VALU_DEP_1)
	v_cmpx_o_f32_e32 v3, v3
; %bb.16:
	v_cmp_gt_f32_e32 vcc_lo, v2, v3
	v_cndmask_b32_e32 v21, v12, v17, vcc_lo
	s_delay_alu instid0(VALU_DEP_1)
	v_lshlrev_b32_e32 v3, 16, v21
; %bb.17:
	s_or_b32 exec_lo, exec_lo, s2
	s_delay_alu instid0(VALU_DEP_1)
	v_dual_mov_b32 v2, v3 :: v_dual_mov_b32 v12, v21
.LBB128_18:
	;; [unrolled: 21-line block ×13, first 2 shown]
	s_or_b32 exec_lo, exec_lo, s1
	s_delay_alu instid0(SALU_CYCLE_1) | instskip(NEXT) | instid1(VALU_DEP_1)
	s_mov_b32 s1, exec_lo
	v_cmpx_o_f32_e32 v2, v2
	s_cbranch_execz .LBB128_66
; %bb.63:
	s_wait_loadcnt 0x0
	v_dual_lshlrev_b32 v21, 16, v4 :: v_dual_mov_b32 v3, v4
	s_mov_b32 s2, exec_lo
	s_delay_alu instid0(VALU_DEP_1)
	v_cmpx_o_f32_e32 v21, v21
; %bb.64:
	v_cmp_gt_f32_e32 vcc_lo, v2, v21
	v_cndmask_b32_e32 v3, v12, v4, vcc_lo
; %bb.65:
	s_or_b32 exec_lo, exec_lo, s2
	s_delay_alu instid0(VALU_DEP_1)
	v_mov_b32_e32 v12, v3
.LBB128_66:
	s_or_b32 exec_lo, exec_lo, s1
	s_add_co_i32 s1, s24, 0x2000
	s_delay_alu instid0(SALU_CYCLE_1)
	s_cmp_ge_i32 s1, s28
	s_cbranch_scc1 .LBB128_134
; %bb.67:
	v_dual_mov_b32 v3, 0 :: v_dual_lshlrev_b32 v2, 1, v0
	s_delay_alu instid0(VALU_DEP_1)
	v_add_nc_u64_e32 v[2:3], s[16:17], v[2:3]
	s_branch .LBB128_70
.LBB128_68:                             ;   in Loop: Header=BB128_70 Depth=1
	s_or_b32 exec_lo, exec_lo, s2
	s_delay_alu instid0(VALU_DEP_1)
	v_mov_b32_e32 v12, v22
.LBB128_69:                             ;   in Loop: Header=BB128_70 Depth=1
	s_or_b32 exec_lo, exec_lo, s1
	s_add_co_i32 s1, s0, 0x2000
	s_addk_co_i32 s0, 0x1000
	s_cmp_lt_i32 s1, s28
	s_cbranch_scc0 .LBB128_134
.LBB128_70:                             ; =>This Inner Loop Header: Depth=1
	s_ashr_i32 s1, s0, 31
	v_lshlrev_b32_e32 v21, 16, v12
	s_delay_alu instid0(VALU_DEP_2)
	v_lshl_add_u64 v[22:23], s[0:1], 1, v[2:3]
	s_mov_b32 s1, exec_lo
	s_wait_loadcnt 0xf
	global_load_u16 v20, v[22:23], off
	s_wait_loadcnt 0xf
	global_load_u16 v19, v[22:23], off offset:512
	s_wait_loadcnt 0xf
	global_load_u16 v18, v[22:23], off offset:1024
	;; [unrolled: 2-line block ×15, first 2 shown]
	s_wait_xcnt 0x0
	v_cmpx_o_f32_e32 v21, v21
	s_cbranch_execz .LBB128_74
; %bb.71:                               ;   in Loop: Header=BB128_70 Depth=1
	s_wait_loadcnt 0xf
	v_dual_mov_b32 v23, v20 :: v_dual_lshlrev_b32 v22, 16, v20
	s_mov_b32 s2, exec_lo
	s_delay_alu instid0(VALU_DEP_1)
	v_cmpx_o_f32_e32 v22, v22
; %bb.72:                               ;   in Loop: Header=BB128_70 Depth=1
	v_cmp_lt_f32_e32 vcc_lo, v22, v21
	v_cndmask_b32_e32 v23, v12, v20, vcc_lo
	s_delay_alu instid0(VALU_DEP_1)
	v_lshlrev_b32_e32 v22, 16, v23
; %bb.73:                               ;   in Loop: Header=BB128_70 Depth=1
	s_or_b32 exec_lo, exec_lo, s2
	s_delay_alu instid0(VALU_DEP_1)
	v_dual_mov_b32 v21, v22 :: v_dual_mov_b32 v12, v23
.LBB128_74:                             ;   in Loop: Header=BB128_70 Depth=1
	s_or_b32 exec_lo, exec_lo, s1
	s_delay_alu instid0(SALU_CYCLE_1) | instskip(NEXT) | instid1(VALU_DEP_1)
	s_mov_b32 s1, exec_lo
	v_cmpx_o_f32_e32 v21, v21
	s_cbranch_execz .LBB128_78
; %bb.75:                               ;   in Loop: Header=BB128_70 Depth=1
	s_wait_loadcnt 0xe
	v_dual_mov_b32 v23, v19 :: v_dual_lshlrev_b32 v22, 16, v19
	s_mov_b32 s2, exec_lo
	s_delay_alu instid0(VALU_DEP_1)
	v_cmpx_o_f32_e32 v22, v22
; %bb.76:                               ;   in Loop: Header=BB128_70 Depth=1
	v_cmp_gt_f32_e32 vcc_lo, v21, v22
	v_cndmask_b32_e32 v23, v12, v19, vcc_lo
	s_delay_alu instid0(VALU_DEP_1)
	v_lshlrev_b32_e32 v22, 16, v23
; %bb.77:                               ;   in Loop: Header=BB128_70 Depth=1
	s_or_b32 exec_lo, exec_lo, s2
	s_delay_alu instid0(VALU_DEP_1)
	v_dual_mov_b32 v21, v22 :: v_dual_mov_b32 v12, v23
.LBB128_78:                             ;   in Loop: Header=BB128_70 Depth=1
	s_or_b32 exec_lo, exec_lo, s1
	s_delay_alu instid0(SALU_CYCLE_1) | instskip(NEXT) | instid1(VALU_DEP_1)
	s_mov_b32 s1, exec_lo
	v_cmpx_o_f32_e32 v21, v21
	s_cbranch_execz .LBB128_82
; %bb.79:                               ;   in Loop: Header=BB128_70 Depth=1
	s_wait_loadcnt 0xd
	v_dual_mov_b32 v23, v18 :: v_dual_lshlrev_b32 v22, 16, v18
	s_mov_b32 s2, exec_lo
	s_delay_alu instid0(VALU_DEP_1)
	v_cmpx_o_f32_e32 v22, v22
; %bb.80:                               ;   in Loop: Header=BB128_70 Depth=1
	v_cmp_gt_f32_e32 vcc_lo, v21, v22
	v_cndmask_b32_e32 v23, v12, v18, vcc_lo
	s_delay_alu instid0(VALU_DEP_1)
	v_lshlrev_b32_e32 v22, 16, v23
; %bb.81:                               ;   in Loop: Header=BB128_70 Depth=1
	s_or_b32 exec_lo, exec_lo, s2
	s_delay_alu instid0(VALU_DEP_1)
	v_dual_mov_b32 v21, v22 :: v_dual_mov_b32 v12, v23
.LBB128_82:                             ;   in Loop: Header=BB128_70 Depth=1
	;; [unrolled: 21-line block ×6, first 2 shown]
	s_or_b32 exec_lo, exec_lo, s1
	s_delay_alu instid0(SALU_CYCLE_1) | instskip(NEXT) | instid1(VALU_DEP_1)
	s_mov_b32 s1, exec_lo
	v_cmpx_o_f32_e32 v21, v21
	s_cbranch_execz .LBB128_102
; %bb.99:                               ;   in Loop: Header=BB128_70 Depth=1
	s_wait_loadcnt 0x8
	v_dual_mov_b32 v23, v13 :: v_dual_lshlrev_b32 v22, 16, v13
	s_mov_b32 s2, exec_lo
	s_delay_alu instid0(VALU_DEP_1)
	v_cmpx_o_f32_e32 v22, v22
; %bb.100:                              ;   in Loop: Header=BB128_70 Depth=1
	v_cmp_gt_f32_e32 vcc_lo, v21, v22
	v_cndmask_b32_e32 v23, v12, v13, vcc_lo
	s_delay_alu instid0(VALU_DEP_1)
	v_lshlrev_b32_e32 v22, 16, v23
; %bb.101:                              ;   in Loop: Header=BB128_70 Depth=1
	s_or_b32 exec_lo, exec_lo, s2
	s_delay_alu instid0(VALU_DEP_1)
	v_dual_mov_b32 v21, v22 :: v_dual_mov_b32 v12, v23
.LBB128_102:                            ;   in Loop: Header=BB128_70 Depth=1
	s_or_b32 exec_lo, exec_lo, s1
	s_delay_alu instid0(SALU_CYCLE_1) | instskip(NEXT) | instid1(VALU_DEP_1)
	s_mov_b32 s1, exec_lo
	v_cmpx_o_f32_e32 v21, v21
	s_cbranch_execz .LBB128_106
; %bb.103:                              ;   in Loop: Header=BB128_70 Depth=1
	s_wait_loadcnt 0x7
	v_dual_mov_b32 v23, v11 :: v_dual_lshlrev_b32 v22, 16, v11
	s_mov_b32 s2, exec_lo
	s_delay_alu instid0(VALU_DEP_1)
	v_cmpx_o_f32_e32 v22, v22
; %bb.104:                              ;   in Loop: Header=BB128_70 Depth=1
	v_cmp_gt_f32_e32 vcc_lo, v21, v22
	v_cndmask_b32_e32 v23, v12, v11, vcc_lo
	s_delay_alu instid0(VALU_DEP_1)
	v_lshlrev_b32_e32 v22, 16, v23
; %bb.105:                              ;   in Loop: Header=BB128_70 Depth=1
	s_or_b32 exec_lo, exec_lo, s2
	s_delay_alu instid0(VALU_DEP_1)
	v_dual_mov_b32 v21, v22 :: v_dual_mov_b32 v12, v23
.LBB128_106:                            ;   in Loop: Header=BB128_70 Depth=1
	s_or_b32 exec_lo, exec_lo, s1
	s_delay_alu instid0(SALU_CYCLE_1) | instskip(NEXT) | instid1(VALU_DEP_1)
	s_mov_b32 s1, exec_lo
	v_cmpx_o_f32_e32 v21, v21
	s_cbranch_execz .LBB128_110
; %bb.107:                              ;   in Loop: Header=BB128_70 Depth=1
	s_wait_loadcnt 0x6
	v_dual_mov_b32 v23, v10 :: v_dual_lshlrev_b32 v22, 16, v10
	s_mov_b32 s2, exec_lo
	s_delay_alu instid0(VALU_DEP_1)
	v_cmpx_o_f32_e32 v22, v22
; %bb.108:                              ;   in Loop: Header=BB128_70 Depth=1
	v_cmp_gt_f32_e32 vcc_lo, v21, v22
	v_cndmask_b32_e32 v23, v12, v10, vcc_lo
	s_delay_alu instid0(VALU_DEP_1)
	v_lshlrev_b32_e32 v22, 16, v23
; %bb.109:                              ;   in Loop: Header=BB128_70 Depth=1
	s_or_b32 exec_lo, exec_lo, s2
	s_delay_alu instid0(VALU_DEP_1)
	v_dual_mov_b32 v21, v22 :: v_dual_mov_b32 v12, v23
.LBB128_110:                            ;   in Loop: Header=BB128_70 Depth=1
	;; [unrolled: 21-line block ×7, first 2 shown]
	s_or_b32 exec_lo, exec_lo, s1
	s_delay_alu instid0(SALU_CYCLE_1) | instskip(NEXT) | instid1(VALU_DEP_1)
	s_mov_b32 s1, exec_lo
	v_cmpx_o_f32_e32 v21, v21
	s_cbranch_execz .LBB128_69
; %bb.131:                              ;   in Loop: Header=BB128_70 Depth=1
	s_wait_loadcnt 0x0
	v_dual_mov_b32 v22, v4 :: v_dual_lshlrev_b32 v23, 16, v4
	s_mov_b32 s2, exec_lo
	s_delay_alu instid0(VALU_DEP_1)
	v_cmpx_o_f32_e32 v23, v23
	s_cbranch_execz .LBB128_68
; %bb.132:                              ;   in Loop: Header=BB128_70 Depth=1
	v_cmp_gt_f32_e32 vcc_lo, v21, v23
	v_cndmask_b32_e32 v22, v12, v4, vcc_lo
	s_branch .LBB128_68
.LBB128_133:
                                        ; implicit-def: $vgpr3
	s_cbranch_execnz .LBB128_299
	s_branch .LBB128_401
.LBB128_134:
	s_sub_co_i32 s25, s28, s0
	s_ashr_i32 s1, s0, 31
	v_cmp_gt_u32_e64 s14, s25, v0
	s_lshl_b64 s[0:1], s[0:1], 1
	s_delay_alu instid0(SALU_CYCLE_1)
	s_add_nc_u64 s[26:27], s[16:17], s[0:1]
	s_and_saveexec_b32 s0, s14
	s_cbranch_execz .LBB128_136
; %bb.135:
	s_wait_loadcnt 0xf
	global_load_u16 v20, v0, s[26:27] scale_offset
.LBB128_136:
	s_wait_xcnt 0x0
	s_or_b32 exec_lo, exec_lo, s0
	v_or_b32_e32 v2, 0x100, v0
	s_delay_alu instid0(VALU_DEP_1)
	v_cmp_gt_u32_e64 s13, s25, v2
	s_and_saveexec_b32 s0, s13
	s_cbranch_execz .LBB128_138
; %bb.137:
	s_wait_loadcnt 0xe
	global_load_u16 v19, v0, s[26:27] offset:512 scale_offset
.LBB128_138:
	s_wait_xcnt 0x0
	s_or_b32 exec_lo, exec_lo, s0
	v_or_b32_e32 v2, 0x200, v0
	s_delay_alu instid0(VALU_DEP_1)
	v_cmp_gt_u32_e64 s12, s25, v2
	s_and_saveexec_b32 s0, s12
	s_cbranch_execz .LBB128_140
; %bb.139:
	s_wait_loadcnt 0xd
	global_load_u16 v18, v0, s[26:27] offset:1024 scale_offset
.LBB128_140:
	;; [unrolled: 11-line block ×14, first 2 shown]
	s_wait_xcnt 0x0
	s_or_b32 exec_lo, exec_lo, s29
	v_or_b32_e32 v2, 0xf00, v0
	s_delay_alu instid0(VALU_DEP_1)
	v_cmp_gt_u32_e32 vcc_lo, s25, v2
	s_and_saveexec_b32 s25, vcc_lo
	s_cbranch_execnz .LBB128_181
; %bb.165:
	s_or_b32 exec_lo, exec_lo, s25
	s_and_saveexec_b32 s25, s14
	s_cbranch_execnz .LBB128_182
.LBB128_166:
	s_or_b32 exec_lo, exec_lo, s25
	s_and_saveexec_b32 s14, s13
	s_cbranch_execnz .LBB128_187
.LBB128_167:
	s_or_b32 exec_lo, exec_lo, s14
	s_and_saveexec_b32 s13, s12
	s_cbranch_execnz .LBB128_192
.LBB128_168:
	s_or_b32 exec_lo, exec_lo, s13
	s_and_saveexec_b32 s12, s11
	s_cbranch_execnz .LBB128_197
.LBB128_169:
	s_or_b32 exec_lo, exec_lo, s12
	s_and_saveexec_b32 s11, s10
	s_cbranch_execnz .LBB128_202
.LBB128_170:
	s_or_b32 exec_lo, exec_lo, s11
	s_and_saveexec_b32 s10, s9
	s_cbranch_execnz .LBB128_207
.LBB128_171:
	s_or_b32 exec_lo, exec_lo, s10
	s_and_saveexec_b32 s9, s8
	s_cbranch_execnz .LBB128_212
.LBB128_172:
	s_or_b32 exec_lo, exec_lo, s9
	s_and_saveexec_b32 s8, s7
	s_cbranch_execnz .LBB128_217
.LBB128_173:
	s_or_b32 exec_lo, exec_lo, s8
	s_and_saveexec_b32 s7, s6
	s_cbranch_execnz .LBB128_222
.LBB128_174:
	s_or_b32 exec_lo, exec_lo, s7
	s_and_saveexec_b32 s6, s5
	s_cbranch_execnz .LBB128_227
.LBB128_175:
	s_or_b32 exec_lo, exec_lo, s6
	s_and_saveexec_b32 s5, s4
	s_cbranch_execnz .LBB128_232
.LBB128_176:
	s_or_b32 exec_lo, exec_lo, s5
	s_and_saveexec_b32 s4, s3
	s_cbranch_execnz .LBB128_237
.LBB128_177:
	s_or_b32 exec_lo, exec_lo, s4
	s_and_saveexec_b32 s3, s2
	s_cbranch_execnz .LBB128_242
.LBB128_178:
	s_or_b32 exec_lo, exec_lo, s3
	s_and_saveexec_b32 s2, s1
	s_cbranch_execnz .LBB128_247
.LBB128_179:
	s_or_b32 exec_lo, exec_lo, s2
	s_and_saveexec_b32 s1, s0
	s_cbranch_execnz .LBB128_252
.LBB128_180:
	s_or_b32 exec_lo, exec_lo, s1
	s_and_saveexec_b32 s0, vcc_lo
	s_cbranch_execnz .LBB128_257
	s_branch .LBB128_262
.LBB128_181:
	s_wait_loadcnt 0x0
	global_load_u16 v4, v0, s[26:27] offset:7680 scale_offset
	s_wait_xcnt 0x0
	s_or_b32 exec_lo, exec_lo, s25
	s_and_saveexec_b32 s25, s14
	s_cbranch_execz .LBB128_166
.LBB128_182:
	v_lshlrev_b32_e32 v2, 16, v12
	s_mov_b32 s26, exec_lo
	s_delay_alu instid0(VALU_DEP_1)
	v_cmpx_o_f32_e32 v2, v2
	s_cbranch_execz .LBB128_186
; %bb.183:
	s_wait_loadcnt 0x0
	v_lshlrev_b32_e32 v3, 16, v20
	s_mov_b32 s27, exec_lo
	s_delay_alu instid0(VALU_DEP_1)
	v_cmpx_o_f32_e32 v3, v3
; %bb.184:
	v_cmp_lt_f32_e64 s14, v3, v2
	s_delay_alu instid0(VALU_DEP_1)
	v_cndmask_b32_e64 v20, v12, v20, s14
; %bb.185:
	s_or_b32 exec_lo, exec_lo, s27
	s_delay_alu instid0(VALU_DEP_1)
	v_mov_b32_e32 v12, v20
.LBB128_186:
	s_or_b32 exec_lo, exec_lo, s26
	s_delay_alu instid0(SALU_CYCLE_1)
	s_or_b32 exec_lo, exec_lo, s25
	s_and_saveexec_b32 s14, s13
	s_cbranch_execz .LBB128_167
.LBB128_187:
	v_lshlrev_b32_e32 v2, 16, v12
	s_mov_b32 s25, exec_lo
	s_delay_alu instid0(VALU_DEP_1)
	v_cmpx_o_f32_e32 v2, v2
	s_cbranch_execz .LBB128_191
; %bb.188:
	s_wait_loadcnt 0x0
	v_lshlrev_b32_e32 v3, 16, v19
	s_mov_b32 s26, exec_lo
	s_delay_alu instid0(VALU_DEP_1)
	v_cmpx_o_f32_e32 v3, v3
; %bb.189:
	v_cmp_lt_f32_e64 s13, v3, v2
	s_delay_alu instid0(VALU_DEP_1)
	v_cndmask_b32_e64 v19, v12, v19, s13
; %bb.190:
	s_or_b32 exec_lo, exec_lo, s26
	s_delay_alu instid0(VALU_DEP_1)
	v_mov_b32_e32 v12, v19
.LBB128_191:
	s_or_b32 exec_lo, exec_lo, s25
	s_delay_alu instid0(SALU_CYCLE_1)
	s_or_b32 exec_lo, exec_lo, s14
	s_and_saveexec_b32 s13, s12
	s_cbranch_execz .LBB128_168
.LBB128_192:
	v_lshlrev_b32_e32 v2, 16, v12
	s_mov_b32 s14, exec_lo
	s_delay_alu instid0(VALU_DEP_1)
	v_cmpx_o_f32_e32 v2, v2
	s_cbranch_execz .LBB128_196
; %bb.193:
	s_wait_loadcnt 0x0
	v_lshlrev_b32_e32 v3, 16, v18
	s_mov_b32 s25, exec_lo
	s_delay_alu instid0(VALU_DEP_1)
	v_cmpx_o_f32_e32 v3, v3
; %bb.194:
	v_cmp_lt_f32_e64 s12, v3, v2
	s_delay_alu instid0(VALU_DEP_1)
	v_cndmask_b32_e64 v18, v12, v18, s12
; %bb.195:
	s_or_b32 exec_lo, exec_lo, s25
	s_delay_alu instid0(VALU_DEP_1)
	v_mov_b32_e32 v12, v18
.LBB128_196:
	s_or_b32 exec_lo, exec_lo, s14
	s_delay_alu instid0(SALU_CYCLE_1)
	s_or_b32 exec_lo, exec_lo, s13
	s_and_saveexec_b32 s12, s11
	s_cbranch_execz .LBB128_169
.LBB128_197:
	v_lshlrev_b32_e32 v2, 16, v12
	s_mov_b32 s13, exec_lo
	s_delay_alu instid0(VALU_DEP_1)
	v_cmpx_o_f32_e32 v2, v2
	s_cbranch_execz .LBB128_201
; %bb.198:
	s_wait_loadcnt 0x0
	v_lshlrev_b32_e32 v3, 16, v17
	s_mov_b32 s14, exec_lo
	s_delay_alu instid0(VALU_DEP_1)
	v_cmpx_o_f32_e32 v3, v3
; %bb.199:
	v_cmp_lt_f32_e64 s11, v3, v2
	s_delay_alu instid0(VALU_DEP_1)
	v_cndmask_b32_e64 v17, v12, v17, s11
; %bb.200:
	s_or_b32 exec_lo, exec_lo, s14
	s_delay_alu instid0(VALU_DEP_1)
	v_mov_b32_e32 v12, v17
.LBB128_201:
	s_or_b32 exec_lo, exec_lo, s13
	s_delay_alu instid0(SALU_CYCLE_1)
	s_or_b32 exec_lo, exec_lo, s12
	s_and_saveexec_b32 s11, s10
	s_cbranch_execz .LBB128_170
.LBB128_202:
	v_lshlrev_b32_e32 v2, 16, v12
	s_mov_b32 s12, exec_lo
	s_delay_alu instid0(VALU_DEP_1)
	v_cmpx_o_f32_e32 v2, v2
	s_cbranch_execz .LBB128_206
; %bb.203:
	s_wait_loadcnt 0x0
	v_lshlrev_b32_e32 v3, 16, v16
	s_mov_b32 s13, exec_lo
	s_delay_alu instid0(VALU_DEP_1)
	v_cmpx_o_f32_e32 v3, v3
; %bb.204:
	v_cmp_lt_f32_e64 s10, v3, v2
	s_delay_alu instid0(VALU_DEP_1)
	v_cndmask_b32_e64 v16, v12, v16, s10
; %bb.205:
	s_or_b32 exec_lo, exec_lo, s13
	s_delay_alu instid0(VALU_DEP_1)
	v_mov_b32_e32 v12, v16
.LBB128_206:
	s_or_b32 exec_lo, exec_lo, s12
	s_delay_alu instid0(SALU_CYCLE_1)
	s_or_b32 exec_lo, exec_lo, s11
	s_and_saveexec_b32 s10, s9
	s_cbranch_execz .LBB128_171
.LBB128_207:
	v_lshlrev_b32_e32 v2, 16, v12
	s_mov_b32 s11, exec_lo
	s_delay_alu instid0(VALU_DEP_1)
	v_cmpx_o_f32_e32 v2, v2
	s_cbranch_execz .LBB128_211
; %bb.208:
	s_wait_loadcnt 0x0
	v_lshlrev_b32_e32 v3, 16, v15
	s_mov_b32 s12, exec_lo
	s_delay_alu instid0(VALU_DEP_1)
	v_cmpx_o_f32_e32 v3, v3
; %bb.209:
	v_cmp_lt_f32_e64 s9, v3, v2
	s_delay_alu instid0(VALU_DEP_1)
	v_cndmask_b32_e64 v15, v12, v15, s9
; %bb.210:
	s_or_b32 exec_lo, exec_lo, s12
	s_delay_alu instid0(VALU_DEP_1)
	v_mov_b32_e32 v12, v15
.LBB128_211:
	s_or_b32 exec_lo, exec_lo, s11
	s_delay_alu instid0(SALU_CYCLE_1)
	s_or_b32 exec_lo, exec_lo, s10
	s_and_saveexec_b32 s9, s8
	s_cbranch_execz .LBB128_172
.LBB128_212:
	v_lshlrev_b32_e32 v2, 16, v12
	s_mov_b32 s10, exec_lo
	s_delay_alu instid0(VALU_DEP_1)
	v_cmpx_o_f32_e32 v2, v2
	s_cbranch_execz .LBB128_216
; %bb.213:
	s_wait_loadcnt 0x0
	v_lshlrev_b32_e32 v3, 16, v14
	s_mov_b32 s11, exec_lo
	s_delay_alu instid0(VALU_DEP_1)
	v_cmpx_o_f32_e32 v3, v3
; %bb.214:
	v_cmp_lt_f32_e64 s8, v3, v2
	s_delay_alu instid0(VALU_DEP_1)
	v_cndmask_b32_e64 v14, v12, v14, s8
; %bb.215:
	s_or_b32 exec_lo, exec_lo, s11
	s_delay_alu instid0(VALU_DEP_1)
	v_mov_b32_e32 v12, v14
.LBB128_216:
	s_or_b32 exec_lo, exec_lo, s10
	s_delay_alu instid0(SALU_CYCLE_1)
	s_or_b32 exec_lo, exec_lo, s9
	s_and_saveexec_b32 s8, s7
	s_cbranch_execz .LBB128_173
.LBB128_217:
	v_lshlrev_b32_e32 v2, 16, v12
	s_mov_b32 s9, exec_lo
	s_delay_alu instid0(VALU_DEP_1)
	v_cmpx_o_f32_e32 v2, v2
	s_cbranch_execz .LBB128_221
; %bb.218:
	s_wait_loadcnt 0x0
	v_lshlrev_b32_e32 v3, 16, v13
	s_mov_b32 s10, exec_lo
	s_delay_alu instid0(VALU_DEP_1)
	v_cmpx_o_f32_e32 v3, v3
; %bb.219:
	v_cmp_lt_f32_e64 s7, v3, v2
	s_delay_alu instid0(VALU_DEP_1)
	v_cndmask_b32_e64 v13, v12, v13, s7
; %bb.220:
	s_or_b32 exec_lo, exec_lo, s10
	s_delay_alu instid0(VALU_DEP_1)
	v_mov_b32_e32 v12, v13
.LBB128_221:
	s_or_b32 exec_lo, exec_lo, s9
	s_delay_alu instid0(SALU_CYCLE_1)
	s_or_b32 exec_lo, exec_lo, s8
	s_and_saveexec_b32 s7, s6
	s_cbranch_execz .LBB128_174
.LBB128_222:
	v_lshlrev_b32_e32 v2, 16, v12
	s_mov_b32 s8, exec_lo
	s_delay_alu instid0(VALU_DEP_1)
	v_cmpx_o_f32_e32 v2, v2
	s_cbranch_execz .LBB128_226
; %bb.223:
	s_wait_loadcnt 0x0
	v_lshlrev_b32_e32 v3, 16, v11
	s_mov_b32 s9, exec_lo
	s_delay_alu instid0(VALU_DEP_1)
	v_cmpx_o_f32_e32 v3, v3
; %bb.224:
	v_cmp_lt_f32_e64 s6, v3, v2
	s_delay_alu instid0(VALU_DEP_1)
	v_cndmask_b32_e64 v11, v12, v11, s6
; %bb.225:
	s_or_b32 exec_lo, exec_lo, s9
	s_delay_alu instid0(VALU_DEP_1)
	v_mov_b32_e32 v12, v11
.LBB128_226:
	s_or_b32 exec_lo, exec_lo, s8
	s_delay_alu instid0(SALU_CYCLE_1)
	s_or_b32 exec_lo, exec_lo, s7
	s_and_saveexec_b32 s6, s5
	s_cbranch_execz .LBB128_175
.LBB128_227:
	v_lshlrev_b32_e32 v2, 16, v12
	s_mov_b32 s7, exec_lo
	s_delay_alu instid0(VALU_DEP_1)
	v_cmpx_o_f32_e32 v2, v2
	s_cbranch_execz .LBB128_231
; %bb.228:
	s_wait_loadcnt 0x0
	v_lshlrev_b32_e32 v3, 16, v10
	s_mov_b32 s8, exec_lo
	s_delay_alu instid0(VALU_DEP_1)
	v_cmpx_o_f32_e32 v3, v3
; %bb.229:
	v_cmp_lt_f32_e64 s5, v3, v2
	s_delay_alu instid0(VALU_DEP_1)
	v_cndmask_b32_e64 v10, v12, v10, s5
; %bb.230:
	s_or_b32 exec_lo, exec_lo, s8
	s_delay_alu instid0(VALU_DEP_1)
	v_mov_b32_e32 v12, v10
.LBB128_231:
	s_or_b32 exec_lo, exec_lo, s7
	s_delay_alu instid0(SALU_CYCLE_1)
	s_or_b32 exec_lo, exec_lo, s6
	s_and_saveexec_b32 s5, s4
	s_cbranch_execz .LBB128_176
.LBB128_232:
	v_lshlrev_b32_e32 v2, 16, v12
	s_mov_b32 s6, exec_lo
	s_delay_alu instid0(VALU_DEP_1)
	v_cmpx_o_f32_e32 v2, v2
	s_cbranch_execz .LBB128_236
; %bb.233:
	s_wait_loadcnt 0x0
	v_lshlrev_b32_e32 v3, 16, v9
	s_mov_b32 s7, exec_lo
	s_delay_alu instid0(VALU_DEP_1)
	v_cmpx_o_f32_e32 v3, v3
; %bb.234:
	v_cmp_lt_f32_e64 s4, v3, v2
	s_delay_alu instid0(VALU_DEP_1)
	v_cndmask_b32_e64 v9, v12, v9, s4
; %bb.235:
	s_or_b32 exec_lo, exec_lo, s7
	s_delay_alu instid0(VALU_DEP_1)
	v_mov_b32_e32 v12, v9
.LBB128_236:
	s_or_b32 exec_lo, exec_lo, s6
	s_delay_alu instid0(SALU_CYCLE_1)
	s_or_b32 exec_lo, exec_lo, s5
	s_and_saveexec_b32 s4, s3
	s_cbranch_execz .LBB128_177
.LBB128_237:
	v_lshlrev_b32_e32 v2, 16, v12
	s_mov_b32 s5, exec_lo
	s_delay_alu instid0(VALU_DEP_1)
	v_cmpx_o_f32_e32 v2, v2
	s_cbranch_execz .LBB128_241
; %bb.238:
	s_wait_loadcnt 0x0
	v_lshlrev_b32_e32 v3, 16, v8
	s_mov_b32 s6, exec_lo
	s_delay_alu instid0(VALU_DEP_1)
	v_cmpx_o_f32_e32 v3, v3
; %bb.239:
	v_cmp_lt_f32_e64 s3, v3, v2
	s_delay_alu instid0(VALU_DEP_1)
	v_cndmask_b32_e64 v8, v12, v8, s3
; %bb.240:
	s_or_b32 exec_lo, exec_lo, s6
	s_delay_alu instid0(VALU_DEP_1)
	v_mov_b32_e32 v12, v8
.LBB128_241:
	s_or_b32 exec_lo, exec_lo, s5
	s_delay_alu instid0(SALU_CYCLE_1)
	s_or_b32 exec_lo, exec_lo, s4
	s_and_saveexec_b32 s3, s2
	s_cbranch_execz .LBB128_178
.LBB128_242:
	v_lshlrev_b32_e32 v2, 16, v12
	s_mov_b32 s4, exec_lo
	s_delay_alu instid0(VALU_DEP_1)
	v_cmpx_o_f32_e32 v2, v2
	s_cbranch_execz .LBB128_246
; %bb.243:
	s_wait_loadcnt 0x0
	v_lshlrev_b32_e32 v3, 16, v7
	s_mov_b32 s5, exec_lo
	s_delay_alu instid0(VALU_DEP_1)
	v_cmpx_o_f32_e32 v3, v3
; %bb.244:
	v_cmp_lt_f32_e64 s2, v3, v2
	s_delay_alu instid0(VALU_DEP_1)
	v_cndmask_b32_e64 v7, v12, v7, s2
; %bb.245:
	s_or_b32 exec_lo, exec_lo, s5
	s_delay_alu instid0(VALU_DEP_1)
	v_mov_b32_e32 v12, v7
.LBB128_246:
	s_or_b32 exec_lo, exec_lo, s4
	s_delay_alu instid0(SALU_CYCLE_1)
	s_or_b32 exec_lo, exec_lo, s3
	s_and_saveexec_b32 s2, s1
	s_cbranch_execz .LBB128_179
.LBB128_247:
	v_lshlrev_b32_e32 v2, 16, v12
	s_mov_b32 s3, exec_lo
	s_delay_alu instid0(VALU_DEP_1)
	v_cmpx_o_f32_e32 v2, v2
	s_cbranch_execz .LBB128_251
; %bb.248:
	s_wait_loadcnt 0x0
	v_lshlrev_b32_e32 v3, 16, v6
	s_mov_b32 s4, exec_lo
	s_delay_alu instid0(VALU_DEP_1)
	v_cmpx_o_f32_e32 v3, v3
; %bb.249:
	v_cmp_lt_f32_e64 s1, v3, v2
	s_delay_alu instid0(VALU_DEP_1)
	v_cndmask_b32_e64 v6, v12, v6, s1
; %bb.250:
	s_or_b32 exec_lo, exec_lo, s4
	s_delay_alu instid0(VALU_DEP_1)
	v_mov_b32_e32 v12, v6
.LBB128_251:
	s_or_b32 exec_lo, exec_lo, s3
	s_delay_alu instid0(SALU_CYCLE_1)
	s_or_b32 exec_lo, exec_lo, s2
	s_and_saveexec_b32 s1, s0
	s_cbranch_execz .LBB128_180
.LBB128_252:
	v_lshlrev_b32_e32 v2, 16, v12
	s_mov_b32 s2, exec_lo
	s_delay_alu instid0(VALU_DEP_1)
	v_cmpx_o_f32_e32 v2, v2
	s_cbranch_execz .LBB128_256
; %bb.253:
	s_wait_loadcnt 0x0
	v_lshlrev_b32_e32 v3, 16, v5
	s_mov_b32 s3, exec_lo
	s_delay_alu instid0(VALU_DEP_1)
	v_cmpx_o_f32_e32 v3, v3
; %bb.254:
	v_cmp_lt_f32_e64 s0, v3, v2
	s_delay_alu instid0(VALU_DEP_1)
	v_cndmask_b32_e64 v5, v12, v5, s0
; %bb.255:
	s_or_b32 exec_lo, exec_lo, s3
	s_delay_alu instid0(VALU_DEP_1)
	v_mov_b32_e32 v12, v5
.LBB128_256:
	s_or_b32 exec_lo, exec_lo, s2
	s_delay_alu instid0(SALU_CYCLE_1)
	s_or_b32 exec_lo, exec_lo, s1
	s_and_saveexec_b32 s0, vcc_lo
	s_cbranch_execz .LBB128_262
.LBB128_257:
	v_lshlrev_b32_e32 v2, 16, v12
	s_mov_b32 s1, exec_lo
	s_delay_alu instid0(VALU_DEP_1)
	v_cmpx_o_f32_e32 v2, v2
	s_cbranch_execz .LBB128_261
; %bb.258:
	s_wait_loadcnt 0x0
	v_lshlrev_b32_e32 v3, 16, v4
	s_mov_b32 s2, exec_lo
	s_delay_alu instid0(VALU_DEP_1)
	v_cmpx_o_f32_e32 v3, v3
; %bb.259:
	v_cmp_lt_f32_e32 vcc_lo, v3, v2
	v_cndmask_b32_e32 v4, v12, v4, vcc_lo
; %bb.260:
	s_or_b32 exec_lo, exec_lo, s2
	s_delay_alu instid0(VALU_DEP_1)
	v_mov_b32_e32 v12, v4
.LBB128_261:
	s_or_b32 exec_lo, exec_lo, s1
.LBB128_262:
	s_delay_alu instid0(SALU_CYCLE_1) | instskip(SKIP_1) | instid1(VALU_DEP_1)
	s_or_b32 exec_lo, exec_lo, s0
	s_wait_loadcnt 0x0
	v_and_b32_e32 v4, 0xffff, v12
	s_mov_b32 s0, exec_lo
	s_delay_alu instid0(VALU_DEP_1) | instskip(NEXT) | instid1(VALU_DEP_1)
	v_mov_b32_dpp v2, v4 quad_perm:[1,0,3,2] row_mask:0xf bank_mask:0xf
	v_lshlrev_b32_e32 v3, 16, v2
	s_delay_alu instid0(VALU_DEP_1)
	v_cmpx_o_f32_e32 v3, v3
	s_xor_b32 s0, exec_lo, s0
	s_cbranch_execz .LBB128_266
; %bb.263:
	v_lshlrev_b32_e32 v4, 16, v4
	s_mov_b32 s1, exec_lo
	s_delay_alu instid0(VALU_DEP_1)
	v_cmpx_o_f32_e32 v4, v4
; %bb.264:
	v_cmp_lt_f32_e32 vcc_lo, v4, v3
	v_cndmask_b32_e32 v12, v2, v12, vcc_lo
; %bb.265:
	s_or_b32 exec_lo, exec_lo, s1
	s_delay_alu instid0(VALU_DEP_1)
	v_mov_b32_e32 v2, v12
.LBB128_266:
	s_or_b32 exec_lo, exec_lo, s0
	s_delay_alu instid0(VALU_DEP_1) | instskip(SKIP_1) | instid1(VALU_DEP_1)
	v_and_b32_e32 v5, 0xffff, v2
	s_mov_b32 s0, exec_lo
	v_mov_b32_dpp v3, v5 quad_perm:[2,3,0,1] row_mask:0xf bank_mask:0xf
	s_delay_alu instid0(VALU_DEP_1) | instskip(NEXT) | instid1(VALU_DEP_1)
	v_lshlrev_b32_e32 v4, 16, v3
	v_cmpx_o_f32_e32 v4, v4
	s_cbranch_execz .LBB128_270
; %bb.267:
	v_lshlrev_b32_e32 v5, 16, v5
	s_mov_b32 s1, exec_lo
	s_delay_alu instid0(VALU_DEP_1)
	v_cmpx_o_f32_e32 v5, v5
; %bb.268:
	v_cmp_lt_f32_e32 vcc_lo, v5, v4
	v_cndmask_b32_e32 v2, v3, v2, vcc_lo
; %bb.269:
	s_or_b32 exec_lo, exec_lo, s1
	s_delay_alu instid0(VALU_DEP_1)
	v_mov_b32_e32 v3, v2
.LBB128_270:
	s_or_b32 exec_lo, exec_lo, s0
	s_delay_alu instid0(VALU_DEP_1) | instskip(SKIP_1) | instid1(VALU_DEP_1)
	v_and_b32_e32 v5, 0xffff, v3
	s_mov_b32 s0, exec_lo
	v_mov_b32_dpp v2, v5 row_ror:4 row_mask:0xf bank_mask:0xf
	s_delay_alu instid0(VALU_DEP_1) | instskip(NEXT) | instid1(VALU_DEP_1)
	v_lshlrev_b32_e32 v4, 16, v2
	v_cmpx_o_f32_e32 v4, v4
	s_cbranch_execz .LBB128_274
; %bb.271:
	v_lshlrev_b32_e32 v5, 16, v5
	s_mov_b32 s1, exec_lo
	s_delay_alu instid0(VALU_DEP_1)
	v_cmpx_o_f32_e32 v5, v5
; %bb.272:
	v_cmp_lt_f32_e32 vcc_lo, v5, v4
	v_cndmask_b32_e32 v3, v2, v3, vcc_lo
; %bb.273:
	s_or_b32 exec_lo, exec_lo, s1
	s_delay_alu instid0(VALU_DEP_1)
	v_mov_b32_e32 v2, v3
.LBB128_274:
	s_or_b32 exec_lo, exec_lo, s0
	s_delay_alu instid0(VALU_DEP_1) | instskip(SKIP_1) | instid1(VALU_DEP_1)
	v_and_b32_e32 v5, 0xffff, v2
	s_mov_b32 s0, exec_lo
	v_mov_b32_dpp v3, v5 row_ror:8 row_mask:0xf bank_mask:0xf
	s_delay_alu instid0(VALU_DEP_1) | instskip(NEXT) | instid1(VALU_DEP_1)
	v_lshlrev_b32_e32 v4, 16, v3
	v_cmpx_o_f32_e32 v4, v4
	s_cbranch_execz .LBB128_278
; %bb.275:
	v_lshlrev_b32_e32 v5, 16, v5
	s_mov_b32 s1, exec_lo
	s_delay_alu instid0(VALU_DEP_1)
	v_cmpx_o_f32_e32 v5, v5
; %bb.276:
	v_cmp_lt_f32_e32 vcc_lo, v5, v4
	v_cndmask_b32_e32 v2, v3, v2, vcc_lo
; %bb.277:
	s_or_b32 exec_lo, exec_lo, s1
	s_delay_alu instid0(VALU_DEP_1)
	v_mov_b32_e32 v3, v2
.LBB128_278:
	s_or_b32 exec_lo, exec_lo, s0
	s_delay_alu instid0(VALU_DEP_1) | instskip(SKIP_4) | instid1(VALU_DEP_1)
	v_and_b32_e32 v5, 0xffff, v3
	s_mov_b32 s0, exec_lo
	ds_swizzle_b32 v2, v5 offset:swizzle(BROADCAST,32,15)
	s_wait_dscnt 0x0
	v_lshlrev_b32_e32 v4, 16, v2
	v_cmpx_o_f32_e32 v4, v4
	s_cbranch_execz .LBB128_282
; %bb.279:
	v_lshlrev_b32_e32 v5, 16, v5
	s_mov_b32 s1, exec_lo
	s_delay_alu instid0(VALU_DEP_1)
	v_cmpx_o_f32_e32 v5, v5
; %bb.280:
	v_cmp_lt_f32_e32 vcc_lo, v5, v4
	v_cndmask_b32_e32 v3, v2, v3, vcc_lo
; %bb.281:
	s_or_b32 exec_lo, exec_lo, s1
	s_delay_alu instid0(VALU_DEP_1)
	v_mov_b32_e32 v2, v3
.LBB128_282:
	s_or_b32 exec_lo, exec_lo, s0
	s_delay_alu instid0(VALU_DEP_1) | instskip(SKIP_4) | instid1(VALU_DEP_1)
	v_and_b32_e32 v2, 0xffff, v2
	v_mov_b32_e32 v3, 0
	s_mov_b32 s0, exec_lo
	ds_bpermute_b32 v3, v3, v2 offset:124
	v_mbcnt_lo_u32_b32 v2, -1, 0
	v_cmpx_eq_u32_e32 0, v2
	s_cbranch_execz .LBB128_284
; %bb.283:
	v_lshrrev_b32_e32 v4, 4, v0
	s_delay_alu instid0(VALU_DEP_1)
	v_and_b32_e32 v4, 14, v4
	s_wait_dscnt 0x0
	ds_store_b16 v4, v3
.LBB128_284:
	s_or_b32 exec_lo, exec_lo, s0
	s_delay_alu instid0(SALU_CYCLE_1)
	s_mov_b32 s0, exec_lo
	s_wait_dscnt 0x0
	s_barrier_signal -1
	s_barrier_wait -1
	v_cmpx_gt_u32_e32 32, v0
	s_cbranch_execz .LBB128_298
; %bb.285:
	v_and_b32_e32 v4, 7, v2
	s_mov_b32 s1, exec_lo
	s_delay_alu instid0(VALU_DEP_1) | instskip(SKIP_1) | instid1(VALU_DEP_1)
	v_cmp_ne_u32_e32 vcc_lo, 7, v4
	v_add_co_ci_u32_e64 v5, null, 0, v2, vcc_lo
	v_dual_lshlrev_b32 v5, 2, v5 :: v_dual_lshlrev_b32 v3, 1, v4
	ds_load_u16 v3, v3
	s_wait_dscnt 0x0
	v_and_b32_e32 v6, 0xffff, v3
	ds_bpermute_b32 v5, v5, v6
	v_lshlrev_b32_e32 v6, 16, v3
	s_delay_alu instid0(VALU_DEP_1)
	v_cmpx_o_f32_e32 v6, v6
	s_cbranch_execz .LBB128_289
; %bb.286:
	s_wait_dscnt 0x0
	v_lshlrev_b32_e32 v7, 16, v5
	s_mov_b32 s2, exec_lo
	s_delay_alu instid0(VALU_DEP_1)
	v_cmpx_o_f32_e32 v7, v7
; %bb.287:
	v_cmp_lt_f32_e32 vcc_lo, v7, v6
	v_cndmask_b32_e32 v5, v3, v5, vcc_lo
; %bb.288:
	s_or_b32 exec_lo, exec_lo, s2
	s_delay_alu instid0(VALU_DEP_1)
	v_mov_b32_e32 v3, v5
.LBB128_289:
	s_or_b32 exec_lo, exec_lo, s1
	v_cmp_gt_u32_e32 vcc_lo, 6, v4
	s_wait_dscnt 0x0
	s_delay_alu instid0(VALU_DEP_2) | instskip(SKIP_2) | instid1(VALU_DEP_1)
	v_and_b32_e32 v5, 0xffff, v3
	s_mov_b32 s1, exec_lo
	v_cndmask_b32_e64 v4, 0, 2, vcc_lo
	v_add_lshl_u32 v4, v4, v2, 2
	v_lshlrev_b32_e32 v2, 2, v2
	ds_bpermute_b32 v4, v4, v5
	v_lshlrev_b32_e32 v5, 16, v3
	s_delay_alu instid0(VALU_DEP_1)
	v_cmpx_o_f32_e32 v5, v5
	s_cbranch_execz .LBB128_293
; %bb.290:
	s_wait_dscnt 0x0
	v_lshlrev_b32_e32 v6, 16, v4
	s_mov_b32 s2, exec_lo
	s_delay_alu instid0(VALU_DEP_1)
	v_cmpx_o_f32_e32 v6, v6
; %bb.291:
	v_cmp_lt_f32_e32 vcc_lo, v6, v5
	v_cndmask_b32_e32 v4, v3, v4, vcc_lo
; %bb.292:
	s_or_b32 exec_lo, exec_lo, s2
	s_delay_alu instid0(VALU_DEP_1)
	v_mov_b32_e32 v3, v4
.LBB128_293:
	s_or_b32 exec_lo, exec_lo, s1
	v_or_b32_e32 v2, 16, v2
	s_wait_dscnt 0x0
	s_delay_alu instid0(VALU_DEP_2) | instskip(SKIP_3) | instid1(VALU_DEP_1)
	v_and_b32_e32 v4, 0xffff, v3
	s_mov_b32 s1, exec_lo
	ds_bpermute_b32 v2, v2, v4
	v_lshlrev_b32_e32 v4, 16, v3
	v_cmpx_o_f32_e32 v4, v4
	s_cbranch_execz .LBB128_297
; %bb.294:
	s_wait_dscnt 0x0
	v_lshlrev_b32_e32 v5, 16, v2
	s_mov_b32 s2, exec_lo
	s_delay_alu instid0(VALU_DEP_1)
	v_cmpx_o_f32_e32 v5, v5
; %bb.295:
	v_cmp_lt_f32_e32 vcc_lo, v5, v4
	v_cndmask_b32_e32 v2, v3, v2, vcc_lo
; %bb.296:
	s_or_b32 exec_lo, exec_lo, s2
	s_delay_alu instid0(VALU_DEP_1)
	v_mov_b32_e32 v3, v2
.LBB128_297:
	s_or_b32 exec_lo, exec_lo, s1
.LBB128_298:
	s_delay_alu instid0(SALU_CYCLE_1)
	s_or_b32 exec_lo, exec_lo, s0
	s_branch .LBB128_401
.LBB128_299:
	s_sub_co_i32 s0, s28, s24
	s_mov_b32 s1, exec_lo
                                        ; implicit-def: $vgpr5
	v_cmpx_gt_u32_e64 s0, v0
	s_cbranch_execz .LBB128_309
; %bb.300:
	s_wait_dscnt 0x0
	v_add_nc_u32_e32 v2, s24, v0
	s_mov_b32 s2, exec_lo
	global_load_u16 v5, v2, s[16:17] scale_offset
	s_wait_xcnt 0x0
	v_add_nc_u32_e32 v2, 0x100, v2
	s_delay_alu instid0(VALU_DEP_1)
	v_cmpx_gt_i32_e64 s28, v2
	s_cbranch_execz .LBB128_308
; %bb.301:
	s_mov_b32 s3, 0
	s_branch .LBB128_304
.LBB128_302:                            ;   in Loop: Header=BB128_304 Depth=1
	s_or_b32 exec_lo, exec_lo, s5
	s_delay_alu instid0(VALU_DEP_1)
	v_mov_b32_e32 v5, v4
.LBB128_303:                            ;   in Loop: Header=BB128_304 Depth=1
	s_or_b32 exec_lo, exec_lo, s4
	v_add_nc_u32_e32 v2, 0x100, v2
	s_delay_alu instid0(VALU_DEP_1) | instskip(SKIP_1) | instid1(SALU_CYCLE_1)
	v_cmp_le_i32_e32 vcc_lo, s28, v2
	s_or_b32 s3, vcc_lo, s3
	s_and_not1_b32 exec_lo, exec_lo, s3
	s_cbranch_execz .LBB128_307
.LBB128_304:                            ; =>This Inner Loop Header: Depth=1
	s_wait_loadcnt 0x0
	v_lshlrev_b32_e32 v3, 16, v5
	s_mov_b32 s4, exec_lo
	s_delay_alu instid0(VALU_DEP_1)
	v_cmpx_o_f32_e32 v3, v3
	s_cbranch_execz .LBB128_303
; %bb.305:                              ;   in Loop: Header=BB128_304 Depth=1
	global_load_u16 v4, v2, s[16:17] scale_offset
	s_mov_b32 s5, exec_lo
	s_wait_loadcnt 0x0
	v_lshlrev_b32_e32 v6, 16, v4
	s_delay_alu instid0(VALU_DEP_1)
	v_cmpx_o_f32_e32 v6, v6
	s_cbranch_execz .LBB128_302
; %bb.306:                              ;   in Loop: Header=BB128_304 Depth=1
	v_cmp_lt_f32_e32 vcc_lo, v6, v3
	v_cndmask_b32_e32 v4, v5, v4, vcc_lo
	s_branch .LBB128_302
.LBB128_307:
	s_or_b32 exec_lo, exec_lo, s3
.LBB128_308:
	s_delay_alu instid0(SALU_CYCLE_1)
	s_or_b32 exec_lo, exec_lo, s2
.LBB128_309:
	s_delay_alu instid0(SALU_CYCLE_1)
	s_or_b32 exec_lo, exec_lo, s1
	v_lshrrev_b32_e32 v4, 5, v0
	s_wait_dscnt 0x0
	v_mbcnt_lo_u32_b32 v2, -1, 0
	s_wait_loadcnt 0x0
	v_and_b32_e32 v6, 0xffff, v5
	s_cmp_lt_u32 s0, 0x100
	s_mov_b32 s1, -1
                                        ; implicit-def: $vgpr3
	s_cbranch_scc0 .LBB128_363
; %bb.310:
	v_cmp_ne_u32_e32 vcc_lo, 31, v2
	v_mov_b32_e32 v9, v6
	v_add_co_ci_u32_e64 v3, null, 0, v2, vcc_lo
	s_delay_alu instid0(VALU_DEP_1) | instskip(SKIP_2) | instid1(VALU_DEP_1)
	v_lshlrev_b32_e32 v3, 2, v3
	ds_bpermute_b32 v8, v3, v6
	v_and_b32_e32 v3, 0xe0, v0
	v_sub_nc_u32_e64 v7, s0, v3 clamp
	v_add_nc_u32_e32 v3, 1, v2
	s_delay_alu instid0(VALU_DEP_1)
	v_cmp_lt_u32_e32 vcc_lo, v3, v7
	v_mov_b32_e32 v3, v5
	s_and_saveexec_b32 s1, vcc_lo
	s_cbranch_execz .LBB128_316
; %bb.311:
	v_dual_lshlrev_b32 v9, 16, v6 :: v_dual_mov_b32 v3, v5
	s_mov_b32 s2, exec_lo
	s_delay_alu instid0(VALU_DEP_1)
	v_cmpx_o_f32_e32 v9, v9
	s_cbranch_execz .LBB128_315
; %bb.312:
	s_wait_dscnt 0x0
	v_lshlrev_b32_e32 v3, 16, v8
	s_mov_b32 s3, exec_lo
	s_delay_alu instid0(VALU_DEP_1)
	v_cmpx_o_f32_e32 v3, v3
; %bb.313:
	v_cmp_lt_f32_e32 vcc_lo, v3, v9
	v_cndmask_b32_e32 v8, v5, v8, vcc_lo
; %bb.314:
	s_or_b32 exec_lo, exec_lo, s3
	s_delay_alu instid0(VALU_DEP_1)
	v_mov_b32_e32 v3, v8
.LBB128_315:
	s_or_b32 exec_lo, exec_lo, s2
	s_delay_alu instid0(VALU_DEP_1)
	v_and_b32_e32 v9, 0xffff, v3
.LBB128_316:
	s_or_b32 exec_lo, exec_lo, s1
	v_cmp_gt_u32_e32 vcc_lo, 30, v2
	v_add_nc_u32_e32 v10, 2, v2
	s_mov_b32 s1, exec_lo
	s_wait_dscnt 0x0
	v_cndmask_b32_e64 v8, 0, 2, vcc_lo
	s_delay_alu instid0(VALU_DEP_1)
	v_add_lshl_u32 v8, v8, v2, 2
	ds_bpermute_b32 v8, v8, v9
	v_cmpx_lt_u32_e64 v10, v7
	s_cbranch_execz .LBB128_322
; %bb.317:
	v_lshlrev_b32_e32 v9, 16, v9
	s_mov_b32 s2, exec_lo
	s_delay_alu instid0(VALU_DEP_1)
	v_cmpx_o_f32_e32 v9, v9
	s_cbranch_execz .LBB128_321
; %bb.318:
	s_wait_dscnt 0x0
	v_lshlrev_b32_e32 v10, 16, v8
	s_mov_b32 s3, exec_lo
	s_delay_alu instid0(VALU_DEP_1)
	v_cmpx_o_f32_e32 v10, v10
; %bb.319:
	v_cmp_lt_f32_e32 vcc_lo, v10, v9
	v_cndmask_b32_e32 v8, v3, v8, vcc_lo
; %bb.320:
	s_or_b32 exec_lo, exec_lo, s3
	s_delay_alu instid0(VALU_DEP_1)
	v_mov_b32_e32 v3, v8
.LBB128_321:
	s_or_b32 exec_lo, exec_lo, s2
	s_delay_alu instid0(VALU_DEP_1)
	v_and_b32_e32 v9, 0xffff, v3
.LBB128_322:
	s_or_b32 exec_lo, exec_lo, s1
	v_cmp_gt_u32_e32 vcc_lo, 28, v2
	v_add_nc_u32_e32 v10, 4, v2
	s_mov_b32 s1, exec_lo
	s_wait_dscnt 0x0
	v_cndmask_b32_e64 v8, 0, 4, vcc_lo
	s_delay_alu instid0(VALU_DEP_1)
	v_add_lshl_u32 v8, v8, v2, 2
	ds_bpermute_b32 v8, v8, v9
	v_cmpx_lt_u32_e64 v10, v7
	s_cbranch_execz .LBB128_328
; %bb.323:
	v_lshlrev_b32_e32 v9, 16, v9
	s_mov_b32 s2, exec_lo
	s_delay_alu instid0(VALU_DEP_1)
	v_cmpx_o_f32_e32 v9, v9
	s_cbranch_execz .LBB128_327
; %bb.324:
	s_wait_dscnt 0x0
	v_lshlrev_b32_e32 v10, 16, v8
	s_mov_b32 s3, exec_lo
	s_delay_alu instid0(VALU_DEP_1)
	v_cmpx_o_f32_e32 v10, v10
; %bb.325:
	v_cmp_lt_f32_e32 vcc_lo, v10, v9
	v_cndmask_b32_e32 v8, v3, v8, vcc_lo
; %bb.326:
	s_or_b32 exec_lo, exec_lo, s3
	s_delay_alu instid0(VALU_DEP_1)
	v_mov_b32_e32 v3, v8
.LBB128_327:
	s_or_b32 exec_lo, exec_lo, s2
	s_delay_alu instid0(VALU_DEP_1)
	v_and_b32_e32 v9, 0xffff, v3
.LBB128_328:
	s_or_b32 exec_lo, exec_lo, s1
	v_cmp_gt_u32_e32 vcc_lo, 24, v2
	v_add_nc_u32_e32 v10, 8, v2
	s_mov_b32 s1, exec_lo
	s_wait_dscnt 0x0
	v_cndmask_b32_e64 v8, 0, 8, vcc_lo
	s_delay_alu instid0(VALU_DEP_1)
	v_add_lshl_u32 v8, v8, v2, 2
	ds_bpermute_b32 v8, v8, v9
	v_cmpx_lt_u32_e64 v10, v7
	s_cbranch_execz .LBB128_334
; %bb.329:
	v_lshlrev_b32_e32 v9, 16, v9
	s_mov_b32 s2, exec_lo
	s_delay_alu instid0(VALU_DEP_1)
	v_cmpx_o_f32_e32 v9, v9
	s_cbranch_execz .LBB128_333
; %bb.330:
	s_wait_dscnt 0x0
	v_lshlrev_b32_e32 v10, 16, v8
	s_mov_b32 s3, exec_lo
	s_delay_alu instid0(VALU_DEP_1)
	v_cmpx_o_f32_e32 v10, v10
; %bb.331:
	v_cmp_lt_f32_e32 vcc_lo, v10, v9
	v_cndmask_b32_e32 v8, v3, v8, vcc_lo
; %bb.332:
	s_or_b32 exec_lo, exec_lo, s3
	s_delay_alu instid0(VALU_DEP_1)
	v_mov_b32_e32 v3, v8
.LBB128_333:
	s_or_b32 exec_lo, exec_lo, s2
	s_delay_alu instid0(VALU_DEP_1)
	v_and_b32_e32 v9, 0xffff, v3
.LBB128_334:
	s_or_b32 exec_lo, exec_lo, s1
	s_wait_dscnt 0x0
	v_dual_lshlrev_b32 v8, 2, v2 :: v_dual_add_nc_u32 v11, 16, v2
	s_mov_b32 s1, exec_lo
	s_delay_alu instid0(VALU_DEP_1)
	v_or_b32_e32 v10, 64, v8
	ds_bpermute_b32 v10, v10, v9
	v_cmpx_lt_u32_e64 v11, v7
	s_cbranch_execz .LBB128_340
; %bb.335:
	v_lshlrev_b32_e32 v7, 16, v9
	s_mov_b32 s2, exec_lo
	s_delay_alu instid0(VALU_DEP_1)
	v_cmpx_o_f32_e32 v7, v7
	s_cbranch_execz .LBB128_339
; %bb.336:
	s_wait_dscnt 0x0
	v_lshlrev_b32_e32 v9, 16, v10
	s_mov_b32 s3, exec_lo
	s_delay_alu instid0(VALU_DEP_1)
	v_cmpx_o_f32_e32 v9, v9
; %bb.337:
	v_cmp_lt_f32_e32 vcc_lo, v9, v7
	v_cndmask_b32_e32 v10, v3, v10, vcc_lo
; %bb.338:
	s_or_b32 exec_lo, exec_lo, s3
	s_delay_alu instid0(VALU_DEP_1)
	v_mov_b32_e32 v3, v10
.LBB128_339:
	s_or_b32 exec_lo, exec_lo, s2
.LBB128_340:
	s_delay_alu instid0(SALU_CYCLE_1) | instskip(NEXT) | instid1(SALU_CYCLE_1)
	s_or_b32 exec_lo, exec_lo, s1
	s_mov_b32 s1, exec_lo
	v_cmpx_eq_u32_e32 0, v2
; %bb.341:
	v_lshlrev_b32_e32 v7, 1, v4
	ds_store_b16 v7, v3
; %bb.342:
	s_or_b32 exec_lo, exec_lo, s1
	s_delay_alu instid0(SALU_CYCLE_1)
	s_mov_b32 s1, exec_lo
	s_wait_dscnt 0x0
	s_barrier_signal -1
	s_barrier_wait -1
	v_cmpx_gt_u32_e32 8, v0
	s_cbranch_execz .LBB128_362
; %bb.343:
	v_dual_lshlrev_b32 v3, 1, v2 :: v_dual_bitop2_b32 v7, 7, v2 bitop3:0x40
	s_add_co_i32 s0, s0, 31
	s_mov_b32 s2, exec_lo
	s_lshr_b32 s0, s0, 5
	ds_load_u16 v3, v3
	v_cmp_ne_u32_e32 vcc_lo, 7, v7
	v_add_nc_u32_e32 v11, 1, v7
	v_add_co_ci_u32_e64 v9, null, 0, v2, vcc_lo
	s_delay_alu instid0(VALU_DEP_1)
	v_lshlrev_b32_e32 v10, 2, v9
	s_wait_dscnt 0x0
	v_and_b32_e32 v9, 0xffff, v3
	ds_bpermute_b32 v10, v10, v9
	v_cmpx_gt_u32_e64 s0, v11
	s_cbranch_execz .LBB128_349
; %bb.344:
	v_lshlrev_b32_e32 v9, 16, v9
	s_mov_b32 s3, exec_lo
	s_delay_alu instid0(VALU_DEP_1)
	v_cmpx_o_f32_e32 v9, v9
	s_cbranch_execz .LBB128_348
; %bb.345:
	s_wait_dscnt 0x0
	v_lshlrev_b32_e32 v11, 16, v10
	s_mov_b32 s4, exec_lo
	s_delay_alu instid0(VALU_DEP_1)
	v_cmpx_o_f32_e32 v11, v11
; %bb.346:
	v_cmp_lt_f32_e32 vcc_lo, v11, v9
	v_cndmask_b32_e32 v10, v3, v10, vcc_lo
; %bb.347:
	s_or_b32 exec_lo, exec_lo, s4
	s_delay_alu instid0(VALU_DEP_1)
	v_mov_b32_e32 v3, v10
.LBB128_348:
	s_or_b32 exec_lo, exec_lo, s3
	s_delay_alu instid0(VALU_DEP_1)
	v_and_b32_e32 v9, 0xffff, v3
.LBB128_349:
	s_or_b32 exec_lo, exec_lo, s2
	v_cmp_gt_u32_e32 vcc_lo, 6, v7
	v_add_nc_u32_e32 v11, 2, v7
	s_mov_b32 s2, exec_lo
	s_wait_dscnt 0x0
	v_cndmask_b32_e64 v10, 0, 2, vcc_lo
	s_delay_alu instid0(VALU_DEP_1)
	v_add_lshl_u32 v10, v10, v2, 2
	ds_bpermute_b32 v10, v10, v9
	v_cmpx_gt_u32_e64 s0, v11
	s_cbranch_execz .LBB128_355
; %bb.350:
	v_lshlrev_b32_e32 v9, 16, v9
	s_mov_b32 s3, exec_lo
	s_delay_alu instid0(VALU_DEP_1)
	v_cmpx_o_f32_e32 v9, v9
	s_cbranch_execz .LBB128_354
; %bb.351:
	s_wait_dscnt 0x0
	v_lshlrev_b32_e32 v11, 16, v10
	s_mov_b32 s4, exec_lo
	s_delay_alu instid0(VALU_DEP_1)
	v_cmpx_o_f32_e32 v11, v11
; %bb.352:
	v_cmp_lt_f32_e32 vcc_lo, v11, v9
	v_cndmask_b32_e32 v10, v3, v10, vcc_lo
; %bb.353:
	s_or_b32 exec_lo, exec_lo, s4
	s_delay_alu instid0(VALU_DEP_1)
	v_mov_b32_e32 v3, v10
.LBB128_354:
	s_or_b32 exec_lo, exec_lo, s3
	s_delay_alu instid0(VALU_DEP_1)
	v_and_b32_e32 v9, 0xffff, v3
.LBB128_355:
	s_or_b32 exec_lo, exec_lo, s2
	v_dual_add_nc_u32 v7, 4, v7 :: v_dual_bitop2_b32 v8, 16, v8 bitop3:0x54
	ds_bpermute_b32 v8, v8, v9
	v_cmp_gt_u32_e32 vcc_lo, s0, v7
	s_and_saveexec_b32 s0, vcc_lo
	s_cbranch_execz .LBB128_361
; %bb.356:
	v_lshlrev_b32_e32 v7, 16, v9
	s_mov_b32 s2, exec_lo
	s_delay_alu instid0(VALU_DEP_1)
	v_cmpx_o_f32_e32 v7, v7
	s_cbranch_execz .LBB128_360
; %bb.357:
	s_wait_dscnt 0x0
	v_lshlrev_b32_e32 v9, 16, v8
	s_mov_b32 s3, exec_lo
	s_delay_alu instid0(VALU_DEP_1)
	v_cmpx_o_f32_e32 v9, v9
; %bb.358:
	v_cmp_lt_f32_e32 vcc_lo, v9, v7
	v_cndmask_b32_e32 v8, v3, v8, vcc_lo
; %bb.359:
	s_or_b32 exec_lo, exec_lo, s3
	s_delay_alu instid0(VALU_DEP_1)
	v_mov_b32_e32 v3, v8
.LBB128_360:
	s_or_b32 exec_lo, exec_lo, s2
.LBB128_361:
	s_delay_alu instid0(SALU_CYCLE_1)
	s_or_b32 exec_lo, exec_lo, s0
.LBB128_362:
	s_delay_alu instid0(SALU_CYCLE_1)
	s_or_b32 exec_lo, exec_lo, s1
	s_mov_b32 s1, 0
.LBB128_363:
	s_delay_alu instid0(SALU_CYCLE_1)
	s_and_b32 vcc_lo, exec_lo, s1
	s_cbranch_vccz .LBB128_401
; %bb.364:
	v_mov_b32_dpp v3, v6 quad_perm:[1,0,3,2] row_mask:0xf bank_mask:0xf
	s_mov_b32 s0, exec_lo
	s_delay_alu instid0(VALU_DEP_1) | instskip(NEXT) | instid1(VALU_DEP_1)
	v_lshlrev_b32_e32 v7, 16, v3
	v_cmpx_o_f32_e32 v7, v7
	s_cbranch_execz .LBB128_368
; %bb.365:
	v_lshlrev_b32_e32 v6, 16, v6
	s_mov_b32 s1, exec_lo
	s_delay_alu instid0(VALU_DEP_1)
	v_cmpx_o_f32_e32 v6, v6
; %bb.366:
	v_cmp_lt_f32_e32 vcc_lo, v6, v7
	v_cndmask_b32_e32 v5, v3, v5, vcc_lo
; %bb.367:
	s_or_b32 exec_lo, exec_lo, s1
	s_delay_alu instid0(VALU_DEP_1)
	v_mov_b32_e32 v3, v5
.LBB128_368:
	s_or_b32 exec_lo, exec_lo, s0
	s_delay_alu instid0(VALU_DEP_1) | instskip(SKIP_1) | instid1(VALU_DEP_1)
	v_and_b32_e32 v7, 0xffff, v3
	s_mov_b32 s0, exec_lo
	v_mov_b32_dpp v5, v7 quad_perm:[2,3,0,1] row_mask:0xf bank_mask:0xf
	s_delay_alu instid0(VALU_DEP_1) | instskip(NEXT) | instid1(VALU_DEP_1)
	v_lshlrev_b32_e32 v6, 16, v5
	v_cmpx_o_f32_e32 v6, v6
	s_cbranch_execz .LBB128_372
; %bb.369:
	v_lshlrev_b32_e32 v7, 16, v7
	s_mov_b32 s1, exec_lo
	s_delay_alu instid0(VALU_DEP_1)
	v_cmpx_o_f32_e32 v7, v7
; %bb.370:
	v_cmp_lt_f32_e32 vcc_lo, v7, v6
	v_cndmask_b32_e32 v3, v5, v3, vcc_lo
; %bb.371:
	s_or_b32 exec_lo, exec_lo, s1
	s_delay_alu instid0(VALU_DEP_1)
	v_mov_b32_e32 v5, v3
.LBB128_372:
	s_or_b32 exec_lo, exec_lo, s0
	s_delay_alu instid0(VALU_DEP_1) | instskip(SKIP_1) | instid1(VALU_DEP_1)
	v_and_b32_e32 v7, 0xffff, v5
	s_mov_b32 s0, exec_lo
	v_mov_b32_dpp v3, v7 row_ror:4 row_mask:0xf bank_mask:0xf
	s_delay_alu instid0(VALU_DEP_1) | instskip(NEXT) | instid1(VALU_DEP_1)
	v_lshlrev_b32_e32 v6, 16, v3
	v_cmpx_o_f32_e32 v6, v6
	s_cbranch_execz .LBB128_376
; %bb.373:
	v_lshlrev_b32_e32 v7, 16, v7
	s_mov_b32 s1, exec_lo
	s_delay_alu instid0(VALU_DEP_1)
	v_cmpx_o_f32_e32 v7, v7
; %bb.374:
	v_cmp_lt_f32_e32 vcc_lo, v7, v6
	v_cndmask_b32_e32 v5, v3, v5, vcc_lo
; %bb.375:
	s_or_b32 exec_lo, exec_lo, s1
	s_delay_alu instid0(VALU_DEP_1)
	v_mov_b32_e32 v3, v5
.LBB128_376:
	s_or_b32 exec_lo, exec_lo, s0
	s_delay_alu instid0(VALU_DEP_1) | instskip(SKIP_1) | instid1(VALU_DEP_1)
	v_and_b32_e32 v7, 0xffff, v3
	s_mov_b32 s0, exec_lo
	v_mov_b32_dpp v5, v7 row_ror:8 row_mask:0xf bank_mask:0xf
	s_delay_alu instid0(VALU_DEP_1) | instskip(NEXT) | instid1(VALU_DEP_1)
	v_lshlrev_b32_e32 v6, 16, v5
	v_cmpx_o_f32_e32 v6, v6
	s_cbranch_execz .LBB128_380
; %bb.377:
	v_lshlrev_b32_e32 v7, 16, v7
	s_mov_b32 s1, exec_lo
	s_delay_alu instid0(VALU_DEP_1)
	v_cmpx_o_f32_e32 v7, v7
; %bb.378:
	v_cmp_lt_f32_e32 vcc_lo, v7, v6
	v_cndmask_b32_e32 v3, v5, v3, vcc_lo
; %bb.379:
	s_or_b32 exec_lo, exec_lo, s1
	s_delay_alu instid0(VALU_DEP_1)
	v_mov_b32_e32 v5, v3
.LBB128_380:
	s_or_b32 exec_lo, exec_lo, s0
	s_delay_alu instid0(VALU_DEP_1) | instskip(SKIP_4) | instid1(VALU_DEP_1)
	v_and_b32_e32 v7, 0xffff, v5
	s_mov_b32 s0, exec_lo
	ds_swizzle_b32 v3, v7 offset:swizzle(BROADCAST,32,15)
	s_wait_dscnt 0x0
	v_lshlrev_b32_e32 v6, 16, v3
	v_cmpx_o_f32_e32 v6, v6
	s_cbranch_execz .LBB128_384
; %bb.381:
	v_lshlrev_b32_e32 v7, 16, v7
	s_mov_b32 s1, exec_lo
	s_delay_alu instid0(VALU_DEP_1)
	v_cmpx_o_f32_e32 v7, v7
; %bb.382:
	v_cmp_lt_f32_e32 vcc_lo, v7, v6
	v_cndmask_b32_e32 v5, v3, v5, vcc_lo
; %bb.383:
	s_or_b32 exec_lo, exec_lo, s1
	s_delay_alu instid0(VALU_DEP_1)
	v_mov_b32_e32 v3, v5
.LBB128_384:
	s_or_b32 exec_lo, exec_lo, s0
	s_delay_alu instid0(VALU_DEP_1)
	v_and_b32_e32 v3, 0xffff, v3
	v_mov_b32_e32 v5, 0
	s_mov_b32 s0, exec_lo
	ds_bpermute_b32 v3, v5, v3 offset:124
	v_cmpx_eq_u32_e32 0, v2
	s_cbranch_execz .LBB128_386
; %bb.385:
	v_lshlrev_b32_e32 v4, 1, v4
	s_wait_dscnt 0x0
	ds_store_b16 v4, v3
.LBB128_386:
	s_or_b32 exec_lo, exec_lo, s0
	s_delay_alu instid0(SALU_CYCLE_1)
	s_mov_b32 s0, exec_lo
	s_wait_dscnt 0x0
	s_barrier_signal -1
	s_barrier_wait -1
	v_cmpx_gt_u32_e32 32, v0
	s_cbranch_execz .LBB128_400
; %bb.387:
	v_and_b32_e32 v4, 7, v2
	s_mov_b32 s1, exec_lo
	s_delay_alu instid0(VALU_DEP_1) | instskip(SKIP_1) | instid1(VALU_DEP_1)
	v_cmp_ne_u32_e32 vcc_lo, 7, v4
	v_add_co_ci_u32_e64 v5, null, 0, v2, vcc_lo
	v_dual_lshlrev_b32 v5, 2, v5 :: v_dual_lshlrev_b32 v3, 1, v4
	ds_load_u16 v3, v3
	s_wait_dscnt 0x0
	v_and_b32_e32 v6, 0xffff, v3
	ds_bpermute_b32 v5, v5, v6
	v_lshlrev_b32_e32 v6, 16, v3
	s_delay_alu instid0(VALU_DEP_1)
	v_cmpx_o_f32_e32 v6, v6
	s_cbranch_execz .LBB128_391
; %bb.388:
	s_wait_dscnt 0x0
	v_lshlrev_b32_e32 v7, 16, v5
	s_mov_b32 s2, exec_lo
	s_delay_alu instid0(VALU_DEP_1)
	v_cmpx_o_f32_e32 v7, v7
; %bb.389:
	v_cmp_lt_f32_e32 vcc_lo, v7, v6
	v_cndmask_b32_e32 v5, v3, v5, vcc_lo
; %bb.390:
	s_or_b32 exec_lo, exec_lo, s2
	s_delay_alu instid0(VALU_DEP_1)
	v_mov_b32_e32 v3, v5
.LBB128_391:
	s_or_b32 exec_lo, exec_lo, s1
	v_cmp_gt_u32_e32 vcc_lo, 6, v4
	s_wait_dscnt 0x0
	s_delay_alu instid0(VALU_DEP_2) | instskip(SKIP_2) | instid1(VALU_DEP_1)
	v_and_b32_e32 v5, 0xffff, v3
	s_mov_b32 s1, exec_lo
	v_cndmask_b32_e64 v4, 0, 2, vcc_lo
	v_add_lshl_u32 v4, v4, v2, 2
	v_lshlrev_b32_e32 v2, 2, v2
	ds_bpermute_b32 v4, v4, v5
	v_lshlrev_b32_e32 v5, 16, v3
	s_delay_alu instid0(VALU_DEP_1)
	v_cmpx_o_f32_e32 v5, v5
	s_cbranch_execz .LBB128_395
; %bb.392:
	s_wait_dscnt 0x0
	v_lshlrev_b32_e32 v6, 16, v4
	s_mov_b32 s2, exec_lo
	s_delay_alu instid0(VALU_DEP_1)
	v_cmpx_o_f32_e32 v6, v6
; %bb.393:
	v_cmp_lt_f32_e32 vcc_lo, v6, v5
	v_cndmask_b32_e32 v4, v3, v4, vcc_lo
; %bb.394:
	s_or_b32 exec_lo, exec_lo, s2
	s_delay_alu instid0(VALU_DEP_1)
	v_mov_b32_e32 v3, v4
.LBB128_395:
	s_or_b32 exec_lo, exec_lo, s1
	v_or_b32_e32 v2, 16, v2
	s_wait_dscnt 0x0
	s_delay_alu instid0(VALU_DEP_2) | instskip(SKIP_3) | instid1(VALU_DEP_1)
	v_and_b32_e32 v4, 0xffff, v3
	s_mov_b32 s1, exec_lo
	ds_bpermute_b32 v2, v2, v4
	v_lshlrev_b32_e32 v4, 16, v3
	v_cmpx_o_f32_e32 v4, v4
	s_cbranch_execz .LBB128_399
; %bb.396:
	s_wait_dscnt 0x0
	v_lshlrev_b32_e32 v5, 16, v2
	s_mov_b32 s2, exec_lo
	s_delay_alu instid0(VALU_DEP_1)
	v_cmpx_o_f32_e32 v5, v5
; %bb.397:
	v_cmp_lt_f32_e32 vcc_lo, v5, v4
	v_cndmask_b32_e32 v2, v3, v2, vcc_lo
; %bb.398:
	s_or_b32 exec_lo, exec_lo, s2
	s_delay_alu instid0(VALU_DEP_1)
	v_mov_b32_e32 v3, v2
.LBB128_399:
	s_or_b32 exec_lo, exec_lo, s1
.LBB128_400:
	s_delay_alu instid0(SALU_CYCLE_1)
	s_or_b32 exec_lo, exec_lo, s0
.LBB128_401:
	s_delay_alu instid0(SALU_CYCLE_1)
	s_mov_b32 s0, exec_lo
	v_cmpx_eq_u32_e32 0, v0
	s_cbranch_execz .LBB128_407
; %bb.402:
	s_wait_loadcnt 0x0
	v_lshlrev_b32_e32 v0, 16, v1
	s_delay_alu instid0(VALU_DEP_1)
	v_cmp_u_f32_e32 vcc_lo, v0, v0
	s_cbranch_vccnz .LBB128_406
; %bb.403:
	s_wait_dscnt 0x0
	v_lshlrev_b32_e32 v2, 16, v3
	s_mov_b32 s1, exec_lo
	s_delay_alu instid0(VALU_DEP_1)
	v_cmpx_o_f32_e32 v2, v2
; %bb.404:
	v_cmp_lt_f32_e32 vcc_lo, v2, v0
	v_cndmask_b32_e32 v3, v1, v3, vcc_lo
; %bb.405:
	s_or_b32 exec_lo, exec_lo, s1
	s_delay_alu instid0(VALU_DEP_1)
	v_mov_b32_e32 v1, v3
.LBB128_406:
	s_or_b32 s15, s15, exec_lo
.LBB128_407:
	s_or_b32 exec_lo, exec_lo, s0
	s_and_saveexec_b32 s0, s15
	s_cbranch_execz .LBB128_3
.LBB128_408:
	s_lshl_b64 s[0:1], s[20:21], 1
	v_mov_b32_e32 v0, 0
	s_add_nc_u64 s[0:1], s[18:19], s[0:1]
	s_lshl_b64 s[2:3], s[22:23], 1
	s_delay_alu instid0(SALU_CYCLE_1)
	s_add_nc_u64 s[0:1], s[0:1], s[2:3]
	s_wait_loadcnt 0x0
	global_store_b16 v0, v1, s[0:1]
	s_endpgm
	.section	.rodata,"a",@progbits
	.p2align	6, 0x0
	.amdhsa_kernel _ZN7rocprim17ROCPRIM_400000_NS6detail17trampoline_kernelINS0_14default_configENS1_32segmented_reduce_config_selectorIN3c108BFloat16EEEZNS1_21segmented_reduce_implIS3_PKS6_PS6_PKiS6_N6hipcub16HIPCUB_304000_NS6detail27convert_result_type_wrapperISA_SB_N2at6native12_GLOBAL__N_19CustomMinEEEEE10hipError_tPvRmT0_T1_jT2_SS_T4_T3_P12ihipStream_tbEUlT_E_NS1_11comp_targetILNS1_3genE0ELNS1_11target_archE4294967295ELNS1_3gpuE0ELNS1_3repE0EEENS1_30default_config_static_selectorELNS0_4arch9wavefront6targetE0EEEvSR_
		.amdhsa_group_segment_fixed_size 16
		.amdhsa_private_segment_fixed_size 0
		.amdhsa_kernarg_size 48
		.amdhsa_user_sgpr_count 2
		.amdhsa_user_sgpr_dispatch_ptr 0
		.amdhsa_user_sgpr_queue_ptr 0
		.amdhsa_user_sgpr_kernarg_segment_ptr 1
		.amdhsa_user_sgpr_dispatch_id 0
		.amdhsa_user_sgpr_kernarg_preload_length 0
		.amdhsa_user_sgpr_kernarg_preload_offset 0
		.amdhsa_user_sgpr_private_segment_size 0
		.amdhsa_wavefront_size32 1
		.amdhsa_uses_dynamic_stack 0
		.amdhsa_enable_private_segment 0
		.amdhsa_system_sgpr_workgroup_id_x 1
		.amdhsa_system_sgpr_workgroup_id_y 0
		.amdhsa_system_sgpr_workgroup_id_z 0
		.amdhsa_system_sgpr_workgroup_info 0
		.amdhsa_system_vgpr_workitem_id 0
		.amdhsa_next_free_vgpr 24
		.amdhsa_next_free_sgpr 30
		.amdhsa_named_barrier_count 0
		.amdhsa_reserve_vcc 1
		.amdhsa_float_round_mode_32 0
		.amdhsa_float_round_mode_16_64 0
		.amdhsa_float_denorm_mode_32 3
		.amdhsa_float_denorm_mode_16_64 3
		.amdhsa_fp16_overflow 0
		.amdhsa_memory_ordered 1
		.amdhsa_forward_progress 1
		.amdhsa_inst_pref_size 70
		.amdhsa_round_robin_scheduling 0
		.amdhsa_exception_fp_ieee_invalid_op 0
		.amdhsa_exception_fp_denorm_src 0
		.amdhsa_exception_fp_ieee_div_zero 0
		.amdhsa_exception_fp_ieee_overflow 0
		.amdhsa_exception_fp_ieee_underflow 0
		.amdhsa_exception_fp_ieee_inexact 0
		.amdhsa_exception_int_div_zero 0
	.end_amdhsa_kernel
	.section	.text._ZN7rocprim17ROCPRIM_400000_NS6detail17trampoline_kernelINS0_14default_configENS1_32segmented_reduce_config_selectorIN3c108BFloat16EEEZNS1_21segmented_reduce_implIS3_PKS6_PS6_PKiS6_N6hipcub16HIPCUB_304000_NS6detail27convert_result_type_wrapperISA_SB_N2at6native12_GLOBAL__N_19CustomMinEEEEE10hipError_tPvRmT0_T1_jT2_SS_T4_T3_P12ihipStream_tbEUlT_E_NS1_11comp_targetILNS1_3genE0ELNS1_11target_archE4294967295ELNS1_3gpuE0ELNS1_3repE0EEENS1_30default_config_static_selectorELNS0_4arch9wavefront6targetE0EEEvSR_,"axG",@progbits,_ZN7rocprim17ROCPRIM_400000_NS6detail17trampoline_kernelINS0_14default_configENS1_32segmented_reduce_config_selectorIN3c108BFloat16EEEZNS1_21segmented_reduce_implIS3_PKS6_PS6_PKiS6_N6hipcub16HIPCUB_304000_NS6detail27convert_result_type_wrapperISA_SB_N2at6native12_GLOBAL__N_19CustomMinEEEEE10hipError_tPvRmT0_T1_jT2_SS_T4_T3_P12ihipStream_tbEUlT_E_NS1_11comp_targetILNS1_3genE0ELNS1_11target_archE4294967295ELNS1_3gpuE0ELNS1_3repE0EEENS1_30default_config_static_selectorELNS0_4arch9wavefront6targetE0EEEvSR_,comdat
.Lfunc_end128:
	.size	_ZN7rocprim17ROCPRIM_400000_NS6detail17trampoline_kernelINS0_14default_configENS1_32segmented_reduce_config_selectorIN3c108BFloat16EEEZNS1_21segmented_reduce_implIS3_PKS6_PS6_PKiS6_N6hipcub16HIPCUB_304000_NS6detail27convert_result_type_wrapperISA_SB_N2at6native12_GLOBAL__N_19CustomMinEEEEE10hipError_tPvRmT0_T1_jT2_SS_T4_T3_P12ihipStream_tbEUlT_E_NS1_11comp_targetILNS1_3genE0ELNS1_11target_archE4294967295ELNS1_3gpuE0ELNS1_3repE0EEENS1_30default_config_static_selectorELNS0_4arch9wavefront6targetE0EEEvSR_, .Lfunc_end128-_ZN7rocprim17ROCPRIM_400000_NS6detail17trampoline_kernelINS0_14default_configENS1_32segmented_reduce_config_selectorIN3c108BFloat16EEEZNS1_21segmented_reduce_implIS3_PKS6_PS6_PKiS6_N6hipcub16HIPCUB_304000_NS6detail27convert_result_type_wrapperISA_SB_N2at6native12_GLOBAL__N_19CustomMinEEEEE10hipError_tPvRmT0_T1_jT2_SS_T4_T3_P12ihipStream_tbEUlT_E_NS1_11comp_targetILNS1_3genE0ELNS1_11target_archE4294967295ELNS1_3gpuE0ELNS1_3repE0EEENS1_30default_config_static_selectorELNS0_4arch9wavefront6targetE0EEEvSR_
                                        ; -- End function
	.set _ZN7rocprim17ROCPRIM_400000_NS6detail17trampoline_kernelINS0_14default_configENS1_32segmented_reduce_config_selectorIN3c108BFloat16EEEZNS1_21segmented_reduce_implIS3_PKS6_PS6_PKiS6_N6hipcub16HIPCUB_304000_NS6detail27convert_result_type_wrapperISA_SB_N2at6native12_GLOBAL__N_19CustomMinEEEEE10hipError_tPvRmT0_T1_jT2_SS_T4_T3_P12ihipStream_tbEUlT_E_NS1_11comp_targetILNS1_3genE0ELNS1_11target_archE4294967295ELNS1_3gpuE0ELNS1_3repE0EEENS1_30default_config_static_selectorELNS0_4arch9wavefront6targetE0EEEvSR_.num_vgpr, 24
	.set _ZN7rocprim17ROCPRIM_400000_NS6detail17trampoline_kernelINS0_14default_configENS1_32segmented_reduce_config_selectorIN3c108BFloat16EEEZNS1_21segmented_reduce_implIS3_PKS6_PS6_PKiS6_N6hipcub16HIPCUB_304000_NS6detail27convert_result_type_wrapperISA_SB_N2at6native12_GLOBAL__N_19CustomMinEEEEE10hipError_tPvRmT0_T1_jT2_SS_T4_T3_P12ihipStream_tbEUlT_E_NS1_11comp_targetILNS1_3genE0ELNS1_11target_archE4294967295ELNS1_3gpuE0ELNS1_3repE0EEENS1_30default_config_static_selectorELNS0_4arch9wavefront6targetE0EEEvSR_.num_agpr, 0
	.set _ZN7rocprim17ROCPRIM_400000_NS6detail17trampoline_kernelINS0_14default_configENS1_32segmented_reduce_config_selectorIN3c108BFloat16EEEZNS1_21segmented_reduce_implIS3_PKS6_PS6_PKiS6_N6hipcub16HIPCUB_304000_NS6detail27convert_result_type_wrapperISA_SB_N2at6native12_GLOBAL__N_19CustomMinEEEEE10hipError_tPvRmT0_T1_jT2_SS_T4_T3_P12ihipStream_tbEUlT_E_NS1_11comp_targetILNS1_3genE0ELNS1_11target_archE4294967295ELNS1_3gpuE0ELNS1_3repE0EEENS1_30default_config_static_selectorELNS0_4arch9wavefront6targetE0EEEvSR_.numbered_sgpr, 30
	.set _ZN7rocprim17ROCPRIM_400000_NS6detail17trampoline_kernelINS0_14default_configENS1_32segmented_reduce_config_selectorIN3c108BFloat16EEEZNS1_21segmented_reduce_implIS3_PKS6_PS6_PKiS6_N6hipcub16HIPCUB_304000_NS6detail27convert_result_type_wrapperISA_SB_N2at6native12_GLOBAL__N_19CustomMinEEEEE10hipError_tPvRmT0_T1_jT2_SS_T4_T3_P12ihipStream_tbEUlT_E_NS1_11comp_targetILNS1_3genE0ELNS1_11target_archE4294967295ELNS1_3gpuE0ELNS1_3repE0EEENS1_30default_config_static_selectorELNS0_4arch9wavefront6targetE0EEEvSR_.num_named_barrier, 0
	.set _ZN7rocprim17ROCPRIM_400000_NS6detail17trampoline_kernelINS0_14default_configENS1_32segmented_reduce_config_selectorIN3c108BFloat16EEEZNS1_21segmented_reduce_implIS3_PKS6_PS6_PKiS6_N6hipcub16HIPCUB_304000_NS6detail27convert_result_type_wrapperISA_SB_N2at6native12_GLOBAL__N_19CustomMinEEEEE10hipError_tPvRmT0_T1_jT2_SS_T4_T3_P12ihipStream_tbEUlT_E_NS1_11comp_targetILNS1_3genE0ELNS1_11target_archE4294967295ELNS1_3gpuE0ELNS1_3repE0EEENS1_30default_config_static_selectorELNS0_4arch9wavefront6targetE0EEEvSR_.private_seg_size, 0
	.set _ZN7rocprim17ROCPRIM_400000_NS6detail17trampoline_kernelINS0_14default_configENS1_32segmented_reduce_config_selectorIN3c108BFloat16EEEZNS1_21segmented_reduce_implIS3_PKS6_PS6_PKiS6_N6hipcub16HIPCUB_304000_NS6detail27convert_result_type_wrapperISA_SB_N2at6native12_GLOBAL__N_19CustomMinEEEEE10hipError_tPvRmT0_T1_jT2_SS_T4_T3_P12ihipStream_tbEUlT_E_NS1_11comp_targetILNS1_3genE0ELNS1_11target_archE4294967295ELNS1_3gpuE0ELNS1_3repE0EEENS1_30default_config_static_selectorELNS0_4arch9wavefront6targetE0EEEvSR_.uses_vcc, 1
	.set _ZN7rocprim17ROCPRIM_400000_NS6detail17trampoline_kernelINS0_14default_configENS1_32segmented_reduce_config_selectorIN3c108BFloat16EEEZNS1_21segmented_reduce_implIS3_PKS6_PS6_PKiS6_N6hipcub16HIPCUB_304000_NS6detail27convert_result_type_wrapperISA_SB_N2at6native12_GLOBAL__N_19CustomMinEEEEE10hipError_tPvRmT0_T1_jT2_SS_T4_T3_P12ihipStream_tbEUlT_E_NS1_11comp_targetILNS1_3genE0ELNS1_11target_archE4294967295ELNS1_3gpuE0ELNS1_3repE0EEENS1_30default_config_static_selectorELNS0_4arch9wavefront6targetE0EEEvSR_.uses_flat_scratch, 0
	.set _ZN7rocprim17ROCPRIM_400000_NS6detail17trampoline_kernelINS0_14default_configENS1_32segmented_reduce_config_selectorIN3c108BFloat16EEEZNS1_21segmented_reduce_implIS3_PKS6_PS6_PKiS6_N6hipcub16HIPCUB_304000_NS6detail27convert_result_type_wrapperISA_SB_N2at6native12_GLOBAL__N_19CustomMinEEEEE10hipError_tPvRmT0_T1_jT2_SS_T4_T3_P12ihipStream_tbEUlT_E_NS1_11comp_targetILNS1_3genE0ELNS1_11target_archE4294967295ELNS1_3gpuE0ELNS1_3repE0EEENS1_30default_config_static_selectorELNS0_4arch9wavefront6targetE0EEEvSR_.has_dyn_sized_stack, 0
	.set _ZN7rocprim17ROCPRIM_400000_NS6detail17trampoline_kernelINS0_14default_configENS1_32segmented_reduce_config_selectorIN3c108BFloat16EEEZNS1_21segmented_reduce_implIS3_PKS6_PS6_PKiS6_N6hipcub16HIPCUB_304000_NS6detail27convert_result_type_wrapperISA_SB_N2at6native12_GLOBAL__N_19CustomMinEEEEE10hipError_tPvRmT0_T1_jT2_SS_T4_T3_P12ihipStream_tbEUlT_E_NS1_11comp_targetILNS1_3genE0ELNS1_11target_archE4294967295ELNS1_3gpuE0ELNS1_3repE0EEENS1_30default_config_static_selectorELNS0_4arch9wavefront6targetE0EEEvSR_.has_recursion, 0
	.set _ZN7rocprim17ROCPRIM_400000_NS6detail17trampoline_kernelINS0_14default_configENS1_32segmented_reduce_config_selectorIN3c108BFloat16EEEZNS1_21segmented_reduce_implIS3_PKS6_PS6_PKiS6_N6hipcub16HIPCUB_304000_NS6detail27convert_result_type_wrapperISA_SB_N2at6native12_GLOBAL__N_19CustomMinEEEEE10hipError_tPvRmT0_T1_jT2_SS_T4_T3_P12ihipStream_tbEUlT_E_NS1_11comp_targetILNS1_3genE0ELNS1_11target_archE4294967295ELNS1_3gpuE0ELNS1_3repE0EEENS1_30default_config_static_selectorELNS0_4arch9wavefront6targetE0EEEvSR_.has_indirect_call, 0
	.section	.AMDGPU.csdata,"",@progbits
; Kernel info:
; codeLenInByte = 8912
; TotalNumSgprs: 32
; NumVgprs: 24
; ScratchSize: 0
; MemoryBound: 0
; FloatMode: 240
; IeeeMode: 1
; LDSByteSize: 16 bytes/workgroup (compile time only)
; SGPRBlocks: 0
; VGPRBlocks: 1
; NumSGPRsForWavesPerEU: 32
; NumVGPRsForWavesPerEU: 24
; NamedBarCnt: 0
; Occupancy: 16
; WaveLimiterHint : 1
; COMPUTE_PGM_RSRC2:SCRATCH_EN: 0
; COMPUTE_PGM_RSRC2:USER_SGPR: 2
; COMPUTE_PGM_RSRC2:TRAP_HANDLER: 0
; COMPUTE_PGM_RSRC2:TGID_X_EN: 1
; COMPUTE_PGM_RSRC2:TGID_Y_EN: 0
; COMPUTE_PGM_RSRC2:TGID_Z_EN: 0
; COMPUTE_PGM_RSRC2:TIDIG_COMP_CNT: 0
	.section	.text._ZN7rocprim17ROCPRIM_400000_NS6detail17trampoline_kernelINS0_14default_configENS1_32segmented_reduce_config_selectorIN3c108BFloat16EEEZNS1_21segmented_reduce_implIS3_PKS6_PS6_PKiS6_N6hipcub16HIPCUB_304000_NS6detail27convert_result_type_wrapperISA_SB_N2at6native12_GLOBAL__N_19CustomMinEEEEE10hipError_tPvRmT0_T1_jT2_SS_T4_T3_P12ihipStream_tbEUlT_E_NS1_11comp_targetILNS1_3genE5ELNS1_11target_archE942ELNS1_3gpuE9ELNS1_3repE0EEENS1_30default_config_static_selectorELNS0_4arch9wavefront6targetE0EEEvSR_,"axG",@progbits,_ZN7rocprim17ROCPRIM_400000_NS6detail17trampoline_kernelINS0_14default_configENS1_32segmented_reduce_config_selectorIN3c108BFloat16EEEZNS1_21segmented_reduce_implIS3_PKS6_PS6_PKiS6_N6hipcub16HIPCUB_304000_NS6detail27convert_result_type_wrapperISA_SB_N2at6native12_GLOBAL__N_19CustomMinEEEEE10hipError_tPvRmT0_T1_jT2_SS_T4_T3_P12ihipStream_tbEUlT_E_NS1_11comp_targetILNS1_3genE5ELNS1_11target_archE942ELNS1_3gpuE9ELNS1_3repE0EEENS1_30default_config_static_selectorELNS0_4arch9wavefront6targetE0EEEvSR_,comdat
	.globl	_ZN7rocprim17ROCPRIM_400000_NS6detail17trampoline_kernelINS0_14default_configENS1_32segmented_reduce_config_selectorIN3c108BFloat16EEEZNS1_21segmented_reduce_implIS3_PKS6_PS6_PKiS6_N6hipcub16HIPCUB_304000_NS6detail27convert_result_type_wrapperISA_SB_N2at6native12_GLOBAL__N_19CustomMinEEEEE10hipError_tPvRmT0_T1_jT2_SS_T4_T3_P12ihipStream_tbEUlT_E_NS1_11comp_targetILNS1_3genE5ELNS1_11target_archE942ELNS1_3gpuE9ELNS1_3repE0EEENS1_30default_config_static_selectorELNS0_4arch9wavefront6targetE0EEEvSR_ ; -- Begin function _ZN7rocprim17ROCPRIM_400000_NS6detail17trampoline_kernelINS0_14default_configENS1_32segmented_reduce_config_selectorIN3c108BFloat16EEEZNS1_21segmented_reduce_implIS3_PKS6_PS6_PKiS6_N6hipcub16HIPCUB_304000_NS6detail27convert_result_type_wrapperISA_SB_N2at6native12_GLOBAL__N_19CustomMinEEEEE10hipError_tPvRmT0_T1_jT2_SS_T4_T3_P12ihipStream_tbEUlT_E_NS1_11comp_targetILNS1_3genE5ELNS1_11target_archE942ELNS1_3gpuE9ELNS1_3repE0EEENS1_30default_config_static_selectorELNS0_4arch9wavefront6targetE0EEEvSR_
	.p2align	8
	.type	_ZN7rocprim17ROCPRIM_400000_NS6detail17trampoline_kernelINS0_14default_configENS1_32segmented_reduce_config_selectorIN3c108BFloat16EEEZNS1_21segmented_reduce_implIS3_PKS6_PS6_PKiS6_N6hipcub16HIPCUB_304000_NS6detail27convert_result_type_wrapperISA_SB_N2at6native12_GLOBAL__N_19CustomMinEEEEE10hipError_tPvRmT0_T1_jT2_SS_T4_T3_P12ihipStream_tbEUlT_E_NS1_11comp_targetILNS1_3genE5ELNS1_11target_archE942ELNS1_3gpuE9ELNS1_3repE0EEENS1_30default_config_static_selectorELNS0_4arch9wavefront6targetE0EEEvSR_,@function
_ZN7rocprim17ROCPRIM_400000_NS6detail17trampoline_kernelINS0_14default_configENS1_32segmented_reduce_config_selectorIN3c108BFloat16EEEZNS1_21segmented_reduce_implIS3_PKS6_PS6_PKiS6_N6hipcub16HIPCUB_304000_NS6detail27convert_result_type_wrapperISA_SB_N2at6native12_GLOBAL__N_19CustomMinEEEEE10hipError_tPvRmT0_T1_jT2_SS_T4_T3_P12ihipStream_tbEUlT_E_NS1_11comp_targetILNS1_3genE5ELNS1_11target_archE942ELNS1_3gpuE9ELNS1_3repE0EEENS1_30default_config_static_selectorELNS0_4arch9wavefront6targetE0EEEvSR_: ; @_ZN7rocprim17ROCPRIM_400000_NS6detail17trampoline_kernelINS0_14default_configENS1_32segmented_reduce_config_selectorIN3c108BFloat16EEEZNS1_21segmented_reduce_implIS3_PKS6_PS6_PKiS6_N6hipcub16HIPCUB_304000_NS6detail27convert_result_type_wrapperISA_SB_N2at6native12_GLOBAL__N_19CustomMinEEEEE10hipError_tPvRmT0_T1_jT2_SS_T4_T3_P12ihipStream_tbEUlT_E_NS1_11comp_targetILNS1_3genE5ELNS1_11target_archE942ELNS1_3gpuE9ELNS1_3repE0EEENS1_30default_config_static_selectorELNS0_4arch9wavefront6targetE0EEEvSR_
; %bb.0:
	.section	.rodata,"a",@progbits
	.p2align	6, 0x0
	.amdhsa_kernel _ZN7rocprim17ROCPRIM_400000_NS6detail17trampoline_kernelINS0_14default_configENS1_32segmented_reduce_config_selectorIN3c108BFloat16EEEZNS1_21segmented_reduce_implIS3_PKS6_PS6_PKiS6_N6hipcub16HIPCUB_304000_NS6detail27convert_result_type_wrapperISA_SB_N2at6native12_GLOBAL__N_19CustomMinEEEEE10hipError_tPvRmT0_T1_jT2_SS_T4_T3_P12ihipStream_tbEUlT_E_NS1_11comp_targetILNS1_3genE5ELNS1_11target_archE942ELNS1_3gpuE9ELNS1_3repE0EEENS1_30default_config_static_selectorELNS0_4arch9wavefront6targetE0EEEvSR_
		.amdhsa_group_segment_fixed_size 0
		.amdhsa_private_segment_fixed_size 0
		.amdhsa_kernarg_size 48
		.amdhsa_user_sgpr_count 2
		.amdhsa_user_sgpr_dispatch_ptr 0
		.amdhsa_user_sgpr_queue_ptr 0
		.amdhsa_user_sgpr_kernarg_segment_ptr 1
		.amdhsa_user_sgpr_dispatch_id 0
		.amdhsa_user_sgpr_kernarg_preload_length 0
		.amdhsa_user_sgpr_kernarg_preload_offset 0
		.amdhsa_user_sgpr_private_segment_size 0
		.amdhsa_wavefront_size32 1
		.amdhsa_uses_dynamic_stack 0
		.amdhsa_enable_private_segment 0
		.amdhsa_system_sgpr_workgroup_id_x 1
		.amdhsa_system_sgpr_workgroup_id_y 0
		.amdhsa_system_sgpr_workgroup_id_z 0
		.amdhsa_system_sgpr_workgroup_info 0
		.amdhsa_system_vgpr_workitem_id 0
		.amdhsa_next_free_vgpr 1
		.amdhsa_next_free_sgpr 1
		.amdhsa_named_barrier_count 0
		.amdhsa_reserve_vcc 0
		.amdhsa_float_round_mode_32 0
		.amdhsa_float_round_mode_16_64 0
		.amdhsa_float_denorm_mode_32 3
		.amdhsa_float_denorm_mode_16_64 3
		.amdhsa_fp16_overflow 0
		.amdhsa_memory_ordered 1
		.amdhsa_forward_progress 1
		.amdhsa_inst_pref_size 0
		.amdhsa_round_robin_scheduling 0
		.amdhsa_exception_fp_ieee_invalid_op 0
		.amdhsa_exception_fp_denorm_src 0
		.amdhsa_exception_fp_ieee_div_zero 0
		.amdhsa_exception_fp_ieee_overflow 0
		.amdhsa_exception_fp_ieee_underflow 0
		.amdhsa_exception_fp_ieee_inexact 0
		.amdhsa_exception_int_div_zero 0
	.end_amdhsa_kernel
	.section	.text._ZN7rocprim17ROCPRIM_400000_NS6detail17trampoline_kernelINS0_14default_configENS1_32segmented_reduce_config_selectorIN3c108BFloat16EEEZNS1_21segmented_reduce_implIS3_PKS6_PS6_PKiS6_N6hipcub16HIPCUB_304000_NS6detail27convert_result_type_wrapperISA_SB_N2at6native12_GLOBAL__N_19CustomMinEEEEE10hipError_tPvRmT0_T1_jT2_SS_T4_T3_P12ihipStream_tbEUlT_E_NS1_11comp_targetILNS1_3genE5ELNS1_11target_archE942ELNS1_3gpuE9ELNS1_3repE0EEENS1_30default_config_static_selectorELNS0_4arch9wavefront6targetE0EEEvSR_,"axG",@progbits,_ZN7rocprim17ROCPRIM_400000_NS6detail17trampoline_kernelINS0_14default_configENS1_32segmented_reduce_config_selectorIN3c108BFloat16EEEZNS1_21segmented_reduce_implIS3_PKS6_PS6_PKiS6_N6hipcub16HIPCUB_304000_NS6detail27convert_result_type_wrapperISA_SB_N2at6native12_GLOBAL__N_19CustomMinEEEEE10hipError_tPvRmT0_T1_jT2_SS_T4_T3_P12ihipStream_tbEUlT_E_NS1_11comp_targetILNS1_3genE5ELNS1_11target_archE942ELNS1_3gpuE9ELNS1_3repE0EEENS1_30default_config_static_selectorELNS0_4arch9wavefront6targetE0EEEvSR_,comdat
.Lfunc_end129:
	.size	_ZN7rocprim17ROCPRIM_400000_NS6detail17trampoline_kernelINS0_14default_configENS1_32segmented_reduce_config_selectorIN3c108BFloat16EEEZNS1_21segmented_reduce_implIS3_PKS6_PS6_PKiS6_N6hipcub16HIPCUB_304000_NS6detail27convert_result_type_wrapperISA_SB_N2at6native12_GLOBAL__N_19CustomMinEEEEE10hipError_tPvRmT0_T1_jT2_SS_T4_T3_P12ihipStream_tbEUlT_E_NS1_11comp_targetILNS1_3genE5ELNS1_11target_archE942ELNS1_3gpuE9ELNS1_3repE0EEENS1_30default_config_static_selectorELNS0_4arch9wavefront6targetE0EEEvSR_, .Lfunc_end129-_ZN7rocprim17ROCPRIM_400000_NS6detail17trampoline_kernelINS0_14default_configENS1_32segmented_reduce_config_selectorIN3c108BFloat16EEEZNS1_21segmented_reduce_implIS3_PKS6_PS6_PKiS6_N6hipcub16HIPCUB_304000_NS6detail27convert_result_type_wrapperISA_SB_N2at6native12_GLOBAL__N_19CustomMinEEEEE10hipError_tPvRmT0_T1_jT2_SS_T4_T3_P12ihipStream_tbEUlT_E_NS1_11comp_targetILNS1_3genE5ELNS1_11target_archE942ELNS1_3gpuE9ELNS1_3repE0EEENS1_30default_config_static_selectorELNS0_4arch9wavefront6targetE0EEEvSR_
                                        ; -- End function
	.set _ZN7rocprim17ROCPRIM_400000_NS6detail17trampoline_kernelINS0_14default_configENS1_32segmented_reduce_config_selectorIN3c108BFloat16EEEZNS1_21segmented_reduce_implIS3_PKS6_PS6_PKiS6_N6hipcub16HIPCUB_304000_NS6detail27convert_result_type_wrapperISA_SB_N2at6native12_GLOBAL__N_19CustomMinEEEEE10hipError_tPvRmT0_T1_jT2_SS_T4_T3_P12ihipStream_tbEUlT_E_NS1_11comp_targetILNS1_3genE5ELNS1_11target_archE942ELNS1_3gpuE9ELNS1_3repE0EEENS1_30default_config_static_selectorELNS0_4arch9wavefront6targetE0EEEvSR_.num_vgpr, 0
	.set _ZN7rocprim17ROCPRIM_400000_NS6detail17trampoline_kernelINS0_14default_configENS1_32segmented_reduce_config_selectorIN3c108BFloat16EEEZNS1_21segmented_reduce_implIS3_PKS6_PS6_PKiS6_N6hipcub16HIPCUB_304000_NS6detail27convert_result_type_wrapperISA_SB_N2at6native12_GLOBAL__N_19CustomMinEEEEE10hipError_tPvRmT0_T1_jT2_SS_T4_T3_P12ihipStream_tbEUlT_E_NS1_11comp_targetILNS1_3genE5ELNS1_11target_archE942ELNS1_3gpuE9ELNS1_3repE0EEENS1_30default_config_static_selectorELNS0_4arch9wavefront6targetE0EEEvSR_.num_agpr, 0
	.set _ZN7rocprim17ROCPRIM_400000_NS6detail17trampoline_kernelINS0_14default_configENS1_32segmented_reduce_config_selectorIN3c108BFloat16EEEZNS1_21segmented_reduce_implIS3_PKS6_PS6_PKiS6_N6hipcub16HIPCUB_304000_NS6detail27convert_result_type_wrapperISA_SB_N2at6native12_GLOBAL__N_19CustomMinEEEEE10hipError_tPvRmT0_T1_jT2_SS_T4_T3_P12ihipStream_tbEUlT_E_NS1_11comp_targetILNS1_3genE5ELNS1_11target_archE942ELNS1_3gpuE9ELNS1_3repE0EEENS1_30default_config_static_selectorELNS0_4arch9wavefront6targetE0EEEvSR_.numbered_sgpr, 0
	.set _ZN7rocprim17ROCPRIM_400000_NS6detail17trampoline_kernelINS0_14default_configENS1_32segmented_reduce_config_selectorIN3c108BFloat16EEEZNS1_21segmented_reduce_implIS3_PKS6_PS6_PKiS6_N6hipcub16HIPCUB_304000_NS6detail27convert_result_type_wrapperISA_SB_N2at6native12_GLOBAL__N_19CustomMinEEEEE10hipError_tPvRmT0_T1_jT2_SS_T4_T3_P12ihipStream_tbEUlT_E_NS1_11comp_targetILNS1_3genE5ELNS1_11target_archE942ELNS1_3gpuE9ELNS1_3repE0EEENS1_30default_config_static_selectorELNS0_4arch9wavefront6targetE0EEEvSR_.num_named_barrier, 0
	.set _ZN7rocprim17ROCPRIM_400000_NS6detail17trampoline_kernelINS0_14default_configENS1_32segmented_reduce_config_selectorIN3c108BFloat16EEEZNS1_21segmented_reduce_implIS3_PKS6_PS6_PKiS6_N6hipcub16HIPCUB_304000_NS6detail27convert_result_type_wrapperISA_SB_N2at6native12_GLOBAL__N_19CustomMinEEEEE10hipError_tPvRmT0_T1_jT2_SS_T4_T3_P12ihipStream_tbEUlT_E_NS1_11comp_targetILNS1_3genE5ELNS1_11target_archE942ELNS1_3gpuE9ELNS1_3repE0EEENS1_30default_config_static_selectorELNS0_4arch9wavefront6targetE0EEEvSR_.private_seg_size, 0
	.set _ZN7rocprim17ROCPRIM_400000_NS6detail17trampoline_kernelINS0_14default_configENS1_32segmented_reduce_config_selectorIN3c108BFloat16EEEZNS1_21segmented_reduce_implIS3_PKS6_PS6_PKiS6_N6hipcub16HIPCUB_304000_NS6detail27convert_result_type_wrapperISA_SB_N2at6native12_GLOBAL__N_19CustomMinEEEEE10hipError_tPvRmT0_T1_jT2_SS_T4_T3_P12ihipStream_tbEUlT_E_NS1_11comp_targetILNS1_3genE5ELNS1_11target_archE942ELNS1_3gpuE9ELNS1_3repE0EEENS1_30default_config_static_selectorELNS0_4arch9wavefront6targetE0EEEvSR_.uses_vcc, 0
	.set _ZN7rocprim17ROCPRIM_400000_NS6detail17trampoline_kernelINS0_14default_configENS1_32segmented_reduce_config_selectorIN3c108BFloat16EEEZNS1_21segmented_reduce_implIS3_PKS6_PS6_PKiS6_N6hipcub16HIPCUB_304000_NS6detail27convert_result_type_wrapperISA_SB_N2at6native12_GLOBAL__N_19CustomMinEEEEE10hipError_tPvRmT0_T1_jT2_SS_T4_T3_P12ihipStream_tbEUlT_E_NS1_11comp_targetILNS1_3genE5ELNS1_11target_archE942ELNS1_3gpuE9ELNS1_3repE0EEENS1_30default_config_static_selectorELNS0_4arch9wavefront6targetE0EEEvSR_.uses_flat_scratch, 0
	.set _ZN7rocprim17ROCPRIM_400000_NS6detail17trampoline_kernelINS0_14default_configENS1_32segmented_reduce_config_selectorIN3c108BFloat16EEEZNS1_21segmented_reduce_implIS3_PKS6_PS6_PKiS6_N6hipcub16HIPCUB_304000_NS6detail27convert_result_type_wrapperISA_SB_N2at6native12_GLOBAL__N_19CustomMinEEEEE10hipError_tPvRmT0_T1_jT2_SS_T4_T3_P12ihipStream_tbEUlT_E_NS1_11comp_targetILNS1_3genE5ELNS1_11target_archE942ELNS1_3gpuE9ELNS1_3repE0EEENS1_30default_config_static_selectorELNS0_4arch9wavefront6targetE0EEEvSR_.has_dyn_sized_stack, 0
	.set _ZN7rocprim17ROCPRIM_400000_NS6detail17trampoline_kernelINS0_14default_configENS1_32segmented_reduce_config_selectorIN3c108BFloat16EEEZNS1_21segmented_reduce_implIS3_PKS6_PS6_PKiS6_N6hipcub16HIPCUB_304000_NS6detail27convert_result_type_wrapperISA_SB_N2at6native12_GLOBAL__N_19CustomMinEEEEE10hipError_tPvRmT0_T1_jT2_SS_T4_T3_P12ihipStream_tbEUlT_E_NS1_11comp_targetILNS1_3genE5ELNS1_11target_archE942ELNS1_3gpuE9ELNS1_3repE0EEENS1_30default_config_static_selectorELNS0_4arch9wavefront6targetE0EEEvSR_.has_recursion, 0
	.set _ZN7rocprim17ROCPRIM_400000_NS6detail17trampoline_kernelINS0_14default_configENS1_32segmented_reduce_config_selectorIN3c108BFloat16EEEZNS1_21segmented_reduce_implIS3_PKS6_PS6_PKiS6_N6hipcub16HIPCUB_304000_NS6detail27convert_result_type_wrapperISA_SB_N2at6native12_GLOBAL__N_19CustomMinEEEEE10hipError_tPvRmT0_T1_jT2_SS_T4_T3_P12ihipStream_tbEUlT_E_NS1_11comp_targetILNS1_3genE5ELNS1_11target_archE942ELNS1_3gpuE9ELNS1_3repE0EEENS1_30default_config_static_selectorELNS0_4arch9wavefront6targetE0EEEvSR_.has_indirect_call, 0
	.section	.AMDGPU.csdata,"",@progbits
; Kernel info:
; codeLenInByte = 0
; TotalNumSgprs: 0
; NumVgprs: 0
; ScratchSize: 0
; MemoryBound: 0
; FloatMode: 240
; IeeeMode: 1
; LDSByteSize: 0 bytes/workgroup (compile time only)
; SGPRBlocks: 0
; VGPRBlocks: 0
; NumSGPRsForWavesPerEU: 1
; NumVGPRsForWavesPerEU: 1
; NamedBarCnt: 0
; Occupancy: 16
; WaveLimiterHint : 0
; COMPUTE_PGM_RSRC2:SCRATCH_EN: 0
; COMPUTE_PGM_RSRC2:USER_SGPR: 2
; COMPUTE_PGM_RSRC2:TRAP_HANDLER: 0
; COMPUTE_PGM_RSRC2:TGID_X_EN: 1
; COMPUTE_PGM_RSRC2:TGID_Y_EN: 0
; COMPUTE_PGM_RSRC2:TGID_Z_EN: 0
; COMPUTE_PGM_RSRC2:TIDIG_COMP_CNT: 0
	.section	.text._ZN7rocprim17ROCPRIM_400000_NS6detail17trampoline_kernelINS0_14default_configENS1_32segmented_reduce_config_selectorIN3c108BFloat16EEEZNS1_21segmented_reduce_implIS3_PKS6_PS6_PKiS6_N6hipcub16HIPCUB_304000_NS6detail27convert_result_type_wrapperISA_SB_N2at6native12_GLOBAL__N_19CustomMinEEEEE10hipError_tPvRmT0_T1_jT2_SS_T4_T3_P12ihipStream_tbEUlT_E_NS1_11comp_targetILNS1_3genE10ELNS1_11target_archE1201ELNS1_3gpuE5ELNS1_3repE0EEENS1_30default_config_static_selectorELNS0_4arch9wavefront6targetE0EEEvSR_,"axG",@progbits,_ZN7rocprim17ROCPRIM_400000_NS6detail17trampoline_kernelINS0_14default_configENS1_32segmented_reduce_config_selectorIN3c108BFloat16EEEZNS1_21segmented_reduce_implIS3_PKS6_PS6_PKiS6_N6hipcub16HIPCUB_304000_NS6detail27convert_result_type_wrapperISA_SB_N2at6native12_GLOBAL__N_19CustomMinEEEEE10hipError_tPvRmT0_T1_jT2_SS_T4_T3_P12ihipStream_tbEUlT_E_NS1_11comp_targetILNS1_3genE10ELNS1_11target_archE1201ELNS1_3gpuE5ELNS1_3repE0EEENS1_30default_config_static_selectorELNS0_4arch9wavefront6targetE0EEEvSR_,comdat
	.globl	_ZN7rocprim17ROCPRIM_400000_NS6detail17trampoline_kernelINS0_14default_configENS1_32segmented_reduce_config_selectorIN3c108BFloat16EEEZNS1_21segmented_reduce_implIS3_PKS6_PS6_PKiS6_N6hipcub16HIPCUB_304000_NS6detail27convert_result_type_wrapperISA_SB_N2at6native12_GLOBAL__N_19CustomMinEEEEE10hipError_tPvRmT0_T1_jT2_SS_T4_T3_P12ihipStream_tbEUlT_E_NS1_11comp_targetILNS1_3genE10ELNS1_11target_archE1201ELNS1_3gpuE5ELNS1_3repE0EEENS1_30default_config_static_selectorELNS0_4arch9wavefront6targetE0EEEvSR_ ; -- Begin function _ZN7rocprim17ROCPRIM_400000_NS6detail17trampoline_kernelINS0_14default_configENS1_32segmented_reduce_config_selectorIN3c108BFloat16EEEZNS1_21segmented_reduce_implIS3_PKS6_PS6_PKiS6_N6hipcub16HIPCUB_304000_NS6detail27convert_result_type_wrapperISA_SB_N2at6native12_GLOBAL__N_19CustomMinEEEEE10hipError_tPvRmT0_T1_jT2_SS_T4_T3_P12ihipStream_tbEUlT_E_NS1_11comp_targetILNS1_3genE10ELNS1_11target_archE1201ELNS1_3gpuE5ELNS1_3repE0EEENS1_30default_config_static_selectorELNS0_4arch9wavefront6targetE0EEEvSR_
	.p2align	8
	.type	_ZN7rocprim17ROCPRIM_400000_NS6detail17trampoline_kernelINS0_14default_configENS1_32segmented_reduce_config_selectorIN3c108BFloat16EEEZNS1_21segmented_reduce_implIS3_PKS6_PS6_PKiS6_N6hipcub16HIPCUB_304000_NS6detail27convert_result_type_wrapperISA_SB_N2at6native12_GLOBAL__N_19CustomMinEEEEE10hipError_tPvRmT0_T1_jT2_SS_T4_T3_P12ihipStream_tbEUlT_E_NS1_11comp_targetILNS1_3genE10ELNS1_11target_archE1201ELNS1_3gpuE5ELNS1_3repE0EEENS1_30default_config_static_selectorELNS0_4arch9wavefront6targetE0EEEvSR_,@function
_ZN7rocprim17ROCPRIM_400000_NS6detail17trampoline_kernelINS0_14default_configENS1_32segmented_reduce_config_selectorIN3c108BFloat16EEEZNS1_21segmented_reduce_implIS3_PKS6_PS6_PKiS6_N6hipcub16HIPCUB_304000_NS6detail27convert_result_type_wrapperISA_SB_N2at6native12_GLOBAL__N_19CustomMinEEEEE10hipError_tPvRmT0_T1_jT2_SS_T4_T3_P12ihipStream_tbEUlT_E_NS1_11comp_targetILNS1_3genE10ELNS1_11target_archE1201ELNS1_3gpuE5ELNS1_3repE0EEENS1_30default_config_static_selectorELNS0_4arch9wavefront6targetE0EEEvSR_: ; @_ZN7rocprim17ROCPRIM_400000_NS6detail17trampoline_kernelINS0_14default_configENS1_32segmented_reduce_config_selectorIN3c108BFloat16EEEZNS1_21segmented_reduce_implIS3_PKS6_PS6_PKiS6_N6hipcub16HIPCUB_304000_NS6detail27convert_result_type_wrapperISA_SB_N2at6native12_GLOBAL__N_19CustomMinEEEEE10hipError_tPvRmT0_T1_jT2_SS_T4_T3_P12ihipStream_tbEUlT_E_NS1_11comp_targetILNS1_3genE10ELNS1_11target_archE1201ELNS1_3gpuE5ELNS1_3repE0EEENS1_30default_config_static_selectorELNS0_4arch9wavefront6targetE0EEEvSR_
; %bb.0:
	.section	.rodata,"a",@progbits
	.p2align	6, 0x0
	.amdhsa_kernel _ZN7rocprim17ROCPRIM_400000_NS6detail17trampoline_kernelINS0_14default_configENS1_32segmented_reduce_config_selectorIN3c108BFloat16EEEZNS1_21segmented_reduce_implIS3_PKS6_PS6_PKiS6_N6hipcub16HIPCUB_304000_NS6detail27convert_result_type_wrapperISA_SB_N2at6native12_GLOBAL__N_19CustomMinEEEEE10hipError_tPvRmT0_T1_jT2_SS_T4_T3_P12ihipStream_tbEUlT_E_NS1_11comp_targetILNS1_3genE10ELNS1_11target_archE1201ELNS1_3gpuE5ELNS1_3repE0EEENS1_30default_config_static_selectorELNS0_4arch9wavefront6targetE0EEEvSR_
		.amdhsa_group_segment_fixed_size 0
		.amdhsa_private_segment_fixed_size 0
		.amdhsa_kernarg_size 48
		.amdhsa_user_sgpr_count 2
		.amdhsa_user_sgpr_dispatch_ptr 0
		.amdhsa_user_sgpr_queue_ptr 0
		.amdhsa_user_sgpr_kernarg_segment_ptr 1
		.amdhsa_user_sgpr_dispatch_id 0
		.amdhsa_user_sgpr_kernarg_preload_length 0
		.amdhsa_user_sgpr_kernarg_preload_offset 0
		.amdhsa_user_sgpr_private_segment_size 0
		.amdhsa_wavefront_size32 1
		.amdhsa_uses_dynamic_stack 0
		.amdhsa_enable_private_segment 0
		.amdhsa_system_sgpr_workgroup_id_x 1
		.amdhsa_system_sgpr_workgroup_id_y 0
		.amdhsa_system_sgpr_workgroup_id_z 0
		.amdhsa_system_sgpr_workgroup_info 0
		.amdhsa_system_vgpr_workitem_id 0
		.amdhsa_next_free_vgpr 1
		.amdhsa_next_free_sgpr 1
		.amdhsa_named_barrier_count 0
		.amdhsa_reserve_vcc 0
		.amdhsa_float_round_mode_32 0
		.amdhsa_float_round_mode_16_64 0
		.amdhsa_float_denorm_mode_32 3
		.amdhsa_float_denorm_mode_16_64 3
		.amdhsa_fp16_overflow 0
		.amdhsa_memory_ordered 1
		.amdhsa_forward_progress 1
		.amdhsa_inst_pref_size 0
		.amdhsa_round_robin_scheduling 0
		.amdhsa_exception_fp_ieee_invalid_op 0
		.amdhsa_exception_fp_denorm_src 0
		.amdhsa_exception_fp_ieee_div_zero 0
		.amdhsa_exception_fp_ieee_overflow 0
		.amdhsa_exception_fp_ieee_underflow 0
		.amdhsa_exception_fp_ieee_inexact 0
		.amdhsa_exception_int_div_zero 0
	.end_amdhsa_kernel
	.section	.text._ZN7rocprim17ROCPRIM_400000_NS6detail17trampoline_kernelINS0_14default_configENS1_32segmented_reduce_config_selectorIN3c108BFloat16EEEZNS1_21segmented_reduce_implIS3_PKS6_PS6_PKiS6_N6hipcub16HIPCUB_304000_NS6detail27convert_result_type_wrapperISA_SB_N2at6native12_GLOBAL__N_19CustomMinEEEEE10hipError_tPvRmT0_T1_jT2_SS_T4_T3_P12ihipStream_tbEUlT_E_NS1_11comp_targetILNS1_3genE10ELNS1_11target_archE1201ELNS1_3gpuE5ELNS1_3repE0EEENS1_30default_config_static_selectorELNS0_4arch9wavefront6targetE0EEEvSR_,"axG",@progbits,_ZN7rocprim17ROCPRIM_400000_NS6detail17trampoline_kernelINS0_14default_configENS1_32segmented_reduce_config_selectorIN3c108BFloat16EEEZNS1_21segmented_reduce_implIS3_PKS6_PS6_PKiS6_N6hipcub16HIPCUB_304000_NS6detail27convert_result_type_wrapperISA_SB_N2at6native12_GLOBAL__N_19CustomMinEEEEE10hipError_tPvRmT0_T1_jT2_SS_T4_T3_P12ihipStream_tbEUlT_E_NS1_11comp_targetILNS1_3genE10ELNS1_11target_archE1201ELNS1_3gpuE5ELNS1_3repE0EEENS1_30default_config_static_selectorELNS0_4arch9wavefront6targetE0EEEvSR_,comdat
.Lfunc_end130:
	.size	_ZN7rocprim17ROCPRIM_400000_NS6detail17trampoline_kernelINS0_14default_configENS1_32segmented_reduce_config_selectorIN3c108BFloat16EEEZNS1_21segmented_reduce_implIS3_PKS6_PS6_PKiS6_N6hipcub16HIPCUB_304000_NS6detail27convert_result_type_wrapperISA_SB_N2at6native12_GLOBAL__N_19CustomMinEEEEE10hipError_tPvRmT0_T1_jT2_SS_T4_T3_P12ihipStream_tbEUlT_E_NS1_11comp_targetILNS1_3genE10ELNS1_11target_archE1201ELNS1_3gpuE5ELNS1_3repE0EEENS1_30default_config_static_selectorELNS0_4arch9wavefront6targetE0EEEvSR_, .Lfunc_end130-_ZN7rocprim17ROCPRIM_400000_NS6detail17trampoline_kernelINS0_14default_configENS1_32segmented_reduce_config_selectorIN3c108BFloat16EEEZNS1_21segmented_reduce_implIS3_PKS6_PS6_PKiS6_N6hipcub16HIPCUB_304000_NS6detail27convert_result_type_wrapperISA_SB_N2at6native12_GLOBAL__N_19CustomMinEEEEE10hipError_tPvRmT0_T1_jT2_SS_T4_T3_P12ihipStream_tbEUlT_E_NS1_11comp_targetILNS1_3genE10ELNS1_11target_archE1201ELNS1_3gpuE5ELNS1_3repE0EEENS1_30default_config_static_selectorELNS0_4arch9wavefront6targetE0EEEvSR_
                                        ; -- End function
	.set _ZN7rocprim17ROCPRIM_400000_NS6detail17trampoline_kernelINS0_14default_configENS1_32segmented_reduce_config_selectorIN3c108BFloat16EEEZNS1_21segmented_reduce_implIS3_PKS6_PS6_PKiS6_N6hipcub16HIPCUB_304000_NS6detail27convert_result_type_wrapperISA_SB_N2at6native12_GLOBAL__N_19CustomMinEEEEE10hipError_tPvRmT0_T1_jT2_SS_T4_T3_P12ihipStream_tbEUlT_E_NS1_11comp_targetILNS1_3genE10ELNS1_11target_archE1201ELNS1_3gpuE5ELNS1_3repE0EEENS1_30default_config_static_selectorELNS0_4arch9wavefront6targetE0EEEvSR_.num_vgpr, 0
	.set _ZN7rocprim17ROCPRIM_400000_NS6detail17trampoline_kernelINS0_14default_configENS1_32segmented_reduce_config_selectorIN3c108BFloat16EEEZNS1_21segmented_reduce_implIS3_PKS6_PS6_PKiS6_N6hipcub16HIPCUB_304000_NS6detail27convert_result_type_wrapperISA_SB_N2at6native12_GLOBAL__N_19CustomMinEEEEE10hipError_tPvRmT0_T1_jT2_SS_T4_T3_P12ihipStream_tbEUlT_E_NS1_11comp_targetILNS1_3genE10ELNS1_11target_archE1201ELNS1_3gpuE5ELNS1_3repE0EEENS1_30default_config_static_selectorELNS0_4arch9wavefront6targetE0EEEvSR_.num_agpr, 0
	.set _ZN7rocprim17ROCPRIM_400000_NS6detail17trampoline_kernelINS0_14default_configENS1_32segmented_reduce_config_selectorIN3c108BFloat16EEEZNS1_21segmented_reduce_implIS3_PKS6_PS6_PKiS6_N6hipcub16HIPCUB_304000_NS6detail27convert_result_type_wrapperISA_SB_N2at6native12_GLOBAL__N_19CustomMinEEEEE10hipError_tPvRmT0_T1_jT2_SS_T4_T3_P12ihipStream_tbEUlT_E_NS1_11comp_targetILNS1_3genE10ELNS1_11target_archE1201ELNS1_3gpuE5ELNS1_3repE0EEENS1_30default_config_static_selectorELNS0_4arch9wavefront6targetE0EEEvSR_.numbered_sgpr, 0
	.set _ZN7rocprim17ROCPRIM_400000_NS6detail17trampoline_kernelINS0_14default_configENS1_32segmented_reduce_config_selectorIN3c108BFloat16EEEZNS1_21segmented_reduce_implIS3_PKS6_PS6_PKiS6_N6hipcub16HIPCUB_304000_NS6detail27convert_result_type_wrapperISA_SB_N2at6native12_GLOBAL__N_19CustomMinEEEEE10hipError_tPvRmT0_T1_jT2_SS_T4_T3_P12ihipStream_tbEUlT_E_NS1_11comp_targetILNS1_3genE10ELNS1_11target_archE1201ELNS1_3gpuE5ELNS1_3repE0EEENS1_30default_config_static_selectorELNS0_4arch9wavefront6targetE0EEEvSR_.num_named_barrier, 0
	.set _ZN7rocprim17ROCPRIM_400000_NS6detail17trampoline_kernelINS0_14default_configENS1_32segmented_reduce_config_selectorIN3c108BFloat16EEEZNS1_21segmented_reduce_implIS3_PKS6_PS6_PKiS6_N6hipcub16HIPCUB_304000_NS6detail27convert_result_type_wrapperISA_SB_N2at6native12_GLOBAL__N_19CustomMinEEEEE10hipError_tPvRmT0_T1_jT2_SS_T4_T3_P12ihipStream_tbEUlT_E_NS1_11comp_targetILNS1_3genE10ELNS1_11target_archE1201ELNS1_3gpuE5ELNS1_3repE0EEENS1_30default_config_static_selectorELNS0_4arch9wavefront6targetE0EEEvSR_.private_seg_size, 0
	.set _ZN7rocprim17ROCPRIM_400000_NS6detail17trampoline_kernelINS0_14default_configENS1_32segmented_reduce_config_selectorIN3c108BFloat16EEEZNS1_21segmented_reduce_implIS3_PKS6_PS6_PKiS6_N6hipcub16HIPCUB_304000_NS6detail27convert_result_type_wrapperISA_SB_N2at6native12_GLOBAL__N_19CustomMinEEEEE10hipError_tPvRmT0_T1_jT2_SS_T4_T3_P12ihipStream_tbEUlT_E_NS1_11comp_targetILNS1_3genE10ELNS1_11target_archE1201ELNS1_3gpuE5ELNS1_3repE0EEENS1_30default_config_static_selectorELNS0_4arch9wavefront6targetE0EEEvSR_.uses_vcc, 0
	.set _ZN7rocprim17ROCPRIM_400000_NS6detail17trampoline_kernelINS0_14default_configENS1_32segmented_reduce_config_selectorIN3c108BFloat16EEEZNS1_21segmented_reduce_implIS3_PKS6_PS6_PKiS6_N6hipcub16HIPCUB_304000_NS6detail27convert_result_type_wrapperISA_SB_N2at6native12_GLOBAL__N_19CustomMinEEEEE10hipError_tPvRmT0_T1_jT2_SS_T4_T3_P12ihipStream_tbEUlT_E_NS1_11comp_targetILNS1_3genE10ELNS1_11target_archE1201ELNS1_3gpuE5ELNS1_3repE0EEENS1_30default_config_static_selectorELNS0_4arch9wavefront6targetE0EEEvSR_.uses_flat_scratch, 0
	.set _ZN7rocprim17ROCPRIM_400000_NS6detail17trampoline_kernelINS0_14default_configENS1_32segmented_reduce_config_selectorIN3c108BFloat16EEEZNS1_21segmented_reduce_implIS3_PKS6_PS6_PKiS6_N6hipcub16HIPCUB_304000_NS6detail27convert_result_type_wrapperISA_SB_N2at6native12_GLOBAL__N_19CustomMinEEEEE10hipError_tPvRmT0_T1_jT2_SS_T4_T3_P12ihipStream_tbEUlT_E_NS1_11comp_targetILNS1_3genE10ELNS1_11target_archE1201ELNS1_3gpuE5ELNS1_3repE0EEENS1_30default_config_static_selectorELNS0_4arch9wavefront6targetE0EEEvSR_.has_dyn_sized_stack, 0
	.set _ZN7rocprim17ROCPRIM_400000_NS6detail17trampoline_kernelINS0_14default_configENS1_32segmented_reduce_config_selectorIN3c108BFloat16EEEZNS1_21segmented_reduce_implIS3_PKS6_PS6_PKiS6_N6hipcub16HIPCUB_304000_NS6detail27convert_result_type_wrapperISA_SB_N2at6native12_GLOBAL__N_19CustomMinEEEEE10hipError_tPvRmT0_T1_jT2_SS_T4_T3_P12ihipStream_tbEUlT_E_NS1_11comp_targetILNS1_3genE10ELNS1_11target_archE1201ELNS1_3gpuE5ELNS1_3repE0EEENS1_30default_config_static_selectorELNS0_4arch9wavefront6targetE0EEEvSR_.has_recursion, 0
	.set _ZN7rocprim17ROCPRIM_400000_NS6detail17trampoline_kernelINS0_14default_configENS1_32segmented_reduce_config_selectorIN3c108BFloat16EEEZNS1_21segmented_reduce_implIS3_PKS6_PS6_PKiS6_N6hipcub16HIPCUB_304000_NS6detail27convert_result_type_wrapperISA_SB_N2at6native12_GLOBAL__N_19CustomMinEEEEE10hipError_tPvRmT0_T1_jT2_SS_T4_T3_P12ihipStream_tbEUlT_E_NS1_11comp_targetILNS1_3genE10ELNS1_11target_archE1201ELNS1_3gpuE5ELNS1_3repE0EEENS1_30default_config_static_selectorELNS0_4arch9wavefront6targetE0EEEvSR_.has_indirect_call, 0
	.section	.AMDGPU.csdata,"",@progbits
; Kernel info:
; codeLenInByte = 0
; TotalNumSgprs: 0
; NumVgprs: 0
; ScratchSize: 0
; MemoryBound: 0
; FloatMode: 240
; IeeeMode: 1
; LDSByteSize: 0 bytes/workgroup (compile time only)
; SGPRBlocks: 0
; VGPRBlocks: 0
; NumSGPRsForWavesPerEU: 1
; NumVGPRsForWavesPerEU: 1
; NamedBarCnt: 0
; Occupancy: 16
; WaveLimiterHint : 0
; COMPUTE_PGM_RSRC2:SCRATCH_EN: 0
; COMPUTE_PGM_RSRC2:USER_SGPR: 2
; COMPUTE_PGM_RSRC2:TRAP_HANDLER: 0
; COMPUTE_PGM_RSRC2:TGID_X_EN: 1
; COMPUTE_PGM_RSRC2:TGID_Y_EN: 0
; COMPUTE_PGM_RSRC2:TGID_Z_EN: 0
; COMPUTE_PGM_RSRC2:TIDIG_COMP_CNT: 0
	.section	.text._ZN7rocprim17ROCPRIM_400000_NS6detail17trampoline_kernelINS0_14default_configENS1_32segmented_reduce_config_selectorIN3c108BFloat16EEEZNS1_21segmented_reduce_implIS3_PKS6_PS6_PKiS6_N6hipcub16HIPCUB_304000_NS6detail27convert_result_type_wrapperISA_SB_N2at6native12_GLOBAL__N_19CustomMinEEEEE10hipError_tPvRmT0_T1_jT2_SS_T4_T3_P12ihipStream_tbEUlT_E_NS1_11comp_targetILNS1_3genE4ELNS1_11target_archE910ELNS1_3gpuE8ELNS1_3repE0EEENS1_30default_config_static_selectorELNS0_4arch9wavefront6targetE0EEEvSR_,"axG",@progbits,_ZN7rocprim17ROCPRIM_400000_NS6detail17trampoline_kernelINS0_14default_configENS1_32segmented_reduce_config_selectorIN3c108BFloat16EEEZNS1_21segmented_reduce_implIS3_PKS6_PS6_PKiS6_N6hipcub16HIPCUB_304000_NS6detail27convert_result_type_wrapperISA_SB_N2at6native12_GLOBAL__N_19CustomMinEEEEE10hipError_tPvRmT0_T1_jT2_SS_T4_T3_P12ihipStream_tbEUlT_E_NS1_11comp_targetILNS1_3genE4ELNS1_11target_archE910ELNS1_3gpuE8ELNS1_3repE0EEENS1_30default_config_static_selectorELNS0_4arch9wavefront6targetE0EEEvSR_,comdat
	.globl	_ZN7rocprim17ROCPRIM_400000_NS6detail17trampoline_kernelINS0_14default_configENS1_32segmented_reduce_config_selectorIN3c108BFloat16EEEZNS1_21segmented_reduce_implIS3_PKS6_PS6_PKiS6_N6hipcub16HIPCUB_304000_NS6detail27convert_result_type_wrapperISA_SB_N2at6native12_GLOBAL__N_19CustomMinEEEEE10hipError_tPvRmT0_T1_jT2_SS_T4_T3_P12ihipStream_tbEUlT_E_NS1_11comp_targetILNS1_3genE4ELNS1_11target_archE910ELNS1_3gpuE8ELNS1_3repE0EEENS1_30default_config_static_selectorELNS0_4arch9wavefront6targetE0EEEvSR_ ; -- Begin function _ZN7rocprim17ROCPRIM_400000_NS6detail17trampoline_kernelINS0_14default_configENS1_32segmented_reduce_config_selectorIN3c108BFloat16EEEZNS1_21segmented_reduce_implIS3_PKS6_PS6_PKiS6_N6hipcub16HIPCUB_304000_NS6detail27convert_result_type_wrapperISA_SB_N2at6native12_GLOBAL__N_19CustomMinEEEEE10hipError_tPvRmT0_T1_jT2_SS_T4_T3_P12ihipStream_tbEUlT_E_NS1_11comp_targetILNS1_3genE4ELNS1_11target_archE910ELNS1_3gpuE8ELNS1_3repE0EEENS1_30default_config_static_selectorELNS0_4arch9wavefront6targetE0EEEvSR_
	.p2align	8
	.type	_ZN7rocprim17ROCPRIM_400000_NS6detail17trampoline_kernelINS0_14default_configENS1_32segmented_reduce_config_selectorIN3c108BFloat16EEEZNS1_21segmented_reduce_implIS3_PKS6_PS6_PKiS6_N6hipcub16HIPCUB_304000_NS6detail27convert_result_type_wrapperISA_SB_N2at6native12_GLOBAL__N_19CustomMinEEEEE10hipError_tPvRmT0_T1_jT2_SS_T4_T3_P12ihipStream_tbEUlT_E_NS1_11comp_targetILNS1_3genE4ELNS1_11target_archE910ELNS1_3gpuE8ELNS1_3repE0EEENS1_30default_config_static_selectorELNS0_4arch9wavefront6targetE0EEEvSR_,@function
_ZN7rocprim17ROCPRIM_400000_NS6detail17trampoline_kernelINS0_14default_configENS1_32segmented_reduce_config_selectorIN3c108BFloat16EEEZNS1_21segmented_reduce_implIS3_PKS6_PS6_PKiS6_N6hipcub16HIPCUB_304000_NS6detail27convert_result_type_wrapperISA_SB_N2at6native12_GLOBAL__N_19CustomMinEEEEE10hipError_tPvRmT0_T1_jT2_SS_T4_T3_P12ihipStream_tbEUlT_E_NS1_11comp_targetILNS1_3genE4ELNS1_11target_archE910ELNS1_3gpuE8ELNS1_3repE0EEENS1_30default_config_static_selectorELNS0_4arch9wavefront6targetE0EEEvSR_: ; @_ZN7rocprim17ROCPRIM_400000_NS6detail17trampoline_kernelINS0_14default_configENS1_32segmented_reduce_config_selectorIN3c108BFloat16EEEZNS1_21segmented_reduce_implIS3_PKS6_PS6_PKiS6_N6hipcub16HIPCUB_304000_NS6detail27convert_result_type_wrapperISA_SB_N2at6native12_GLOBAL__N_19CustomMinEEEEE10hipError_tPvRmT0_T1_jT2_SS_T4_T3_P12ihipStream_tbEUlT_E_NS1_11comp_targetILNS1_3genE4ELNS1_11target_archE910ELNS1_3gpuE8ELNS1_3repE0EEENS1_30default_config_static_selectorELNS0_4arch9wavefront6targetE0EEEvSR_
; %bb.0:
	.section	.rodata,"a",@progbits
	.p2align	6, 0x0
	.amdhsa_kernel _ZN7rocprim17ROCPRIM_400000_NS6detail17trampoline_kernelINS0_14default_configENS1_32segmented_reduce_config_selectorIN3c108BFloat16EEEZNS1_21segmented_reduce_implIS3_PKS6_PS6_PKiS6_N6hipcub16HIPCUB_304000_NS6detail27convert_result_type_wrapperISA_SB_N2at6native12_GLOBAL__N_19CustomMinEEEEE10hipError_tPvRmT0_T1_jT2_SS_T4_T3_P12ihipStream_tbEUlT_E_NS1_11comp_targetILNS1_3genE4ELNS1_11target_archE910ELNS1_3gpuE8ELNS1_3repE0EEENS1_30default_config_static_selectorELNS0_4arch9wavefront6targetE0EEEvSR_
		.amdhsa_group_segment_fixed_size 0
		.amdhsa_private_segment_fixed_size 0
		.amdhsa_kernarg_size 48
		.amdhsa_user_sgpr_count 2
		.amdhsa_user_sgpr_dispatch_ptr 0
		.amdhsa_user_sgpr_queue_ptr 0
		.amdhsa_user_sgpr_kernarg_segment_ptr 1
		.amdhsa_user_sgpr_dispatch_id 0
		.amdhsa_user_sgpr_kernarg_preload_length 0
		.amdhsa_user_sgpr_kernarg_preload_offset 0
		.amdhsa_user_sgpr_private_segment_size 0
		.amdhsa_wavefront_size32 1
		.amdhsa_uses_dynamic_stack 0
		.amdhsa_enable_private_segment 0
		.amdhsa_system_sgpr_workgroup_id_x 1
		.amdhsa_system_sgpr_workgroup_id_y 0
		.amdhsa_system_sgpr_workgroup_id_z 0
		.amdhsa_system_sgpr_workgroup_info 0
		.amdhsa_system_vgpr_workitem_id 0
		.amdhsa_next_free_vgpr 1
		.amdhsa_next_free_sgpr 1
		.amdhsa_named_barrier_count 0
		.amdhsa_reserve_vcc 0
		.amdhsa_float_round_mode_32 0
		.amdhsa_float_round_mode_16_64 0
		.amdhsa_float_denorm_mode_32 3
		.amdhsa_float_denorm_mode_16_64 3
		.amdhsa_fp16_overflow 0
		.amdhsa_memory_ordered 1
		.amdhsa_forward_progress 1
		.amdhsa_inst_pref_size 0
		.amdhsa_round_robin_scheduling 0
		.amdhsa_exception_fp_ieee_invalid_op 0
		.amdhsa_exception_fp_denorm_src 0
		.amdhsa_exception_fp_ieee_div_zero 0
		.amdhsa_exception_fp_ieee_overflow 0
		.amdhsa_exception_fp_ieee_underflow 0
		.amdhsa_exception_fp_ieee_inexact 0
		.amdhsa_exception_int_div_zero 0
	.end_amdhsa_kernel
	.section	.text._ZN7rocprim17ROCPRIM_400000_NS6detail17trampoline_kernelINS0_14default_configENS1_32segmented_reduce_config_selectorIN3c108BFloat16EEEZNS1_21segmented_reduce_implIS3_PKS6_PS6_PKiS6_N6hipcub16HIPCUB_304000_NS6detail27convert_result_type_wrapperISA_SB_N2at6native12_GLOBAL__N_19CustomMinEEEEE10hipError_tPvRmT0_T1_jT2_SS_T4_T3_P12ihipStream_tbEUlT_E_NS1_11comp_targetILNS1_3genE4ELNS1_11target_archE910ELNS1_3gpuE8ELNS1_3repE0EEENS1_30default_config_static_selectorELNS0_4arch9wavefront6targetE0EEEvSR_,"axG",@progbits,_ZN7rocprim17ROCPRIM_400000_NS6detail17trampoline_kernelINS0_14default_configENS1_32segmented_reduce_config_selectorIN3c108BFloat16EEEZNS1_21segmented_reduce_implIS3_PKS6_PS6_PKiS6_N6hipcub16HIPCUB_304000_NS6detail27convert_result_type_wrapperISA_SB_N2at6native12_GLOBAL__N_19CustomMinEEEEE10hipError_tPvRmT0_T1_jT2_SS_T4_T3_P12ihipStream_tbEUlT_E_NS1_11comp_targetILNS1_3genE4ELNS1_11target_archE910ELNS1_3gpuE8ELNS1_3repE0EEENS1_30default_config_static_selectorELNS0_4arch9wavefront6targetE0EEEvSR_,comdat
.Lfunc_end131:
	.size	_ZN7rocprim17ROCPRIM_400000_NS6detail17trampoline_kernelINS0_14default_configENS1_32segmented_reduce_config_selectorIN3c108BFloat16EEEZNS1_21segmented_reduce_implIS3_PKS6_PS6_PKiS6_N6hipcub16HIPCUB_304000_NS6detail27convert_result_type_wrapperISA_SB_N2at6native12_GLOBAL__N_19CustomMinEEEEE10hipError_tPvRmT0_T1_jT2_SS_T4_T3_P12ihipStream_tbEUlT_E_NS1_11comp_targetILNS1_3genE4ELNS1_11target_archE910ELNS1_3gpuE8ELNS1_3repE0EEENS1_30default_config_static_selectorELNS0_4arch9wavefront6targetE0EEEvSR_, .Lfunc_end131-_ZN7rocprim17ROCPRIM_400000_NS6detail17trampoline_kernelINS0_14default_configENS1_32segmented_reduce_config_selectorIN3c108BFloat16EEEZNS1_21segmented_reduce_implIS3_PKS6_PS6_PKiS6_N6hipcub16HIPCUB_304000_NS6detail27convert_result_type_wrapperISA_SB_N2at6native12_GLOBAL__N_19CustomMinEEEEE10hipError_tPvRmT0_T1_jT2_SS_T4_T3_P12ihipStream_tbEUlT_E_NS1_11comp_targetILNS1_3genE4ELNS1_11target_archE910ELNS1_3gpuE8ELNS1_3repE0EEENS1_30default_config_static_selectorELNS0_4arch9wavefront6targetE0EEEvSR_
                                        ; -- End function
	.set _ZN7rocprim17ROCPRIM_400000_NS6detail17trampoline_kernelINS0_14default_configENS1_32segmented_reduce_config_selectorIN3c108BFloat16EEEZNS1_21segmented_reduce_implIS3_PKS6_PS6_PKiS6_N6hipcub16HIPCUB_304000_NS6detail27convert_result_type_wrapperISA_SB_N2at6native12_GLOBAL__N_19CustomMinEEEEE10hipError_tPvRmT0_T1_jT2_SS_T4_T3_P12ihipStream_tbEUlT_E_NS1_11comp_targetILNS1_3genE4ELNS1_11target_archE910ELNS1_3gpuE8ELNS1_3repE0EEENS1_30default_config_static_selectorELNS0_4arch9wavefront6targetE0EEEvSR_.num_vgpr, 0
	.set _ZN7rocprim17ROCPRIM_400000_NS6detail17trampoline_kernelINS0_14default_configENS1_32segmented_reduce_config_selectorIN3c108BFloat16EEEZNS1_21segmented_reduce_implIS3_PKS6_PS6_PKiS6_N6hipcub16HIPCUB_304000_NS6detail27convert_result_type_wrapperISA_SB_N2at6native12_GLOBAL__N_19CustomMinEEEEE10hipError_tPvRmT0_T1_jT2_SS_T4_T3_P12ihipStream_tbEUlT_E_NS1_11comp_targetILNS1_3genE4ELNS1_11target_archE910ELNS1_3gpuE8ELNS1_3repE0EEENS1_30default_config_static_selectorELNS0_4arch9wavefront6targetE0EEEvSR_.num_agpr, 0
	.set _ZN7rocprim17ROCPRIM_400000_NS6detail17trampoline_kernelINS0_14default_configENS1_32segmented_reduce_config_selectorIN3c108BFloat16EEEZNS1_21segmented_reduce_implIS3_PKS6_PS6_PKiS6_N6hipcub16HIPCUB_304000_NS6detail27convert_result_type_wrapperISA_SB_N2at6native12_GLOBAL__N_19CustomMinEEEEE10hipError_tPvRmT0_T1_jT2_SS_T4_T3_P12ihipStream_tbEUlT_E_NS1_11comp_targetILNS1_3genE4ELNS1_11target_archE910ELNS1_3gpuE8ELNS1_3repE0EEENS1_30default_config_static_selectorELNS0_4arch9wavefront6targetE0EEEvSR_.numbered_sgpr, 0
	.set _ZN7rocprim17ROCPRIM_400000_NS6detail17trampoline_kernelINS0_14default_configENS1_32segmented_reduce_config_selectorIN3c108BFloat16EEEZNS1_21segmented_reduce_implIS3_PKS6_PS6_PKiS6_N6hipcub16HIPCUB_304000_NS6detail27convert_result_type_wrapperISA_SB_N2at6native12_GLOBAL__N_19CustomMinEEEEE10hipError_tPvRmT0_T1_jT2_SS_T4_T3_P12ihipStream_tbEUlT_E_NS1_11comp_targetILNS1_3genE4ELNS1_11target_archE910ELNS1_3gpuE8ELNS1_3repE0EEENS1_30default_config_static_selectorELNS0_4arch9wavefront6targetE0EEEvSR_.num_named_barrier, 0
	.set _ZN7rocprim17ROCPRIM_400000_NS6detail17trampoline_kernelINS0_14default_configENS1_32segmented_reduce_config_selectorIN3c108BFloat16EEEZNS1_21segmented_reduce_implIS3_PKS6_PS6_PKiS6_N6hipcub16HIPCUB_304000_NS6detail27convert_result_type_wrapperISA_SB_N2at6native12_GLOBAL__N_19CustomMinEEEEE10hipError_tPvRmT0_T1_jT2_SS_T4_T3_P12ihipStream_tbEUlT_E_NS1_11comp_targetILNS1_3genE4ELNS1_11target_archE910ELNS1_3gpuE8ELNS1_3repE0EEENS1_30default_config_static_selectorELNS0_4arch9wavefront6targetE0EEEvSR_.private_seg_size, 0
	.set _ZN7rocprim17ROCPRIM_400000_NS6detail17trampoline_kernelINS0_14default_configENS1_32segmented_reduce_config_selectorIN3c108BFloat16EEEZNS1_21segmented_reduce_implIS3_PKS6_PS6_PKiS6_N6hipcub16HIPCUB_304000_NS6detail27convert_result_type_wrapperISA_SB_N2at6native12_GLOBAL__N_19CustomMinEEEEE10hipError_tPvRmT0_T1_jT2_SS_T4_T3_P12ihipStream_tbEUlT_E_NS1_11comp_targetILNS1_3genE4ELNS1_11target_archE910ELNS1_3gpuE8ELNS1_3repE0EEENS1_30default_config_static_selectorELNS0_4arch9wavefront6targetE0EEEvSR_.uses_vcc, 0
	.set _ZN7rocprim17ROCPRIM_400000_NS6detail17trampoline_kernelINS0_14default_configENS1_32segmented_reduce_config_selectorIN3c108BFloat16EEEZNS1_21segmented_reduce_implIS3_PKS6_PS6_PKiS6_N6hipcub16HIPCUB_304000_NS6detail27convert_result_type_wrapperISA_SB_N2at6native12_GLOBAL__N_19CustomMinEEEEE10hipError_tPvRmT0_T1_jT2_SS_T4_T3_P12ihipStream_tbEUlT_E_NS1_11comp_targetILNS1_3genE4ELNS1_11target_archE910ELNS1_3gpuE8ELNS1_3repE0EEENS1_30default_config_static_selectorELNS0_4arch9wavefront6targetE0EEEvSR_.uses_flat_scratch, 0
	.set _ZN7rocprim17ROCPRIM_400000_NS6detail17trampoline_kernelINS0_14default_configENS1_32segmented_reduce_config_selectorIN3c108BFloat16EEEZNS1_21segmented_reduce_implIS3_PKS6_PS6_PKiS6_N6hipcub16HIPCUB_304000_NS6detail27convert_result_type_wrapperISA_SB_N2at6native12_GLOBAL__N_19CustomMinEEEEE10hipError_tPvRmT0_T1_jT2_SS_T4_T3_P12ihipStream_tbEUlT_E_NS1_11comp_targetILNS1_3genE4ELNS1_11target_archE910ELNS1_3gpuE8ELNS1_3repE0EEENS1_30default_config_static_selectorELNS0_4arch9wavefront6targetE0EEEvSR_.has_dyn_sized_stack, 0
	.set _ZN7rocprim17ROCPRIM_400000_NS6detail17trampoline_kernelINS0_14default_configENS1_32segmented_reduce_config_selectorIN3c108BFloat16EEEZNS1_21segmented_reduce_implIS3_PKS6_PS6_PKiS6_N6hipcub16HIPCUB_304000_NS6detail27convert_result_type_wrapperISA_SB_N2at6native12_GLOBAL__N_19CustomMinEEEEE10hipError_tPvRmT0_T1_jT2_SS_T4_T3_P12ihipStream_tbEUlT_E_NS1_11comp_targetILNS1_3genE4ELNS1_11target_archE910ELNS1_3gpuE8ELNS1_3repE0EEENS1_30default_config_static_selectorELNS0_4arch9wavefront6targetE0EEEvSR_.has_recursion, 0
	.set _ZN7rocprim17ROCPRIM_400000_NS6detail17trampoline_kernelINS0_14default_configENS1_32segmented_reduce_config_selectorIN3c108BFloat16EEEZNS1_21segmented_reduce_implIS3_PKS6_PS6_PKiS6_N6hipcub16HIPCUB_304000_NS6detail27convert_result_type_wrapperISA_SB_N2at6native12_GLOBAL__N_19CustomMinEEEEE10hipError_tPvRmT0_T1_jT2_SS_T4_T3_P12ihipStream_tbEUlT_E_NS1_11comp_targetILNS1_3genE4ELNS1_11target_archE910ELNS1_3gpuE8ELNS1_3repE0EEENS1_30default_config_static_selectorELNS0_4arch9wavefront6targetE0EEEvSR_.has_indirect_call, 0
	.section	.AMDGPU.csdata,"",@progbits
; Kernel info:
; codeLenInByte = 0
; TotalNumSgprs: 0
; NumVgprs: 0
; ScratchSize: 0
; MemoryBound: 0
; FloatMode: 240
; IeeeMode: 1
; LDSByteSize: 0 bytes/workgroup (compile time only)
; SGPRBlocks: 0
; VGPRBlocks: 0
; NumSGPRsForWavesPerEU: 1
; NumVGPRsForWavesPerEU: 1
; NamedBarCnt: 0
; Occupancy: 16
; WaveLimiterHint : 0
; COMPUTE_PGM_RSRC2:SCRATCH_EN: 0
; COMPUTE_PGM_RSRC2:USER_SGPR: 2
; COMPUTE_PGM_RSRC2:TRAP_HANDLER: 0
; COMPUTE_PGM_RSRC2:TGID_X_EN: 1
; COMPUTE_PGM_RSRC2:TGID_Y_EN: 0
; COMPUTE_PGM_RSRC2:TGID_Z_EN: 0
; COMPUTE_PGM_RSRC2:TIDIG_COMP_CNT: 0
	.section	.text._ZN7rocprim17ROCPRIM_400000_NS6detail17trampoline_kernelINS0_14default_configENS1_32segmented_reduce_config_selectorIN3c108BFloat16EEEZNS1_21segmented_reduce_implIS3_PKS6_PS6_PKiS6_N6hipcub16HIPCUB_304000_NS6detail27convert_result_type_wrapperISA_SB_N2at6native12_GLOBAL__N_19CustomMinEEEEE10hipError_tPvRmT0_T1_jT2_SS_T4_T3_P12ihipStream_tbEUlT_E_NS1_11comp_targetILNS1_3genE3ELNS1_11target_archE908ELNS1_3gpuE7ELNS1_3repE0EEENS1_30default_config_static_selectorELNS0_4arch9wavefront6targetE0EEEvSR_,"axG",@progbits,_ZN7rocprim17ROCPRIM_400000_NS6detail17trampoline_kernelINS0_14default_configENS1_32segmented_reduce_config_selectorIN3c108BFloat16EEEZNS1_21segmented_reduce_implIS3_PKS6_PS6_PKiS6_N6hipcub16HIPCUB_304000_NS6detail27convert_result_type_wrapperISA_SB_N2at6native12_GLOBAL__N_19CustomMinEEEEE10hipError_tPvRmT0_T1_jT2_SS_T4_T3_P12ihipStream_tbEUlT_E_NS1_11comp_targetILNS1_3genE3ELNS1_11target_archE908ELNS1_3gpuE7ELNS1_3repE0EEENS1_30default_config_static_selectorELNS0_4arch9wavefront6targetE0EEEvSR_,comdat
	.globl	_ZN7rocprim17ROCPRIM_400000_NS6detail17trampoline_kernelINS0_14default_configENS1_32segmented_reduce_config_selectorIN3c108BFloat16EEEZNS1_21segmented_reduce_implIS3_PKS6_PS6_PKiS6_N6hipcub16HIPCUB_304000_NS6detail27convert_result_type_wrapperISA_SB_N2at6native12_GLOBAL__N_19CustomMinEEEEE10hipError_tPvRmT0_T1_jT2_SS_T4_T3_P12ihipStream_tbEUlT_E_NS1_11comp_targetILNS1_3genE3ELNS1_11target_archE908ELNS1_3gpuE7ELNS1_3repE0EEENS1_30default_config_static_selectorELNS0_4arch9wavefront6targetE0EEEvSR_ ; -- Begin function _ZN7rocprim17ROCPRIM_400000_NS6detail17trampoline_kernelINS0_14default_configENS1_32segmented_reduce_config_selectorIN3c108BFloat16EEEZNS1_21segmented_reduce_implIS3_PKS6_PS6_PKiS6_N6hipcub16HIPCUB_304000_NS6detail27convert_result_type_wrapperISA_SB_N2at6native12_GLOBAL__N_19CustomMinEEEEE10hipError_tPvRmT0_T1_jT2_SS_T4_T3_P12ihipStream_tbEUlT_E_NS1_11comp_targetILNS1_3genE3ELNS1_11target_archE908ELNS1_3gpuE7ELNS1_3repE0EEENS1_30default_config_static_selectorELNS0_4arch9wavefront6targetE0EEEvSR_
	.p2align	8
	.type	_ZN7rocprim17ROCPRIM_400000_NS6detail17trampoline_kernelINS0_14default_configENS1_32segmented_reduce_config_selectorIN3c108BFloat16EEEZNS1_21segmented_reduce_implIS3_PKS6_PS6_PKiS6_N6hipcub16HIPCUB_304000_NS6detail27convert_result_type_wrapperISA_SB_N2at6native12_GLOBAL__N_19CustomMinEEEEE10hipError_tPvRmT0_T1_jT2_SS_T4_T3_P12ihipStream_tbEUlT_E_NS1_11comp_targetILNS1_3genE3ELNS1_11target_archE908ELNS1_3gpuE7ELNS1_3repE0EEENS1_30default_config_static_selectorELNS0_4arch9wavefront6targetE0EEEvSR_,@function
_ZN7rocprim17ROCPRIM_400000_NS6detail17trampoline_kernelINS0_14default_configENS1_32segmented_reduce_config_selectorIN3c108BFloat16EEEZNS1_21segmented_reduce_implIS3_PKS6_PS6_PKiS6_N6hipcub16HIPCUB_304000_NS6detail27convert_result_type_wrapperISA_SB_N2at6native12_GLOBAL__N_19CustomMinEEEEE10hipError_tPvRmT0_T1_jT2_SS_T4_T3_P12ihipStream_tbEUlT_E_NS1_11comp_targetILNS1_3genE3ELNS1_11target_archE908ELNS1_3gpuE7ELNS1_3repE0EEENS1_30default_config_static_selectorELNS0_4arch9wavefront6targetE0EEEvSR_: ; @_ZN7rocprim17ROCPRIM_400000_NS6detail17trampoline_kernelINS0_14default_configENS1_32segmented_reduce_config_selectorIN3c108BFloat16EEEZNS1_21segmented_reduce_implIS3_PKS6_PS6_PKiS6_N6hipcub16HIPCUB_304000_NS6detail27convert_result_type_wrapperISA_SB_N2at6native12_GLOBAL__N_19CustomMinEEEEE10hipError_tPvRmT0_T1_jT2_SS_T4_T3_P12ihipStream_tbEUlT_E_NS1_11comp_targetILNS1_3genE3ELNS1_11target_archE908ELNS1_3gpuE7ELNS1_3repE0EEENS1_30default_config_static_selectorELNS0_4arch9wavefront6targetE0EEEvSR_
; %bb.0:
	.section	.rodata,"a",@progbits
	.p2align	6, 0x0
	.amdhsa_kernel _ZN7rocprim17ROCPRIM_400000_NS6detail17trampoline_kernelINS0_14default_configENS1_32segmented_reduce_config_selectorIN3c108BFloat16EEEZNS1_21segmented_reduce_implIS3_PKS6_PS6_PKiS6_N6hipcub16HIPCUB_304000_NS6detail27convert_result_type_wrapperISA_SB_N2at6native12_GLOBAL__N_19CustomMinEEEEE10hipError_tPvRmT0_T1_jT2_SS_T4_T3_P12ihipStream_tbEUlT_E_NS1_11comp_targetILNS1_3genE3ELNS1_11target_archE908ELNS1_3gpuE7ELNS1_3repE0EEENS1_30default_config_static_selectorELNS0_4arch9wavefront6targetE0EEEvSR_
		.amdhsa_group_segment_fixed_size 0
		.amdhsa_private_segment_fixed_size 0
		.amdhsa_kernarg_size 48
		.amdhsa_user_sgpr_count 2
		.amdhsa_user_sgpr_dispatch_ptr 0
		.amdhsa_user_sgpr_queue_ptr 0
		.amdhsa_user_sgpr_kernarg_segment_ptr 1
		.amdhsa_user_sgpr_dispatch_id 0
		.amdhsa_user_sgpr_kernarg_preload_length 0
		.amdhsa_user_sgpr_kernarg_preload_offset 0
		.amdhsa_user_sgpr_private_segment_size 0
		.amdhsa_wavefront_size32 1
		.amdhsa_uses_dynamic_stack 0
		.amdhsa_enable_private_segment 0
		.amdhsa_system_sgpr_workgroup_id_x 1
		.amdhsa_system_sgpr_workgroup_id_y 0
		.amdhsa_system_sgpr_workgroup_id_z 0
		.amdhsa_system_sgpr_workgroup_info 0
		.amdhsa_system_vgpr_workitem_id 0
		.amdhsa_next_free_vgpr 1
		.amdhsa_next_free_sgpr 1
		.amdhsa_named_barrier_count 0
		.amdhsa_reserve_vcc 0
		.amdhsa_float_round_mode_32 0
		.amdhsa_float_round_mode_16_64 0
		.amdhsa_float_denorm_mode_32 3
		.amdhsa_float_denorm_mode_16_64 3
		.amdhsa_fp16_overflow 0
		.amdhsa_memory_ordered 1
		.amdhsa_forward_progress 1
		.amdhsa_inst_pref_size 0
		.amdhsa_round_robin_scheduling 0
		.amdhsa_exception_fp_ieee_invalid_op 0
		.amdhsa_exception_fp_denorm_src 0
		.amdhsa_exception_fp_ieee_div_zero 0
		.amdhsa_exception_fp_ieee_overflow 0
		.amdhsa_exception_fp_ieee_underflow 0
		.amdhsa_exception_fp_ieee_inexact 0
		.amdhsa_exception_int_div_zero 0
	.end_amdhsa_kernel
	.section	.text._ZN7rocprim17ROCPRIM_400000_NS6detail17trampoline_kernelINS0_14default_configENS1_32segmented_reduce_config_selectorIN3c108BFloat16EEEZNS1_21segmented_reduce_implIS3_PKS6_PS6_PKiS6_N6hipcub16HIPCUB_304000_NS6detail27convert_result_type_wrapperISA_SB_N2at6native12_GLOBAL__N_19CustomMinEEEEE10hipError_tPvRmT0_T1_jT2_SS_T4_T3_P12ihipStream_tbEUlT_E_NS1_11comp_targetILNS1_3genE3ELNS1_11target_archE908ELNS1_3gpuE7ELNS1_3repE0EEENS1_30default_config_static_selectorELNS0_4arch9wavefront6targetE0EEEvSR_,"axG",@progbits,_ZN7rocprim17ROCPRIM_400000_NS6detail17trampoline_kernelINS0_14default_configENS1_32segmented_reduce_config_selectorIN3c108BFloat16EEEZNS1_21segmented_reduce_implIS3_PKS6_PS6_PKiS6_N6hipcub16HIPCUB_304000_NS6detail27convert_result_type_wrapperISA_SB_N2at6native12_GLOBAL__N_19CustomMinEEEEE10hipError_tPvRmT0_T1_jT2_SS_T4_T3_P12ihipStream_tbEUlT_E_NS1_11comp_targetILNS1_3genE3ELNS1_11target_archE908ELNS1_3gpuE7ELNS1_3repE0EEENS1_30default_config_static_selectorELNS0_4arch9wavefront6targetE0EEEvSR_,comdat
.Lfunc_end132:
	.size	_ZN7rocprim17ROCPRIM_400000_NS6detail17trampoline_kernelINS0_14default_configENS1_32segmented_reduce_config_selectorIN3c108BFloat16EEEZNS1_21segmented_reduce_implIS3_PKS6_PS6_PKiS6_N6hipcub16HIPCUB_304000_NS6detail27convert_result_type_wrapperISA_SB_N2at6native12_GLOBAL__N_19CustomMinEEEEE10hipError_tPvRmT0_T1_jT2_SS_T4_T3_P12ihipStream_tbEUlT_E_NS1_11comp_targetILNS1_3genE3ELNS1_11target_archE908ELNS1_3gpuE7ELNS1_3repE0EEENS1_30default_config_static_selectorELNS0_4arch9wavefront6targetE0EEEvSR_, .Lfunc_end132-_ZN7rocprim17ROCPRIM_400000_NS6detail17trampoline_kernelINS0_14default_configENS1_32segmented_reduce_config_selectorIN3c108BFloat16EEEZNS1_21segmented_reduce_implIS3_PKS6_PS6_PKiS6_N6hipcub16HIPCUB_304000_NS6detail27convert_result_type_wrapperISA_SB_N2at6native12_GLOBAL__N_19CustomMinEEEEE10hipError_tPvRmT0_T1_jT2_SS_T4_T3_P12ihipStream_tbEUlT_E_NS1_11comp_targetILNS1_3genE3ELNS1_11target_archE908ELNS1_3gpuE7ELNS1_3repE0EEENS1_30default_config_static_selectorELNS0_4arch9wavefront6targetE0EEEvSR_
                                        ; -- End function
	.set _ZN7rocprim17ROCPRIM_400000_NS6detail17trampoline_kernelINS0_14default_configENS1_32segmented_reduce_config_selectorIN3c108BFloat16EEEZNS1_21segmented_reduce_implIS3_PKS6_PS6_PKiS6_N6hipcub16HIPCUB_304000_NS6detail27convert_result_type_wrapperISA_SB_N2at6native12_GLOBAL__N_19CustomMinEEEEE10hipError_tPvRmT0_T1_jT2_SS_T4_T3_P12ihipStream_tbEUlT_E_NS1_11comp_targetILNS1_3genE3ELNS1_11target_archE908ELNS1_3gpuE7ELNS1_3repE0EEENS1_30default_config_static_selectorELNS0_4arch9wavefront6targetE0EEEvSR_.num_vgpr, 0
	.set _ZN7rocprim17ROCPRIM_400000_NS6detail17trampoline_kernelINS0_14default_configENS1_32segmented_reduce_config_selectorIN3c108BFloat16EEEZNS1_21segmented_reduce_implIS3_PKS6_PS6_PKiS6_N6hipcub16HIPCUB_304000_NS6detail27convert_result_type_wrapperISA_SB_N2at6native12_GLOBAL__N_19CustomMinEEEEE10hipError_tPvRmT0_T1_jT2_SS_T4_T3_P12ihipStream_tbEUlT_E_NS1_11comp_targetILNS1_3genE3ELNS1_11target_archE908ELNS1_3gpuE7ELNS1_3repE0EEENS1_30default_config_static_selectorELNS0_4arch9wavefront6targetE0EEEvSR_.num_agpr, 0
	.set _ZN7rocprim17ROCPRIM_400000_NS6detail17trampoline_kernelINS0_14default_configENS1_32segmented_reduce_config_selectorIN3c108BFloat16EEEZNS1_21segmented_reduce_implIS3_PKS6_PS6_PKiS6_N6hipcub16HIPCUB_304000_NS6detail27convert_result_type_wrapperISA_SB_N2at6native12_GLOBAL__N_19CustomMinEEEEE10hipError_tPvRmT0_T1_jT2_SS_T4_T3_P12ihipStream_tbEUlT_E_NS1_11comp_targetILNS1_3genE3ELNS1_11target_archE908ELNS1_3gpuE7ELNS1_3repE0EEENS1_30default_config_static_selectorELNS0_4arch9wavefront6targetE0EEEvSR_.numbered_sgpr, 0
	.set _ZN7rocprim17ROCPRIM_400000_NS6detail17trampoline_kernelINS0_14default_configENS1_32segmented_reduce_config_selectorIN3c108BFloat16EEEZNS1_21segmented_reduce_implIS3_PKS6_PS6_PKiS6_N6hipcub16HIPCUB_304000_NS6detail27convert_result_type_wrapperISA_SB_N2at6native12_GLOBAL__N_19CustomMinEEEEE10hipError_tPvRmT0_T1_jT2_SS_T4_T3_P12ihipStream_tbEUlT_E_NS1_11comp_targetILNS1_3genE3ELNS1_11target_archE908ELNS1_3gpuE7ELNS1_3repE0EEENS1_30default_config_static_selectorELNS0_4arch9wavefront6targetE0EEEvSR_.num_named_barrier, 0
	.set _ZN7rocprim17ROCPRIM_400000_NS6detail17trampoline_kernelINS0_14default_configENS1_32segmented_reduce_config_selectorIN3c108BFloat16EEEZNS1_21segmented_reduce_implIS3_PKS6_PS6_PKiS6_N6hipcub16HIPCUB_304000_NS6detail27convert_result_type_wrapperISA_SB_N2at6native12_GLOBAL__N_19CustomMinEEEEE10hipError_tPvRmT0_T1_jT2_SS_T4_T3_P12ihipStream_tbEUlT_E_NS1_11comp_targetILNS1_3genE3ELNS1_11target_archE908ELNS1_3gpuE7ELNS1_3repE0EEENS1_30default_config_static_selectorELNS0_4arch9wavefront6targetE0EEEvSR_.private_seg_size, 0
	.set _ZN7rocprim17ROCPRIM_400000_NS6detail17trampoline_kernelINS0_14default_configENS1_32segmented_reduce_config_selectorIN3c108BFloat16EEEZNS1_21segmented_reduce_implIS3_PKS6_PS6_PKiS6_N6hipcub16HIPCUB_304000_NS6detail27convert_result_type_wrapperISA_SB_N2at6native12_GLOBAL__N_19CustomMinEEEEE10hipError_tPvRmT0_T1_jT2_SS_T4_T3_P12ihipStream_tbEUlT_E_NS1_11comp_targetILNS1_3genE3ELNS1_11target_archE908ELNS1_3gpuE7ELNS1_3repE0EEENS1_30default_config_static_selectorELNS0_4arch9wavefront6targetE0EEEvSR_.uses_vcc, 0
	.set _ZN7rocprim17ROCPRIM_400000_NS6detail17trampoline_kernelINS0_14default_configENS1_32segmented_reduce_config_selectorIN3c108BFloat16EEEZNS1_21segmented_reduce_implIS3_PKS6_PS6_PKiS6_N6hipcub16HIPCUB_304000_NS6detail27convert_result_type_wrapperISA_SB_N2at6native12_GLOBAL__N_19CustomMinEEEEE10hipError_tPvRmT0_T1_jT2_SS_T4_T3_P12ihipStream_tbEUlT_E_NS1_11comp_targetILNS1_3genE3ELNS1_11target_archE908ELNS1_3gpuE7ELNS1_3repE0EEENS1_30default_config_static_selectorELNS0_4arch9wavefront6targetE0EEEvSR_.uses_flat_scratch, 0
	.set _ZN7rocprim17ROCPRIM_400000_NS6detail17trampoline_kernelINS0_14default_configENS1_32segmented_reduce_config_selectorIN3c108BFloat16EEEZNS1_21segmented_reduce_implIS3_PKS6_PS6_PKiS6_N6hipcub16HIPCUB_304000_NS6detail27convert_result_type_wrapperISA_SB_N2at6native12_GLOBAL__N_19CustomMinEEEEE10hipError_tPvRmT0_T1_jT2_SS_T4_T3_P12ihipStream_tbEUlT_E_NS1_11comp_targetILNS1_3genE3ELNS1_11target_archE908ELNS1_3gpuE7ELNS1_3repE0EEENS1_30default_config_static_selectorELNS0_4arch9wavefront6targetE0EEEvSR_.has_dyn_sized_stack, 0
	.set _ZN7rocprim17ROCPRIM_400000_NS6detail17trampoline_kernelINS0_14default_configENS1_32segmented_reduce_config_selectorIN3c108BFloat16EEEZNS1_21segmented_reduce_implIS3_PKS6_PS6_PKiS6_N6hipcub16HIPCUB_304000_NS6detail27convert_result_type_wrapperISA_SB_N2at6native12_GLOBAL__N_19CustomMinEEEEE10hipError_tPvRmT0_T1_jT2_SS_T4_T3_P12ihipStream_tbEUlT_E_NS1_11comp_targetILNS1_3genE3ELNS1_11target_archE908ELNS1_3gpuE7ELNS1_3repE0EEENS1_30default_config_static_selectorELNS0_4arch9wavefront6targetE0EEEvSR_.has_recursion, 0
	.set _ZN7rocprim17ROCPRIM_400000_NS6detail17trampoline_kernelINS0_14default_configENS1_32segmented_reduce_config_selectorIN3c108BFloat16EEEZNS1_21segmented_reduce_implIS3_PKS6_PS6_PKiS6_N6hipcub16HIPCUB_304000_NS6detail27convert_result_type_wrapperISA_SB_N2at6native12_GLOBAL__N_19CustomMinEEEEE10hipError_tPvRmT0_T1_jT2_SS_T4_T3_P12ihipStream_tbEUlT_E_NS1_11comp_targetILNS1_3genE3ELNS1_11target_archE908ELNS1_3gpuE7ELNS1_3repE0EEENS1_30default_config_static_selectorELNS0_4arch9wavefront6targetE0EEEvSR_.has_indirect_call, 0
	.section	.AMDGPU.csdata,"",@progbits
; Kernel info:
; codeLenInByte = 0
; TotalNumSgprs: 0
; NumVgprs: 0
; ScratchSize: 0
; MemoryBound: 0
; FloatMode: 240
; IeeeMode: 1
; LDSByteSize: 0 bytes/workgroup (compile time only)
; SGPRBlocks: 0
; VGPRBlocks: 0
; NumSGPRsForWavesPerEU: 1
; NumVGPRsForWavesPerEU: 1
; NamedBarCnt: 0
; Occupancy: 16
; WaveLimiterHint : 0
; COMPUTE_PGM_RSRC2:SCRATCH_EN: 0
; COMPUTE_PGM_RSRC2:USER_SGPR: 2
; COMPUTE_PGM_RSRC2:TRAP_HANDLER: 0
; COMPUTE_PGM_RSRC2:TGID_X_EN: 1
; COMPUTE_PGM_RSRC2:TGID_Y_EN: 0
; COMPUTE_PGM_RSRC2:TGID_Z_EN: 0
; COMPUTE_PGM_RSRC2:TIDIG_COMP_CNT: 0
	.section	.text._ZN7rocprim17ROCPRIM_400000_NS6detail17trampoline_kernelINS0_14default_configENS1_32segmented_reduce_config_selectorIN3c108BFloat16EEEZNS1_21segmented_reduce_implIS3_PKS6_PS6_PKiS6_N6hipcub16HIPCUB_304000_NS6detail27convert_result_type_wrapperISA_SB_N2at6native12_GLOBAL__N_19CustomMinEEEEE10hipError_tPvRmT0_T1_jT2_SS_T4_T3_P12ihipStream_tbEUlT_E_NS1_11comp_targetILNS1_3genE2ELNS1_11target_archE906ELNS1_3gpuE6ELNS1_3repE0EEENS1_30default_config_static_selectorELNS0_4arch9wavefront6targetE0EEEvSR_,"axG",@progbits,_ZN7rocprim17ROCPRIM_400000_NS6detail17trampoline_kernelINS0_14default_configENS1_32segmented_reduce_config_selectorIN3c108BFloat16EEEZNS1_21segmented_reduce_implIS3_PKS6_PS6_PKiS6_N6hipcub16HIPCUB_304000_NS6detail27convert_result_type_wrapperISA_SB_N2at6native12_GLOBAL__N_19CustomMinEEEEE10hipError_tPvRmT0_T1_jT2_SS_T4_T3_P12ihipStream_tbEUlT_E_NS1_11comp_targetILNS1_3genE2ELNS1_11target_archE906ELNS1_3gpuE6ELNS1_3repE0EEENS1_30default_config_static_selectorELNS0_4arch9wavefront6targetE0EEEvSR_,comdat
	.globl	_ZN7rocprim17ROCPRIM_400000_NS6detail17trampoline_kernelINS0_14default_configENS1_32segmented_reduce_config_selectorIN3c108BFloat16EEEZNS1_21segmented_reduce_implIS3_PKS6_PS6_PKiS6_N6hipcub16HIPCUB_304000_NS6detail27convert_result_type_wrapperISA_SB_N2at6native12_GLOBAL__N_19CustomMinEEEEE10hipError_tPvRmT0_T1_jT2_SS_T4_T3_P12ihipStream_tbEUlT_E_NS1_11comp_targetILNS1_3genE2ELNS1_11target_archE906ELNS1_3gpuE6ELNS1_3repE0EEENS1_30default_config_static_selectorELNS0_4arch9wavefront6targetE0EEEvSR_ ; -- Begin function _ZN7rocprim17ROCPRIM_400000_NS6detail17trampoline_kernelINS0_14default_configENS1_32segmented_reduce_config_selectorIN3c108BFloat16EEEZNS1_21segmented_reduce_implIS3_PKS6_PS6_PKiS6_N6hipcub16HIPCUB_304000_NS6detail27convert_result_type_wrapperISA_SB_N2at6native12_GLOBAL__N_19CustomMinEEEEE10hipError_tPvRmT0_T1_jT2_SS_T4_T3_P12ihipStream_tbEUlT_E_NS1_11comp_targetILNS1_3genE2ELNS1_11target_archE906ELNS1_3gpuE6ELNS1_3repE0EEENS1_30default_config_static_selectorELNS0_4arch9wavefront6targetE0EEEvSR_
	.p2align	8
	.type	_ZN7rocprim17ROCPRIM_400000_NS6detail17trampoline_kernelINS0_14default_configENS1_32segmented_reduce_config_selectorIN3c108BFloat16EEEZNS1_21segmented_reduce_implIS3_PKS6_PS6_PKiS6_N6hipcub16HIPCUB_304000_NS6detail27convert_result_type_wrapperISA_SB_N2at6native12_GLOBAL__N_19CustomMinEEEEE10hipError_tPvRmT0_T1_jT2_SS_T4_T3_P12ihipStream_tbEUlT_E_NS1_11comp_targetILNS1_3genE2ELNS1_11target_archE906ELNS1_3gpuE6ELNS1_3repE0EEENS1_30default_config_static_selectorELNS0_4arch9wavefront6targetE0EEEvSR_,@function
_ZN7rocprim17ROCPRIM_400000_NS6detail17trampoline_kernelINS0_14default_configENS1_32segmented_reduce_config_selectorIN3c108BFloat16EEEZNS1_21segmented_reduce_implIS3_PKS6_PS6_PKiS6_N6hipcub16HIPCUB_304000_NS6detail27convert_result_type_wrapperISA_SB_N2at6native12_GLOBAL__N_19CustomMinEEEEE10hipError_tPvRmT0_T1_jT2_SS_T4_T3_P12ihipStream_tbEUlT_E_NS1_11comp_targetILNS1_3genE2ELNS1_11target_archE906ELNS1_3gpuE6ELNS1_3repE0EEENS1_30default_config_static_selectorELNS0_4arch9wavefront6targetE0EEEvSR_: ; @_ZN7rocprim17ROCPRIM_400000_NS6detail17trampoline_kernelINS0_14default_configENS1_32segmented_reduce_config_selectorIN3c108BFloat16EEEZNS1_21segmented_reduce_implIS3_PKS6_PS6_PKiS6_N6hipcub16HIPCUB_304000_NS6detail27convert_result_type_wrapperISA_SB_N2at6native12_GLOBAL__N_19CustomMinEEEEE10hipError_tPvRmT0_T1_jT2_SS_T4_T3_P12ihipStream_tbEUlT_E_NS1_11comp_targetILNS1_3genE2ELNS1_11target_archE906ELNS1_3gpuE6ELNS1_3repE0EEENS1_30default_config_static_selectorELNS0_4arch9wavefront6targetE0EEEvSR_
; %bb.0:
	.section	.rodata,"a",@progbits
	.p2align	6, 0x0
	.amdhsa_kernel _ZN7rocprim17ROCPRIM_400000_NS6detail17trampoline_kernelINS0_14default_configENS1_32segmented_reduce_config_selectorIN3c108BFloat16EEEZNS1_21segmented_reduce_implIS3_PKS6_PS6_PKiS6_N6hipcub16HIPCUB_304000_NS6detail27convert_result_type_wrapperISA_SB_N2at6native12_GLOBAL__N_19CustomMinEEEEE10hipError_tPvRmT0_T1_jT2_SS_T4_T3_P12ihipStream_tbEUlT_E_NS1_11comp_targetILNS1_3genE2ELNS1_11target_archE906ELNS1_3gpuE6ELNS1_3repE0EEENS1_30default_config_static_selectorELNS0_4arch9wavefront6targetE0EEEvSR_
		.amdhsa_group_segment_fixed_size 0
		.amdhsa_private_segment_fixed_size 0
		.amdhsa_kernarg_size 48
		.amdhsa_user_sgpr_count 2
		.amdhsa_user_sgpr_dispatch_ptr 0
		.amdhsa_user_sgpr_queue_ptr 0
		.amdhsa_user_sgpr_kernarg_segment_ptr 1
		.amdhsa_user_sgpr_dispatch_id 0
		.amdhsa_user_sgpr_kernarg_preload_length 0
		.amdhsa_user_sgpr_kernarg_preload_offset 0
		.amdhsa_user_sgpr_private_segment_size 0
		.amdhsa_wavefront_size32 1
		.amdhsa_uses_dynamic_stack 0
		.amdhsa_enable_private_segment 0
		.amdhsa_system_sgpr_workgroup_id_x 1
		.amdhsa_system_sgpr_workgroup_id_y 0
		.amdhsa_system_sgpr_workgroup_id_z 0
		.amdhsa_system_sgpr_workgroup_info 0
		.amdhsa_system_vgpr_workitem_id 0
		.amdhsa_next_free_vgpr 1
		.amdhsa_next_free_sgpr 1
		.amdhsa_named_barrier_count 0
		.amdhsa_reserve_vcc 0
		.amdhsa_float_round_mode_32 0
		.amdhsa_float_round_mode_16_64 0
		.amdhsa_float_denorm_mode_32 3
		.amdhsa_float_denorm_mode_16_64 3
		.amdhsa_fp16_overflow 0
		.amdhsa_memory_ordered 1
		.amdhsa_forward_progress 1
		.amdhsa_inst_pref_size 0
		.amdhsa_round_robin_scheduling 0
		.amdhsa_exception_fp_ieee_invalid_op 0
		.amdhsa_exception_fp_denorm_src 0
		.amdhsa_exception_fp_ieee_div_zero 0
		.amdhsa_exception_fp_ieee_overflow 0
		.amdhsa_exception_fp_ieee_underflow 0
		.amdhsa_exception_fp_ieee_inexact 0
		.amdhsa_exception_int_div_zero 0
	.end_amdhsa_kernel
	.section	.text._ZN7rocprim17ROCPRIM_400000_NS6detail17trampoline_kernelINS0_14default_configENS1_32segmented_reduce_config_selectorIN3c108BFloat16EEEZNS1_21segmented_reduce_implIS3_PKS6_PS6_PKiS6_N6hipcub16HIPCUB_304000_NS6detail27convert_result_type_wrapperISA_SB_N2at6native12_GLOBAL__N_19CustomMinEEEEE10hipError_tPvRmT0_T1_jT2_SS_T4_T3_P12ihipStream_tbEUlT_E_NS1_11comp_targetILNS1_3genE2ELNS1_11target_archE906ELNS1_3gpuE6ELNS1_3repE0EEENS1_30default_config_static_selectorELNS0_4arch9wavefront6targetE0EEEvSR_,"axG",@progbits,_ZN7rocprim17ROCPRIM_400000_NS6detail17trampoline_kernelINS0_14default_configENS1_32segmented_reduce_config_selectorIN3c108BFloat16EEEZNS1_21segmented_reduce_implIS3_PKS6_PS6_PKiS6_N6hipcub16HIPCUB_304000_NS6detail27convert_result_type_wrapperISA_SB_N2at6native12_GLOBAL__N_19CustomMinEEEEE10hipError_tPvRmT0_T1_jT2_SS_T4_T3_P12ihipStream_tbEUlT_E_NS1_11comp_targetILNS1_3genE2ELNS1_11target_archE906ELNS1_3gpuE6ELNS1_3repE0EEENS1_30default_config_static_selectorELNS0_4arch9wavefront6targetE0EEEvSR_,comdat
.Lfunc_end133:
	.size	_ZN7rocprim17ROCPRIM_400000_NS6detail17trampoline_kernelINS0_14default_configENS1_32segmented_reduce_config_selectorIN3c108BFloat16EEEZNS1_21segmented_reduce_implIS3_PKS6_PS6_PKiS6_N6hipcub16HIPCUB_304000_NS6detail27convert_result_type_wrapperISA_SB_N2at6native12_GLOBAL__N_19CustomMinEEEEE10hipError_tPvRmT0_T1_jT2_SS_T4_T3_P12ihipStream_tbEUlT_E_NS1_11comp_targetILNS1_3genE2ELNS1_11target_archE906ELNS1_3gpuE6ELNS1_3repE0EEENS1_30default_config_static_selectorELNS0_4arch9wavefront6targetE0EEEvSR_, .Lfunc_end133-_ZN7rocprim17ROCPRIM_400000_NS6detail17trampoline_kernelINS0_14default_configENS1_32segmented_reduce_config_selectorIN3c108BFloat16EEEZNS1_21segmented_reduce_implIS3_PKS6_PS6_PKiS6_N6hipcub16HIPCUB_304000_NS6detail27convert_result_type_wrapperISA_SB_N2at6native12_GLOBAL__N_19CustomMinEEEEE10hipError_tPvRmT0_T1_jT2_SS_T4_T3_P12ihipStream_tbEUlT_E_NS1_11comp_targetILNS1_3genE2ELNS1_11target_archE906ELNS1_3gpuE6ELNS1_3repE0EEENS1_30default_config_static_selectorELNS0_4arch9wavefront6targetE0EEEvSR_
                                        ; -- End function
	.set _ZN7rocprim17ROCPRIM_400000_NS6detail17trampoline_kernelINS0_14default_configENS1_32segmented_reduce_config_selectorIN3c108BFloat16EEEZNS1_21segmented_reduce_implIS3_PKS6_PS6_PKiS6_N6hipcub16HIPCUB_304000_NS6detail27convert_result_type_wrapperISA_SB_N2at6native12_GLOBAL__N_19CustomMinEEEEE10hipError_tPvRmT0_T1_jT2_SS_T4_T3_P12ihipStream_tbEUlT_E_NS1_11comp_targetILNS1_3genE2ELNS1_11target_archE906ELNS1_3gpuE6ELNS1_3repE0EEENS1_30default_config_static_selectorELNS0_4arch9wavefront6targetE0EEEvSR_.num_vgpr, 0
	.set _ZN7rocprim17ROCPRIM_400000_NS6detail17trampoline_kernelINS0_14default_configENS1_32segmented_reduce_config_selectorIN3c108BFloat16EEEZNS1_21segmented_reduce_implIS3_PKS6_PS6_PKiS6_N6hipcub16HIPCUB_304000_NS6detail27convert_result_type_wrapperISA_SB_N2at6native12_GLOBAL__N_19CustomMinEEEEE10hipError_tPvRmT0_T1_jT2_SS_T4_T3_P12ihipStream_tbEUlT_E_NS1_11comp_targetILNS1_3genE2ELNS1_11target_archE906ELNS1_3gpuE6ELNS1_3repE0EEENS1_30default_config_static_selectorELNS0_4arch9wavefront6targetE0EEEvSR_.num_agpr, 0
	.set _ZN7rocprim17ROCPRIM_400000_NS6detail17trampoline_kernelINS0_14default_configENS1_32segmented_reduce_config_selectorIN3c108BFloat16EEEZNS1_21segmented_reduce_implIS3_PKS6_PS6_PKiS6_N6hipcub16HIPCUB_304000_NS6detail27convert_result_type_wrapperISA_SB_N2at6native12_GLOBAL__N_19CustomMinEEEEE10hipError_tPvRmT0_T1_jT2_SS_T4_T3_P12ihipStream_tbEUlT_E_NS1_11comp_targetILNS1_3genE2ELNS1_11target_archE906ELNS1_3gpuE6ELNS1_3repE0EEENS1_30default_config_static_selectorELNS0_4arch9wavefront6targetE0EEEvSR_.numbered_sgpr, 0
	.set _ZN7rocprim17ROCPRIM_400000_NS6detail17trampoline_kernelINS0_14default_configENS1_32segmented_reduce_config_selectorIN3c108BFloat16EEEZNS1_21segmented_reduce_implIS3_PKS6_PS6_PKiS6_N6hipcub16HIPCUB_304000_NS6detail27convert_result_type_wrapperISA_SB_N2at6native12_GLOBAL__N_19CustomMinEEEEE10hipError_tPvRmT0_T1_jT2_SS_T4_T3_P12ihipStream_tbEUlT_E_NS1_11comp_targetILNS1_3genE2ELNS1_11target_archE906ELNS1_3gpuE6ELNS1_3repE0EEENS1_30default_config_static_selectorELNS0_4arch9wavefront6targetE0EEEvSR_.num_named_barrier, 0
	.set _ZN7rocprim17ROCPRIM_400000_NS6detail17trampoline_kernelINS0_14default_configENS1_32segmented_reduce_config_selectorIN3c108BFloat16EEEZNS1_21segmented_reduce_implIS3_PKS6_PS6_PKiS6_N6hipcub16HIPCUB_304000_NS6detail27convert_result_type_wrapperISA_SB_N2at6native12_GLOBAL__N_19CustomMinEEEEE10hipError_tPvRmT0_T1_jT2_SS_T4_T3_P12ihipStream_tbEUlT_E_NS1_11comp_targetILNS1_3genE2ELNS1_11target_archE906ELNS1_3gpuE6ELNS1_3repE0EEENS1_30default_config_static_selectorELNS0_4arch9wavefront6targetE0EEEvSR_.private_seg_size, 0
	.set _ZN7rocprim17ROCPRIM_400000_NS6detail17trampoline_kernelINS0_14default_configENS1_32segmented_reduce_config_selectorIN3c108BFloat16EEEZNS1_21segmented_reduce_implIS3_PKS6_PS6_PKiS6_N6hipcub16HIPCUB_304000_NS6detail27convert_result_type_wrapperISA_SB_N2at6native12_GLOBAL__N_19CustomMinEEEEE10hipError_tPvRmT0_T1_jT2_SS_T4_T3_P12ihipStream_tbEUlT_E_NS1_11comp_targetILNS1_3genE2ELNS1_11target_archE906ELNS1_3gpuE6ELNS1_3repE0EEENS1_30default_config_static_selectorELNS0_4arch9wavefront6targetE0EEEvSR_.uses_vcc, 0
	.set _ZN7rocprim17ROCPRIM_400000_NS6detail17trampoline_kernelINS0_14default_configENS1_32segmented_reduce_config_selectorIN3c108BFloat16EEEZNS1_21segmented_reduce_implIS3_PKS6_PS6_PKiS6_N6hipcub16HIPCUB_304000_NS6detail27convert_result_type_wrapperISA_SB_N2at6native12_GLOBAL__N_19CustomMinEEEEE10hipError_tPvRmT0_T1_jT2_SS_T4_T3_P12ihipStream_tbEUlT_E_NS1_11comp_targetILNS1_3genE2ELNS1_11target_archE906ELNS1_3gpuE6ELNS1_3repE0EEENS1_30default_config_static_selectorELNS0_4arch9wavefront6targetE0EEEvSR_.uses_flat_scratch, 0
	.set _ZN7rocprim17ROCPRIM_400000_NS6detail17trampoline_kernelINS0_14default_configENS1_32segmented_reduce_config_selectorIN3c108BFloat16EEEZNS1_21segmented_reduce_implIS3_PKS6_PS6_PKiS6_N6hipcub16HIPCUB_304000_NS6detail27convert_result_type_wrapperISA_SB_N2at6native12_GLOBAL__N_19CustomMinEEEEE10hipError_tPvRmT0_T1_jT2_SS_T4_T3_P12ihipStream_tbEUlT_E_NS1_11comp_targetILNS1_3genE2ELNS1_11target_archE906ELNS1_3gpuE6ELNS1_3repE0EEENS1_30default_config_static_selectorELNS0_4arch9wavefront6targetE0EEEvSR_.has_dyn_sized_stack, 0
	.set _ZN7rocprim17ROCPRIM_400000_NS6detail17trampoline_kernelINS0_14default_configENS1_32segmented_reduce_config_selectorIN3c108BFloat16EEEZNS1_21segmented_reduce_implIS3_PKS6_PS6_PKiS6_N6hipcub16HIPCUB_304000_NS6detail27convert_result_type_wrapperISA_SB_N2at6native12_GLOBAL__N_19CustomMinEEEEE10hipError_tPvRmT0_T1_jT2_SS_T4_T3_P12ihipStream_tbEUlT_E_NS1_11comp_targetILNS1_3genE2ELNS1_11target_archE906ELNS1_3gpuE6ELNS1_3repE0EEENS1_30default_config_static_selectorELNS0_4arch9wavefront6targetE0EEEvSR_.has_recursion, 0
	.set _ZN7rocprim17ROCPRIM_400000_NS6detail17trampoline_kernelINS0_14default_configENS1_32segmented_reduce_config_selectorIN3c108BFloat16EEEZNS1_21segmented_reduce_implIS3_PKS6_PS6_PKiS6_N6hipcub16HIPCUB_304000_NS6detail27convert_result_type_wrapperISA_SB_N2at6native12_GLOBAL__N_19CustomMinEEEEE10hipError_tPvRmT0_T1_jT2_SS_T4_T3_P12ihipStream_tbEUlT_E_NS1_11comp_targetILNS1_3genE2ELNS1_11target_archE906ELNS1_3gpuE6ELNS1_3repE0EEENS1_30default_config_static_selectorELNS0_4arch9wavefront6targetE0EEEvSR_.has_indirect_call, 0
	.section	.AMDGPU.csdata,"",@progbits
; Kernel info:
; codeLenInByte = 0
; TotalNumSgprs: 0
; NumVgprs: 0
; ScratchSize: 0
; MemoryBound: 0
; FloatMode: 240
; IeeeMode: 1
; LDSByteSize: 0 bytes/workgroup (compile time only)
; SGPRBlocks: 0
; VGPRBlocks: 0
; NumSGPRsForWavesPerEU: 1
; NumVGPRsForWavesPerEU: 1
; NamedBarCnt: 0
; Occupancy: 16
; WaveLimiterHint : 0
; COMPUTE_PGM_RSRC2:SCRATCH_EN: 0
; COMPUTE_PGM_RSRC2:USER_SGPR: 2
; COMPUTE_PGM_RSRC2:TRAP_HANDLER: 0
; COMPUTE_PGM_RSRC2:TGID_X_EN: 1
; COMPUTE_PGM_RSRC2:TGID_Y_EN: 0
; COMPUTE_PGM_RSRC2:TGID_Z_EN: 0
; COMPUTE_PGM_RSRC2:TIDIG_COMP_CNT: 0
	.section	.text._ZN7rocprim17ROCPRIM_400000_NS6detail17trampoline_kernelINS0_14default_configENS1_32segmented_reduce_config_selectorIN3c108BFloat16EEEZNS1_21segmented_reduce_implIS3_PKS6_PS6_PKiS6_N6hipcub16HIPCUB_304000_NS6detail27convert_result_type_wrapperISA_SB_N2at6native12_GLOBAL__N_19CustomMinEEEEE10hipError_tPvRmT0_T1_jT2_SS_T4_T3_P12ihipStream_tbEUlT_E_NS1_11comp_targetILNS1_3genE9ELNS1_11target_archE1100ELNS1_3gpuE3ELNS1_3repE0EEENS1_30default_config_static_selectorELNS0_4arch9wavefront6targetE0EEEvSR_,"axG",@progbits,_ZN7rocprim17ROCPRIM_400000_NS6detail17trampoline_kernelINS0_14default_configENS1_32segmented_reduce_config_selectorIN3c108BFloat16EEEZNS1_21segmented_reduce_implIS3_PKS6_PS6_PKiS6_N6hipcub16HIPCUB_304000_NS6detail27convert_result_type_wrapperISA_SB_N2at6native12_GLOBAL__N_19CustomMinEEEEE10hipError_tPvRmT0_T1_jT2_SS_T4_T3_P12ihipStream_tbEUlT_E_NS1_11comp_targetILNS1_3genE9ELNS1_11target_archE1100ELNS1_3gpuE3ELNS1_3repE0EEENS1_30default_config_static_selectorELNS0_4arch9wavefront6targetE0EEEvSR_,comdat
	.globl	_ZN7rocprim17ROCPRIM_400000_NS6detail17trampoline_kernelINS0_14default_configENS1_32segmented_reduce_config_selectorIN3c108BFloat16EEEZNS1_21segmented_reduce_implIS3_PKS6_PS6_PKiS6_N6hipcub16HIPCUB_304000_NS6detail27convert_result_type_wrapperISA_SB_N2at6native12_GLOBAL__N_19CustomMinEEEEE10hipError_tPvRmT0_T1_jT2_SS_T4_T3_P12ihipStream_tbEUlT_E_NS1_11comp_targetILNS1_3genE9ELNS1_11target_archE1100ELNS1_3gpuE3ELNS1_3repE0EEENS1_30default_config_static_selectorELNS0_4arch9wavefront6targetE0EEEvSR_ ; -- Begin function _ZN7rocprim17ROCPRIM_400000_NS6detail17trampoline_kernelINS0_14default_configENS1_32segmented_reduce_config_selectorIN3c108BFloat16EEEZNS1_21segmented_reduce_implIS3_PKS6_PS6_PKiS6_N6hipcub16HIPCUB_304000_NS6detail27convert_result_type_wrapperISA_SB_N2at6native12_GLOBAL__N_19CustomMinEEEEE10hipError_tPvRmT0_T1_jT2_SS_T4_T3_P12ihipStream_tbEUlT_E_NS1_11comp_targetILNS1_3genE9ELNS1_11target_archE1100ELNS1_3gpuE3ELNS1_3repE0EEENS1_30default_config_static_selectorELNS0_4arch9wavefront6targetE0EEEvSR_
	.p2align	8
	.type	_ZN7rocprim17ROCPRIM_400000_NS6detail17trampoline_kernelINS0_14default_configENS1_32segmented_reduce_config_selectorIN3c108BFloat16EEEZNS1_21segmented_reduce_implIS3_PKS6_PS6_PKiS6_N6hipcub16HIPCUB_304000_NS6detail27convert_result_type_wrapperISA_SB_N2at6native12_GLOBAL__N_19CustomMinEEEEE10hipError_tPvRmT0_T1_jT2_SS_T4_T3_P12ihipStream_tbEUlT_E_NS1_11comp_targetILNS1_3genE9ELNS1_11target_archE1100ELNS1_3gpuE3ELNS1_3repE0EEENS1_30default_config_static_selectorELNS0_4arch9wavefront6targetE0EEEvSR_,@function
_ZN7rocprim17ROCPRIM_400000_NS6detail17trampoline_kernelINS0_14default_configENS1_32segmented_reduce_config_selectorIN3c108BFloat16EEEZNS1_21segmented_reduce_implIS3_PKS6_PS6_PKiS6_N6hipcub16HIPCUB_304000_NS6detail27convert_result_type_wrapperISA_SB_N2at6native12_GLOBAL__N_19CustomMinEEEEE10hipError_tPvRmT0_T1_jT2_SS_T4_T3_P12ihipStream_tbEUlT_E_NS1_11comp_targetILNS1_3genE9ELNS1_11target_archE1100ELNS1_3gpuE3ELNS1_3repE0EEENS1_30default_config_static_selectorELNS0_4arch9wavefront6targetE0EEEvSR_: ; @_ZN7rocprim17ROCPRIM_400000_NS6detail17trampoline_kernelINS0_14default_configENS1_32segmented_reduce_config_selectorIN3c108BFloat16EEEZNS1_21segmented_reduce_implIS3_PKS6_PS6_PKiS6_N6hipcub16HIPCUB_304000_NS6detail27convert_result_type_wrapperISA_SB_N2at6native12_GLOBAL__N_19CustomMinEEEEE10hipError_tPvRmT0_T1_jT2_SS_T4_T3_P12ihipStream_tbEUlT_E_NS1_11comp_targetILNS1_3genE9ELNS1_11target_archE1100ELNS1_3gpuE3ELNS1_3repE0EEENS1_30default_config_static_selectorELNS0_4arch9wavefront6targetE0EEEvSR_
; %bb.0:
	.section	.rodata,"a",@progbits
	.p2align	6, 0x0
	.amdhsa_kernel _ZN7rocprim17ROCPRIM_400000_NS6detail17trampoline_kernelINS0_14default_configENS1_32segmented_reduce_config_selectorIN3c108BFloat16EEEZNS1_21segmented_reduce_implIS3_PKS6_PS6_PKiS6_N6hipcub16HIPCUB_304000_NS6detail27convert_result_type_wrapperISA_SB_N2at6native12_GLOBAL__N_19CustomMinEEEEE10hipError_tPvRmT0_T1_jT2_SS_T4_T3_P12ihipStream_tbEUlT_E_NS1_11comp_targetILNS1_3genE9ELNS1_11target_archE1100ELNS1_3gpuE3ELNS1_3repE0EEENS1_30default_config_static_selectorELNS0_4arch9wavefront6targetE0EEEvSR_
		.amdhsa_group_segment_fixed_size 0
		.amdhsa_private_segment_fixed_size 0
		.amdhsa_kernarg_size 48
		.amdhsa_user_sgpr_count 2
		.amdhsa_user_sgpr_dispatch_ptr 0
		.amdhsa_user_sgpr_queue_ptr 0
		.amdhsa_user_sgpr_kernarg_segment_ptr 1
		.amdhsa_user_sgpr_dispatch_id 0
		.amdhsa_user_sgpr_kernarg_preload_length 0
		.amdhsa_user_sgpr_kernarg_preload_offset 0
		.amdhsa_user_sgpr_private_segment_size 0
		.amdhsa_wavefront_size32 1
		.amdhsa_uses_dynamic_stack 0
		.amdhsa_enable_private_segment 0
		.amdhsa_system_sgpr_workgroup_id_x 1
		.amdhsa_system_sgpr_workgroup_id_y 0
		.amdhsa_system_sgpr_workgroup_id_z 0
		.amdhsa_system_sgpr_workgroup_info 0
		.amdhsa_system_vgpr_workitem_id 0
		.amdhsa_next_free_vgpr 1
		.amdhsa_next_free_sgpr 1
		.amdhsa_named_barrier_count 0
		.amdhsa_reserve_vcc 0
		.amdhsa_float_round_mode_32 0
		.amdhsa_float_round_mode_16_64 0
		.amdhsa_float_denorm_mode_32 3
		.amdhsa_float_denorm_mode_16_64 3
		.amdhsa_fp16_overflow 0
		.amdhsa_memory_ordered 1
		.amdhsa_forward_progress 1
		.amdhsa_inst_pref_size 0
		.amdhsa_round_robin_scheduling 0
		.amdhsa_exception_fp_ieee_invalid_op 0
		.amdhsa_exception_fp_denorm_src 0
		.amdhsa_exception_fp_ieee_div_zero 0
		.amdhsa_exception_fp_ieee_overflow 0
		.amdhsa_exception_fp_ieee_underflow 0
		.amdhsa_exception_fp_ieee_inexact 0
		.amdhsa_exception_int_div_zero 0
	.end_amdhsa_kernel
	.section	.text._ZN7rocprim17ROCPRIM_400000_NS6detail17trampoline_kernelINS0_14default_configENS1_32segmented_reduce_config_selectorIN3c108BFloat16EEEZNS1_21segmented_reduce_implIS3_PKS6_PS6_PKiS6_N6hipcub16HIPCUB_304000_NS6detail27convert_result_type_wrapperISA_SB_N2at6native12_GLOBAL__N_19CustomMinEEEEE10hipError_tPvRmT0_T1_jT2_SS_T4_T3_P12ihipStream_tbEUlT_E_NS1_11comp_targetILNS1_3genE9ELNS1_11target_archE1100ELNS1_3gpuE3ELNS1_3repE0EEENS1_30default_config_static_selectorELNS0_4arch9wavefront6targetE0EEEvSR_,"axG",@progbits,_ZN7rocprim17ROCPRIM_400000_NS6detail17trampoline_kernelINS0_14default_configENS1_32segmented_reduce_config_selectorIN3c108BFloat16EEEZNS1_21segmented_reduce_implIS3_PKS6_PS6_PKiS6_N6hipcub16HIPCUB_304000_NS6detail27convert_result_type_wrapperISA_SB_N2at6native12_GLOBAL__N_19CustomMinEEEEE10hipError_tPvRmT0_T1_jT2_SS_T4_T3_P12ihipStream_tbEUlT_E_NS1_11comp_targetILNS1_3genE9ELNS1_11target_archE1100ELNS1_3gpuE3ELNS1_3repE0EEENS1_30default_config_static_selectorELNS0_4arch9wavefront6targetE0EEEvSR_,comdat
.Lfunc_end134:
	.size	_ZN7rocprim17ROCPRIM_400000_NS6detail17trampoline_kernelINS0_14default_configENS1_32segmented_reduce_config_selectorIN3c108BFloat16EEEZNS1_21segmented_reduce_implIS3_PKS6_PS6_PKiS6_N6hipcub16HIPCUB_304000_NS6detail27convert_result_type_wrapperISA_SB_N2at6native12_GLOBAL__N_19CustomMinEEEEE10hipError_tPvRmT0_T1_jT2_SS_T4_T3_P12ihipStream_tbEUlT_E_NS1_11comp_targetILNS1_3genE9ELNS1_11target_archE1100ELNS1_3gpuE3ELNS1_3repE0EEENS1_30default_config_static_selectorELNS0_4arch9wavefront6targetE0EEEvSR_, .Lfunc_end134-_ZN7rocprim17ROCPRIM_400000_NS6detail17trampoline_kernelINS0_14default_configENS1_32segmented_reduce_config_selectorIN3c108BFloat16EEEZNS1_21segmented_reduce_implIS3_PKS6_PS6_PKiS6_N6hipcub16HIPCUB_304000_NS6detail27convert_result_type_wrapperISA_SB_N2at6native12_GLOBAL__N_19CustomMinEEEEE10hipError_tPvRmT0_T1_jT2_SS_T4_T3_P12ihipStream_tbEUlT_E_NS1_11comp_targetILNS1_3genE9ELNS1_11target_archE1100ELNS1_3gpuE3ELNS1_3repE0EEENS1_30default_config_static_selectorELNS0_4arch9wavefront6targetE0EEEvSR_
                                        ; -- End function
	.set _ZN7rocprim17ROCPRIM_400000_NS6detail17trampoline_kernelINS0_14default_configENS1_32segmented_reduce_config_selectorIN3c108BFloat16EEEZNS1_21segmented_reduce_implIS3_PKS6_PS6_PKiS6_N6hipcub16HIPCUB_304000_NS6detail27convert_result_type_wrapperISA_SB_N2at6native12_GLOBAL__N_19CustomMinEEEEE10hipError_tPvRmT0_T1_jT2_SS_T4_T3_P12ihipStream_tbEUlT_E_NS1_11comp_targetILNS1_3genE9ELNS1_11target_archE1100ELNS1_3gpuE3ELNS1_3repE0EEENS1_30default_config_static_selectorELNS0_4arch9wavefront6targetE0EEEvSR_.num_vgpr, 0
	.set _ZN7rocprim17ROCPRIM_400000_NS6detail17trampoline_kernelINS0_14default_configENS1_32segmented_reduce_config_selectorIN3c108BFloat16EEEZNS1_21segmented_reduce_implIS3_PKS6_PS6_PKiS6_N6hipcub16HIPCUB_304000_NS6detail27convert_result_type_wrapperISA_SB_N2at6native12_GLOBAL__N_19CustomMinEEEEE10hipError_tPvRmT0_T1_jT2_SS_T4_T3_P12ihipStream_tbEUlT_E_NS1_11comp_targetILNS1_3genE9ELNS1_11target_archE1100ELNS1_3gpuE3ELNS1_3repE0EEENS1_30default_config_static_selectorELNS0_4arch9wavefront6targetE0EEEvSR_.num_agpr, 0
	.set _ZN7rocprim17ROCPRIM_400000_NS6detail17trampoline_kernelINS0_14default_configENS1_32segmented_reduce_config_selectorIN3c108BFloat16EEEZNS1_21segmented_reduce_implIS3_PKS6_PS6_PKiS6_N6hipcub16HIPCUB_304000_NS6detail27convert_result_type_wrapperISA_SB_N2at6native12_GLOBAL__N_19CustomMinEEEEE10hipError_tPvRmT0_T1_jT2_SS_T4_T3_P12ihipStream_tbEUlT_E_NS1_11comp_targetILNS1_3genE9ELNS1_11target_archE1100ELNS1_3gpuE3ELNS1_3repE0EEENS1_30default_config_static_selectorELNS0_4arch9wavefront6targetE0EEEvSR_.numbered_sgpr, 0
	.set _ZN7rocprim17ROCPRIM_400000_NS6detail17trampoline_kernelINS0_14default_configENS1_32segmented_reduce_config_selectorIN3c108BFloat16EEEZNS1_21segmented_reduce_implIS3_PKS6_PS6_PKiS6_N6hipcub16HIPCUB_304000_NS6detail27convert_result_type_wrapperISA_SB_N2at6native12_GLOBAL__N_19CustomMinEEEEE10hipError_tPvRmT0_T1_jT2_SS_T4_T3_P12ihipStream_tbEUlT_E_NS1_11comp_targetILNS1_3genE9ELNS1_11target_archE1100ELNS1_3gpuE3ELNS1_3repE0EEENS1_30default_config_static_selectorELNS0_4arch9wavefront6targetE0EEEvSR_.num_named_barrier, 0
	.set _ZN7rocprim17ROCPRIM_400000_NS6detail17trampoline_kernelINS0_14default_configENS1_32segmented_reduce_config_selectorIN3c108BFloat16EEEZNS1_21segmented_reduce_implIS3_PKS6_PS6_PKiS6_N6hipcub16HIPCUB_304000_NS6detail27convert_result_type_wrapperISA_SB_N2at6native12_GLOBAL__N_19CustomMinEEEEE10hipError_tPvRmT0_T1_jT2_SS_T4_T3_P12ihipStream_tbEUlT_E_NS1_11comp_targetILNS1_3genE9ELNS1_11target_archE1100ELNS1_3gpuE3ELNS1_3repE0EEENS1_30default_config_static_selectorELNS0_4arch9wavefront6targetE0EEEvSR_.private_seg_size, 0
	.set _ZN7rocprim17ROCPRIM_400000_NS6detail17trampoline_kernelINS0_14default_configENS1_32segmented_reduce_config_selectorIN3c108BFloat16EEEZNS1_21segmented_reduce_implIS3_PKS6_PS6_PKiS6_N6hipcub16HIPCUB_304000_NS6detail27convert_result_type_wrapperISA_SB_N2at6native12_GLOBAL__N_19CustomMinEEEEE10hipError_tPvRmT0_T1_jT2_SS_T4_T3_P12ihipStream_tbEUlT_E_NS1_11comp_targetILNS1_3genE9ELNS1_11target_archE1100ELNS1_3gpuE3ELNS1_3repE0EEENS1_30default_config_static_selectorELNS0_4arch9wavefront6targetE0EEEvSR_.uses_vcc, 0
	.set _ZN7rocprim17ROCPRIM_400000_NS6detail17trampoline_kernelINS0_14default_configENS1_32segmented_reduce_config_selectorIN3c108BFloat16EEEZNS1_21segmented_reduce_implIS3_PKS6_PS6_PKiS6_N6hipcub16HIPCUB_304000_NS6detail27convert_result_type_wrapperISA_SB_N2at6native12_GLOBAL__N_19CustomMinEEEEE10hipError_tPvRmT0_T1_jT2_SS_T4_T3_P12ihipStream_tbEUlT_E_NS1_11comp_targetILNS1_3genE9ELNS1_11target_archE1100ELNS1_3gpuE3ELNS1_3repE0EEENS1_30default_config_static_selectorELNS0_4arch9wavefront6targetE0EEEvSR_.uses_flat_scratch, 0
	.set _ZN7rocprim17ROCPRIM_400000_NS6detail17trampoline_kernelINS0_14default_configENS1_32segmented_reduce_config_selectorIN3c108BFloat16EEEZNS1_21segmented_reduce_implIS3_PKS6_PS6_PKiS6_N6hipcub16HIPCUB_304000_NS6detail27convert_result_type_wrapperISA_SB_N2at6native12_GLOBAL__N_19CustomMinEEEEE10hipError_tPvRmT0_T1_jT2_SS_T4_T3_P12ihipStream_tbEUlT_E_NS1_11comp_targetILNS1_3genE9ELNS1_11target_archE1100ELNS1_3gpuE3ELNS1_3repE0EEENS1_30default_config_static_selectorELNS0_4arch9wavefront6targetE0EEEvSR_.has_dyn_sized_stack, 0
	.set _ZN7rocprim17ROCPRIM_400000_NS6detail17trampoline_kernelINS0_14default_configENS1_32segmented_reduce_config_selectorIN3c108BFloat16EEEZNS1_21segmented_reduce_implIS3_PKS6_PS6_PKiS6_N6hipcub16HIPCUB_304000_NS6detail27convert_result_type_wrapperISA_SB_N2at6native12_GLOBAL__N_19CustomMinEEEEE10hipError_tPvRmT0_T1_jT2_SS_T4_T3_P12ihipStream_tbEUlT_E_NS1_11comp_targetILNS1_3genE9ELNS1_11target_archE1100ELNS1_3gpuE3ELNS1_3repE0EEENS1_30default_config_static_selectorELNS0_4arch9wavefront6targetE0EEEvSR_.has_recursion, 0
	.set _ZN7rocprim17ROCPRIM_400000_NS6detail17trampoline_kernelINS0_14default_configENS1_32segmented_reduce_config_selectorIN3c108BFloat16EEEZNS1_21segmented_reduce_implIS3_PKS6_PS6_PKiS6_N6hipcub16HIPCUB_304000_NS6detail27convert_result_type_wrapperISA_SB_N2at6native12_GLOBAL__N_19CustomMinEEEEE10hipError_tPvRmT0_T1_jT2_SS_T4_T3_P12ihipStream_tbEUlT_E_NS1_11comp_targetILNS1_3genE9ELNS1_11target_archE1100ELNS1_3gpuE3ELNS1_3repE0EEENS1_30default_config_static_selectorELNS0_4arch9wavefront6targetE0EEEvSR_.has_indirect_call, 0
	.section	.AMDGPU.csdata,"",@progbits
; Kernel info:
; codeLenInByte = 0
; TotalNumSgprs: 0
; NumVgprs: 0
; ScratchSize: 0
; MemoryBound: 0
; FloatMode: 240
; IeeeMode: 1
; LDSByteSize: 0 bytes/workgroup (compile time only)
; SGPRBlocks: 0
; VGPRBlocks: 0
; NumSGPRsForWavesPerEU: 1
; NumVGPRsForWavesPerEU: 1
; NamedBarCnt: 0
; Occupancy: 16
; WaveLimiterHint : 0
; COMPUTE_PGM_RSRC2:SCRATCH_EN: 0
; COMPUTE_PGM_RSRC2:USER_SGPR: 2
; COMPUTE_PGM_RSRC2:TRAP_HANDLER: 0
; COMPUTE_PGM_RSRC2:TGID_X_EN: 1
; COMPUTE_PGM_RSRC2:TGID_Y_EN: 0
; COMPUTE_PGM_RSRC2:TGID_Z_EN: 0
; COMPUTE_PGM_RSRC2:TIDIG_COMP_CNT: 0
	.section	.text._ZN7rocprim17ROCPRIM_400000_NS6detail17trampoline_kernelINS0_14default_configENS1_32segmented_reduce_config_selectorIN3c108BFloat16EEEZNS1_21segmented_reduce_implIS3_PKS6_PS6_PKiS6_N6hipcub16HIPCUB_304000_NS6detail27convert_result_type_wrapperISA_SB_N2at6native12_GLOBAL__N_19CustomMinEEEEE10hipError_tPvRmT0_T1_jT2_SS_T4_T3_P12ihipStream_tbEUlT_E_NS1_11comp_targetILNS1_3genE8ELNS1_11target_archE1030ELNS1_3gpuE2ELNS1_3repE0EEENS1_30default_config_static_selectorELNS0_4arch9wavefront6targetE0EEEvSR_,"axG",@progbits,_ZN7rocprim17ROCPRIM_400000_NS6detail17trampoline_kernelINS0_14default_configENS1_32segmented_reduce_config_selectorIN3c108BFloat16EEEZNS1_21segmented_reduce_implIS3_PKS6_PS6_PKiS6_N6hipcub16HIPCUB_304000_NS6detail27convert_result_type_wrapperISA_SB_N2at6native12_GLOBAL__N_19CustomMinEEEEE10hipError_tPvRmT0_T1_jT2_SS_T4_T3_P12ihipStream_tbEUlT_E_NS1_11comp_targetILNS1_3genE8ELNS1_11target_archE1030ELNS1_3gpuE2ELNS1_3repE0EEENS1_30default_config_static_selectorELNS0_4arch9wavefront6targetE0EEEvSR_,comdat
	.globl	_ZN7rocprim17ROCPRIM_400000_NS6detail17trampoline_kernelINS0_14default_configENS1_32segmented_reduce_config_selectorIN3c108BFloat16EEEZNS1_21segmented_reduce_implIS3_PKS6_PS6_PKiS6_N6hipcub16HIPCUB_304000_NS6detail27convert_result_type_wrapperISA_SB_N2at6native12_GLOBAL__N_19CustomMinEEEEE10hipError_tPvRmT0_T1_jT2_SS_T4_T3_P12ihipStream_tbEUlT_E_NS1_11comp_targetILNS1_3genE8ELNS1_11target_archE1030ELNS1_3gpuE2ELNS1_3repE0EEENS1_30default_config_static_selectorELNS0_4arch9wavefront6targetE0EEEvSR_ ; -- Begin function _ZN7rocprim17ROCPRIM_400000_NS6detail17trampoline_kernelINS0_14default_configENS1_32segmented_reduce_config_selectorIN3c108BFloat16EEEZNS1_21segmented_reduce_implIS3_PKS6_PS6_PKiS6_N6hipcub16HIPCUB_304000_NS6detail27convert_result_type_wrapperISA_SB_N2at6native12_GLOBAL__N_19CustomMinEEEEE10hipError_tPvRmT0_T1_jT2_SS_T4_T3_P12ihipStream_tbEUlT_E_NS1_11comp_targetILNS1_3genE8ELNS1_11target_archE1030ELNS1_3gpuE2ELNS1_3repE0EEENS1_30default_config_static_selectorELNS0_4arch9wavefront6targetE0EEEvSR_
	.p2align	8
	.type	_ZN7rocprim17ROCPRIM_400000_NS6detail17trampoline_kernelINS0_14default_configENS1_32segmented_reduce_config_selectorIN3c108BFloat16EEEZNS1_21segmented_reduce_implIS3_PKS6_PS6_PKiS6_N6hipcub16HIPCUB_304000_NS6detail27convert_result_type_wrapperISA_SB_N2at6native12_GLOBAL__N_19CustomMinEEEEE10hipError_tPvRmT0_T1_jT2_SS_T4_T3_P12ihipStream_tbEUlT_E_NS1_11comp_targetILNS1_3genE8ELNS1_11target_archE1030ELNS1_3gpuE2ELNS1_3repE0EEENS1_30default_config_static_selectorELNS0_4arch9wavefront6targetE0EEEvSR_,@function
_ZN7rocprim17ROCPRIM_400000_NS6detail17trampoline_kernelINS0_14default_configENS1_32segmented_reduce_config_selectorIN3c108BFloat16EEEZNS1_21segmented_reduce_implIS3_PKS6_PS6_PKiS6_N6hipcub16HIPCUB_304000_NS6detail27convert_result_type_wrapperISA_SB_N2at6native12_GLOBAL__N_19CustomMinEEEEE10hipError_tPvRmT0_T1_jT2_SS_T4_T3_P12ihipStream_tbEUlT_E_NS1_11comp_targetILNS1_3genE8ELNS1_11target_archE1030ELNS1_3gpuE2ELNS1_3repE0EEENS1_30default_config_static_selectorELNS0_4arch9wavefront6targetE0EEEvSR_: ; @_ZN7rocprim17ROCPRIM_400000_NS6detail17trampoline_kernelINS0_14default_configENS1_32segmented_reduce_config_selectorIN3c108BFloat16EEEZNS1_21segmented_reduce_implIS3_PKS6_PS6_PKiS6_N6hipcub16HIPCUB_304000_NS6detail27convert_result_type_wrapperISA_SB_N2at6native12_GLOBAL__N_19CustomMinEEEEE10hipError_tPvRmT0_T1_jT2_SS_T4_T3_P12ihipStream_tbEUlT_E_NS1_11comp_targetILNS1_3genE8ELNS1_11target_archE1030ELNS1_3gpuE2ELNS1_3repE0EEENS1_30default_config_static_selectorELNS0_4arch9wavefront6targetE0EEEvSR_
; %bb.0:
	.section	.rodata,"a",@progbits
	.p2align	6, 0x0
	.amdhsa_kernel _ZN7rocprim17ROCPRIM_400000_NS6detail17trampoline_kernelINS0_14default_configENS1_32segmented_reduce_config_selectorIN3c108BFloat16EEEZNS1_21segmented_reduce_implIS3_PKS6_PS6_PKiS6_N6hipcub16HIPCUB_304000_NS6detail27convert_result_type_wrapperISA_SB_N2at6native12_GLOBAL__N_19CustomMinEEEEE10hipError_tPvRmT0_T1_jT2_SS_T4_T3_P12ihipStream_tbEUlT_E_NS1_11comp_targetILNS1_3genE8ELNS1_11target_archE1030ELNS1_3gpuE2ELNS1_3repE0EEENS1_30default_config_static_selectorELNS0_4arch9wavefront6targetE0EEEvSR_
		.amdhsa_group_segment_fixed_size 0
		.amdhsa_private_segment_fixed_size 0
		.amdhsa_kernarg_size 48
		.amdhsa_user_sgpr_count 2
		.amdhsa_user_sgpr_dispatch_ptr 0
		.amdhsa_user_sgpr_queue_ptr 0
		.amdhsa_user_sgpr_kernarg_segment_ptr 1
		.amdhsa_user_sgpr_dispatch_id 0
		.amdhsa_user_sgpr_kernarg_preload_length 0
		.amdhsa_user_sgpr_kernarg_preload_offset 0
		.amdhsa_user_sgpr_private_segment_size 0
		.amdhsa_wavefront_size32 1
		.amdhsa_uses_dynamic_stack 0
		.amdhsa_enable_private_segment 0
		.amdhsa_system_sgpr_workgroup_id_x 1
		.amdhsa_system_sgpr_workgroup_id_y 0
		.amdhsa_system_sgpr_workgroup_id_z 0
		.amdhsa_system_sgpr_workgroup_info 0
		.amdhsa_system_vgpr_workitem_id 0
		.amdhsa_next_free_vgpr 1
		.amdhsa_next_free_sgpr 1
		.amdhsa_named_barrier_count 0
		.amdhsa_reserve_vcc 0
		.amdhsa_float_round_mode_32 0
		.amdhsa_float_round_mode_16_64 0
		.amdhsa_float_denorm_mode_32 3
		.amdhsa_float_denorm_mode_16_64 3
		.amdhsa_fp16_overflow 0
		.amdhsa_memory_ordered 1
		.amdhsa_forward_progress 1
		.amdhsa_inst_pref_size 0
		.amdhsa_round_robin_scheduling 0
		.amdhsa_exception_fp_ieee_invalid_op 0
		.amdhsa_exception_fp_denorm_src 0
		.amdhsa_exception_fp_ieee_div_zero 0
		.amdhsa_exception_fp_ieee_overflow 0
		.amdhsa_exception_fp_ieee_underflow 0
		.amdhsa_exception_fp_ieee_inexact 0
		.amdhsa_exception_int_div_zero 0
	.end_amdhsa_kernel
	.section	.text._ZN7rocprim17ROCPRIM_400000_NS6detail17trampoline_kernelINS0_14default_configENS1_32segmented_reduce_config_selectorIN3c108BFloat16EEEZNS1_21segmented_reduce_implIS3_PKS6_PS6_PKiS6_N6hipcub16HIPCUB_304000_NS6detail27convert_result_type_wrapperISA_SB_N2at6native12_GLOBAL__N_19CustomMinEEEEE10hipError_tPvRmT0_T1_jT2_SS_T4_T3_P12ihipStream_tbEUlT_E_NS1_11comp_targetILNS1_3genE8ELNS1_11target_archE1030ELNS1_3gpuE2ELNS1_3repE0EEENS1_30default_config_static_selectorELNS0_4arch9wavefront6targetE0EEEvSR_,"axG",@progbits,_ZN7rocprim17ROCPRIM_400000_NS6detail17trampoline_kernelINS0_14default_configENS1_32segmented_reduce_config_selectorIN3c108BFloat16EEEZNS1_21segmented_reduce_implIS3_PKS6_PS6_PKiS6_N6hipcub16HIPCUB_304000_NS6detail27convert_result_type_wrapperISA_SB_N2at6native12_GLOBAL__N_19CustomMinEEEEE10hipError_tPvRmT0_T1_jT2_SS_T4_T3_P12ihipStream_tbEUlT_E_NS1_11comp_targetILNS1_3genE8ELNS1_11target_archE1030ELNS1_3gpuE2ELNS1_3repE0EEENS1_30default_config_static_selectorELNS0_4arch9wavefront6targetE0EEEvSR_,comdat
.Lfunc_end135:
	.size	_ZN7rocprim17ROCPRIM_400000_NS6detail17trampoline_kernelINS0_14default_configENS1_32segmented_reduce_config_selectorIN3c108BFloat16EEEZNS1_21segmented_reduce_implIS3_PKS6_PS6_PKiS6_N6hipcub16HIPCUB_304000_NS6detail27convert_result_type_wrapperISA_SB_N2at6native12_GLOBAL__N_19CustomMinEEEEE10hipError_tPvRmT0_T1_jT2_SS_T4_T3_P12ihipStream_tbEUlT_E_NS1_11comp_targetILNS1_3genE8ELNS1_11target_archE1030ELNS1_3gpuE2ELNS1_3repE0EEENS1_30default_config_static_selectorELNS0_4arch9wavefront6targetE0EEEvSR_, .Lfunc_end135-_ZN7rocprim17ROCPRIM_400000_NS6detail17trampoline_kernelINS0_14default_configENS1_32segmented_reduce_config_selectorIN3c108BFloat16EEEZNS1_21segmented_reduce_implIS3_PKS6_PS6_PKiS6_N6hipcub16HIPCUB_304000_NS6detail27convert_result_type_wrapperISA_SB_N2at6native12_GLOBAL__N_19CustomMinEEEEE10hipError_tPvRmT0_T1_jT2_SS_T4_T3_P12ihipStream_tbEUlT_E_NS1_11comp_targetILNS1_3genE8ELNS1_11target_archE1030ELNS1_3gpuE2ELNS1_3repE0EEENS1_30default_config_static_selectorELNS0_4arch9wavefront6targetE0EEEvSR_
                                        ; -- End function
	.set _ZN7rocprim17ROCPRIM_400000_NS6detail17trampoline_kernelINS0_14default_configENS1_32segmented_reduce_config_selectorIN3c108BFloat16EEEZNS1_21segmented_reduce_implIS3_PKS6_PS6_PKiS6_N6hipcub16HIPCUB_304000_NS6detail27convert_result_type_wrapperISA_SB_N2at6native12_GLOBAL__N_19CustomMinEEEEE10hipError_tPvRmT0_T1_jT2_SS_T4_T3_P12ihipStream_tbEUlT_E_NS1_11comp_targetILNS1_3genE8ELNS1_11target_archE1030ELNS1_3gpuE2ELNS1_3repE0EEENS1_30default_config_static_selectorELNS0_4arch9wavefront6targetE0EEEvSR_.num_vgpr, 0
	.set _ZN7rocprim17ROCPRIM_400000_NS6detail17trampoline_kernelINS0_14default_configENS1_32segmented_reduce_config_selectorIN3c108BFloat16EEEZNS1_21segmented_reduce_implIS3_PKS6_PS6_PKiS6_N6hipcub16HIPCUB_304000_NS6detail27convert_result_type_wrapperISA_SB_N2at6native12_GLOBAL__N_19CustomMinEEEEE10hipError_tPvRmT0_T1_jT2_SS_T4_T3_P12ihipStream_tbEUlT_E_NS1_11comp_targetILNS1_3genE8ELNS1_11target_archE1030ELNS1_3gpuE2ELNS1_3repE0EEENS1_30default_config_static_selectorELNS0_4arch9wavefront6targetE0EEEvSR_.num_agpr, 0
	.set _ZN7rocprim17ROCPRIM_400000_NS6detail17trampoline_kernelINS0_14default_configENS1_32segmented_reduce_config_selectorIN3c108BFloat16EEEZNS1_21segmented_reduce_implIS3_PKS6_PS6_PKiS6_N6hipcub16HIPCUB_304000_NS6detail27convert_result_type_wrapperISA_SB_N2at6native12_GLOBAL__N_19CustomMinEEEEE10hipError_tPvRmT0_T1_jT2_SS_T4_T3_P12ihipStream_tbEUlT_E_NS1_11comp_targetILNS1_3genE8ELNS1_11target_archE1030ELNS1_3gpuE2ELNS1_3repE0EEENS1_30default_config_static_selectorELNS0_4arch9wavefront6targetE0EEEvSR_.numbered_sgpr, 0
	.set _ZN7rocprim17ROCPRIM_400000_NS6detail17trampoline_kernelINS0_14default_configENS1_32segmented_reduce_config_selectorIN3c108BFloat16EEEZNS1_21segmented_reduce_implIS3_PKS6_PS6_PKiS6_N6hipcub16HIPCUB_304000_NS6detail27convert_result_type_wrapperISA_SB_N2at6native12_GLOBAL__N_19CustomMinEEEEE10hipError_tPvRmT0_T1_jT2_SS_T4_T3_P12ihipStream_tbEUlT_E_NS1_11comp_targetILNS1_3genE8ELNS1_11target_archE1030ELNS1_3gpuE2ELNS1_3repE0EEENS1_30default_config_static_selectorELNS0_4arch9wavefront6targetE0EEEvSR_.num_named_barrier, 0
	.set _ZN7rocprim17ROCPRIM_400000_NS6detail17trampoline_kernelINS0_14default_configENS1_32segmented_reduce_config_selectorIN3c108BFloat16EEEZNS1_21segmented_reduce_implIS3_PKS6_PS6_PKiS6_N6hipcub16HIPCUB_304000_NS6detail27convert_result_type_wrapperISA_SB_N2at6native12_GLOBAL__N_19CustomMinEEEEE10hipError_tPvRmT0_T1_jT2_SS_T4_T3_P12ihipStream_tbEUlT_E_NS1_11comp_targetILNS1_3genE8ELNS1_11target_archE1030ELNS1_3gpuE2ELNS1_3repE0EEENS1_30default_config_static_selectorELNS0_4arch9wavefront6targetE0EEEvSR_.private_seg_size, 0
	.set _ZN7rocprim17ROCPRIM_400000_NS6detail17trampoline_kernelINS0_14default_configENS1_32segmented_reduce_config_selectorIN3c108BFloat16EEEZNS1_21segmented_reduce_implIS3_PKS6_PS6_PKiS6_N6hipcub16HIPCUB_304000_NS6detail27convert_result_type_wrapperISA_SB_N2at6native12_GLOBAL__N_19CustomMinEEEEE10hipError_tPvRmT0_T1_jT2_SS_T4_T3_P12ihipStream_tbEUlT_E_NS1_11comp_targetILNS1_3genE8ELNS1_11target_archE1030ELNS1_3gpuE2ELNS1_3repE0EEENS1_30default_config_static_selectorELNS0_4arch9wavefront6targetE0EEEvSR_.uses_vcc, 0
	.set _ZN7rocprim17ROCPRIM_400000_NS6detail17trampoline_kernelINS0_14default_configENS1_32segmented_reduce_config_selectorIN3c108BFloat16EEEZNS1_21segmented_reduce_implIS3_PKS6_PS6_PKiS6_N6hipcub16HIPCUB_304000_NS6detail27convert_result_type_wrapperISA_SB_N2at6native12_GLOBAL__N_19CustomMinEEEEE10hipError_tPvRmT0_T1_jT2_SS_T4_T3_P12ihipStream_tbEUlT_E_NS1_11comp_targetILNS1_3genE8ELNS1_11target_archE1030ELNS1_3gpuE2ELNS1_3repE0EEENS1_30default_config_static_selectorELNS0_4arch9wavefront6targetE0EEEvSR_.uses_flat_scratch, 0
	.set _ZN7rocprim17ROCPRIM_400000_NS6detail17trampoline_kernelINS0_14default_configENS1_32segmented_reduce_config_selectorIN3c108BFloat16EEEZNS1_21segmented_reduce_implIS3_PKS6_PS6_PKiS6_N6hipcub16HIPCUB_304000_NS6detail27convert_result_type_wrapperISA_SB_N2at6native12_GLOBAL__N_19CustomMinEEEEE10hipError_tPvRmT0_T1_jT2_SS_T4_T3_P12ihipStream_tbEUlT_E_NS1_11comp_targetILNS1_3genE8ELNS1_11target_archE1030ELNS1_3gpuE2ELNS1_3repE0EEENS1_30default_config_static_selectorELNS0_4arch9wavefront6targetE0EEEvSR_.has_dyn_sized_stack, 0
	.set _ZN7rocprim17ROCPRIM_400000_NS6detail17trampoline_kernelINS0_14default_configENS1_32segmented_reduce_config_selectorIN3c108BFloat16EEEZNS1_21segmented_reduce_implIS3_PKS6_PS6_PKiS6_N6hipcub16HIPCUB_304000_NS6detail27convert_result_type_wrapperISA_SB_N2at6native12_GLOBAL__N_19CustomMinEEEEE10hipError_tPvRmT0_T1_jT2_SS_T4_T3_P12ihipStream_tbEUlT_E_NS1_11comp_targetILNS1_3genE8ELNS1_11target_archE1030ELNS1_3gpuE2ELNS1_3repE0EEENS1_30default_config_static_selectorELNS0_4arch9wavefront6targetE0EEEvSR_.has_recursion, 0
	.set _ZN7rocprim17ROCPRIM_400000_NS6detail17trampoline_kernelINS0_14default_configENS1_32segmented_reduce_config_selectorIN3c108BFloat16EEEZNS1_21segmented_reduce_implIS3_PKS6_PS6_PKiS6_N6hipcub16HIPCUB_304000_NS6detail27convert_result_type_wrapperISA_SB_N2at6native12_GLOBAL__N_19CustomMinEEEEE10hipError_tPvRmT0_T1_jT2_SS_T4_T3_P12ihipStream_tbEUlT_E_NS1_11comp_targetILNS1_3genE8ELNS1_11target_archE1030ELNS1_3gpuE2ELNS1_3repE0EEENS1_30default_config_static_selectorELNS0_4arch9wavefront6targetE0EEEvSR_.has_indirect_call, 0
	.section	.AMDGPU.csdata,"",@progbits
; Kernel info:
; codeLenInByte = 0
; TotalNumSgprs: 0
; NumVgprs: 0
; ScratchSize: 0
; MemoryBound: 0
; FloatMode: 240
; IeeeMode: 1
; LDSByteSize: 0 bytes/workgroup (compile time only)
; SGPRBlocks: 0
; VGPRBlocks: 0
; NumSGPRsForWavesPerEU: 1
; NumVGPRsForWavesPerEU: 1
; NamedBarCnt: 0
; Occupancy: 16
; WaveLimiterHint : 0
; COMPUTE_PGM_RSRC2:SCRATCH_EN: 0
; COMPUTE_PGM_RSRC2:USER_SGPR: 2
; COMPUTE_PGM_RSRC2:TRAP_HANDLER: 0
; COMPUTE_PGM_RSRC2:TGID_X_EN: 1
; COMPUTE_PGM_RSRC2:TGID_Y_EN: 0
; COMPUTE_PGM_RSRC2:TGID_Z_EN: 0
; COMPUTE_PGM_RSRC2:TIDIG_COMP_CNT: 0
	.section	.text._ZN7rocprim17ROCPRIM_400000_NS6detail17trampoline_kernelINS0_14default_configENS1_32segmented_reduce_config_selectorIN3c108BFloat16EEEZNS1_21segmented_reduce_implIS3_PKS6_PS6_PKiS6_N6hipcub16HIPCUB_304000_NS6detail27convert_result_type_wrapperISA_SB_N2at6native12_GLOBAL__N_110CustomProdEEEEE10hipError_tPvRmT0_T1_jT2_SS_T4_T3_P12ihipStream_tbEUlT_E_NS1_11comp_targetILNS1_3genE0ELNS1_11target_archE4294967295ELNS1_3gpuE0ELNS1_3repE0EEENS1_30default_config_static_selectorELNS0_4arch9wavefront6targetE0EEEvSR_,"axG",@progbits,_ZN7rocprim17ROCPRIM_400000_NS6detail17trampoline_kernelINS0_14default_configENS1_32segmented_reduce_config_selectorIN3c108BFloat16EEEZNS1_21segmented_reduce_implIS3_PKS6_PS6_PKiS6_N6hipcub16HIPCUB_304000_NS6detail27convert_result_type_wrapperISA_SB_N2at6native12_GLOBAL__N_110CustomProdEEEEE10hipError_tPvRmT0_T1_jT2_SS_T4_T3_P12ihipStream_tbEUlT_E_NS1_11comp_targetILNS1_3genE0ELNS1_11target_archE4294967295ELNS1_3gpuE0ELNS1_3repE0EEENS1_30default_config_static_selectorELNS0_4arch9wavefront6targetE0EEEvSR_,comdat
	.globl	_ZN7rocprim17ROCPRIM_400000_NS6detail17trampoline_kernelINS0_14default_configENS1_32segmented_reduce_config_selectorIN3c108BFloat16EEEZNS1_21segmented_reduce_implIS3_PKS6_PS6_PKiS6_N6hipcub16HIPCUB_304000_NS6detail27convert_result_type_wrapperISA_SB_N2at6native12_GLOBAL__N_110CustomProdEEEEE10hipError_tPvRmT0_T1_jT2_SS_T4_T3_P12ihipStream_tbEUlT_E_NS1_11comp_targetILNS1_3genE0ELNS1_11target_archE4294967295ELNS1_3gpuE0ELNS1_3repE0EEENS1_30default_config_static_selectorELNS0_4arch9wavefront6targetE0EEEvSR_ ; -- Begin function _ZN7rocprim17ROCPRIM_400000_NS6detail17trampoline_kernelINS0_14default_configENS1_32segmented_reduce_config_selectorIN3c108BFloat16EEEZNS1_21segmented_reduce_implIS3_PKS6_PS6_PKiS6_N6hipcub16HIPCUB_304000_NS6detail27convert_result_type_wrapperISA_SB_N2at6native12_GLOBAL__N_110CustomProdEEEEE10hipError_tPvRmT0_T1_jT2_SS_T4_T3_P12ihipStream_tbEUlT_E_NS1_11comp_targetILNS1_3genE0ELNS1_11target_archE4294967295ELNS1_3gpuE0ELNS1_3repE0EEENS1_30default_config_static_selectorELNS0_4arch9wavefront6targetE0EEEvSR_
	.p2align	8
	.type	_ZN7rocprim17ROCPRIM_400000_NS6detail17trampoline_kernelINS0_14default_configENS1_32segmented_reduce_config_selectorIN3c108BFloat16EEEZNS1_21segmented_reduce_implIS3_PKS6_PS6_PKiS6_N6hipcub16HIPCUB_304000_NS6detail27convert_result_type_wrapperISA_SB_N2at6native12_GLOBAL__N_110CustomProdEEEEE10hipError_tPvRmT0_T1_jT2_SS_T4_T3_P12ihipStream_tbEUlT_E_NS1_11comp_targetILNS1_3genE0ELNS1_11target_archE4294967295ELNS1_3gpuE0ELNS1_3repE0EEENS1_30default_config_static_selectorELNS0_4arch9wavefront6targetE0EEEvSR_,@function
_ZN7rocprim17ROCPRIM_400000_NS6detail17trampoline_kernelINS0_14default_configENS1_32segmented_reduce_config_selectorIN3c108BFloat16EEEZNS1_21segmented_reduce_implIS3_PKS6_PS6_PKiS6_N6hipcub16HIPCUB_304000_NS6detail27convert_result_type_wrapperISA_SB_N2at6native12_GLOBAL__N_110CustomProdEEEEE10hipError_tPvRmT0_T1_jT2_SS_T4_T3_P12ihipStream_tbEUlT_E_NS1_11comp_targetILNS1_3genE0ELNS1_11target_archE4294967295ELNS1_3gpuE0ELNS1_3repE0EEENS1_30default_config_static_selectorELNS0_4arch9wavefront6targetE0EEEvSR_: ; @_ZN7rocprim17ROCPRIM_400000_NS6detail17trampoline_kernelINS0_14default_configENS1_32segmented_reduce_config_selectorIN3c108BFloat16EEEZNS1_21segmented_reduce_implIS3_PKS6_PS6_PKiS6_N6hipcub16HIPCUB_304000_NS6detail27convert_result_type_wrapperISA_SB_N2at6native12_GLOBAL__N_110CustomProdEEEEE10hipError_tPvRmT0_T1_jT2_SS_T4_T3_P12ihipStream_tbEUlT_E_NS1_11comp_targetILNS1_3genE0ELNS1_11target_archE4294967295ELNS1_3gpuE0ELNS1_3repE0EEENS1_30default_config_static_selectorELNS0_4arch9wavefront6targetE0EEEvSR_
; %bb.0:
	v_mov_b32_e32 v1, 0
	s_clause 0x1
	s_load_b256 s[16:23], s[0:1], 0x0
	s_load_b64 s[2:3], s[0:1], 0x20
	s_bfe_u32 s4, ttmp6, 0x4000c
	s_and_b32 s5, ttmp6, 15
	s_add_co_i32 s4, s4, 1
	global_load_u16 v1, v1, s[0:1] offset:42
	s_mul_i32 s4, ttmp9, s4
	s_getreg_b32 s6, hwreg(HW_REG_IB_STS2, 6, 4)
	s_add_co_i32 s7, s5, s4
	s_mov_b32 s15, 0
	v_cmp_eq_u32_e32 vcc_lo, 0, v0
	s_wait_kmcnt 0x0
	s_lshl_b64 s[0:1], s[20:21], 2
	s_cmp_eq_u32 s6, 0
	s_add_nc_u64 s[4:5], s[22:23], s[0:1]
	s_cselect_b32 s22, ttmp9, s7
	s_add_nc_u64 s[0:1], s[2:3], s[0:1]
	s_load_b32 s24, s[4:5], s22 offset:0x0 scale_offset
	s_load_b32 s28, s[0:1], s22 offset:0x0 scale_offset
	s_mov_b32 s23, 0
	s_wait_xcnt 0x0
	s_mov_b32 s0, -1
	s_wait_kmcnt 0x0
	s_cmp_gt_i32 s28, s24
	s_cbranch_scc0 .LBB136_4
; %bb.1:
	s_and_not1_b32 vcc_lo, exec_lo, s0
	s_cbranch_vccz .LBB136_5
.LBB136_2:
	s_and_saveexec_b32 s0, s15
	s_cbranch_execnz .LBB136_116
.LBB136_3:
	s_endpgm
.LBB136_4:
	s_and_b32 s15, vcc_lo, exec_lo
	s_cbranch_execnz .LBB136_2
.LBB136_5:
	s_add_co_i32 s0, s24, 0x1000
	s_delay_alu instid0(SALU_CYCLE_1)
	s_cmp_le_i32 s0, s28
	s_cbranch_scc0 .LBB136_62
; %bb.6:
	s_ashr_i32 s25, s24, 31
	s_add_co_i32 s1, s24, 0x2000
	s_lshl_b64 s[2:3], s[24:25], 1
	s_cmp_ge_i32 s1, s28
	s_add_nc_u64 s[2:3], s[16:17], s[2:3]
	s_clause 0xf
	global_load_u16 v19, v0, s[2:3] scale_offset
	global_load_u16 v18, v0, s[2:3] offset:512 scale_offset
	global_load_u16 v17, v0, s[2:3] offset:1024 scale_offset
	;; [unrolled: 1-line block ×15, first 2 shown]
	s_wait_loadcnt 0xe
	v_dual_lshlrev_b32 v2, 16, v19 :: v_dual_lshlrev_b32 v3, 16, v18
	s_wait_loadcnt 0xd
	s_delay_alu instid0(VALU_DEP_1) | instskip(NEXT) | instid1(VALU_DEP_1)
	v_dual_lshlrev_b32 v20, 16, v17 :: v_dual_mul_f32 v2, v3, v2
	v_bfe_u32 v3, v2, 16, 1
	v_cmp_o_f32_e32 vcc_lo, v2, v2
	s_delay_alu instid0(VALU_DEP_2) | instskip(NEXT) | instid1(VALU_DEP_1)
	v_add3_u32 v3, v2, v3, 0x7fff
	v_and_b32_e32 v3, 0xffff0000, v3
	s_delay_alu instid0(VALU_DEP_1) | instskip(NEXT) | instid1(VALU_DEP_1)
	v_cndmask_b32_e32 v2, 0x7fc00000, v3, vcc_lo
	v_mul_f32_e32 v2, v2, v20
	s_wait_loadcnt 0xc
	v_lshlrev_b32_e32 v20, 16, v16
	s_delay_alu instid0(VALU_DEP_2) | instskip(SKIP_1) | instid1(VALU_DEP_2)
	v_bfe_u32 v3, v2, 16, 1
	v_cmp_o_f32_e32 vcc_lo, v2, v2
	v_add3_u32 v3, v2, v3, 0x7fff
	s_delay_alu instid0(VALU_DEP_1) | instskip(NEXT) | instid1(VALU_DEP_1)
	v_and_b32_e32 v3, 0xffff0000, v3
	v_cndmask_b32_e32 v2, 0x7fc00000, v3, vcc_lo
	s_wait_loadcnt 0xb
	s_delay_alu instid0(VALU_DEP_1) | instskip(NEXT) | instid1(VALU_DEP_1)
	v_dual_mul_f32 v2, v2, v20 :: v_dual_lshlrev_b32 v20, 16, v15
	v_bfe_u32 v3, v2, 16, 1
	v_cmp_o_f32_e32 vcc_lo, v2, v2
	s_delay_alu instid0(VALU_DEP_2) | instskip(NEXT) | instid1(VALU_DEP_1)
	v_add3_u32 v3, v2, v3, 0x7fff
	v_and_b32_e32 v3, 0xffff0000, v3
	s_delay_alu instid0(VALU_DEP_1) | instskip(SKIP_1) | instid1(VALU_DEP_1)
	v_cndmask_b32_e32 v2, 0x7fc00000, v3, vcc_lo
	s_wait_loadcnt 0xa
	v_dual_mul_f32 v2, v2, v20 :: v_dual_lshlrev_b32 v20, 16, v14
	s_delay_alu instid0(VALU_DEP_1) | instskip(SKIP_1) | instid1(VALU_DEP_2)
	v_bfe_u32 v3, v2, 16, 1
	v_cmp_o_f32_e32 vcc_lo, v2, v2
	v_add3_u32 v3, v2, v3, 0x7fff
	s_delay_alu instid0(VALU_DEP_1) | instskip(NEXT) | instid1(VALU_DEP_1)
	v_and_b32_e32 v3, 0xffff0000, v3
	v_cndmask_b32_e32 v2, 0x7fc00000, v3, vcc_lo
	s_wait_loadcnt 0x9
	s_delay_alu instid0(VALU_DEP_1) | instskip(NEXT) | instid1(VALU_DEP_1)
	v_dual_mul_f32 v2, v2, v20 :: v_dual_lshlrev_b32 v20, 16, v13
	v_bfe_u32 v3, v2, 16, 1
	v_cmp_o_f32_e32 vcc_lo, v2, v2
	s_delay_alu instid0(VALU_DEP_2) | instskip(NEXT) | instid1(VALU_DEP_1)
	v_add3_u32 v3, v2, v3, 0x7fff
	v_and_b32_e32 v3, 0xffff0000, v3
	s_delay_alu instid0(VALU_DEP_1) | instskip(NEXT) | instid1(VALU_DEP_1)
	v_cndmask_b32_e32 v2, 0x7fc00000, v3, vcc_lo
	v_mul_f32_e32 v2, v2, v20
	s_wait_loadcnt 0x8
	v_lshlrev_b32_e32 v20, 16, v12
	s_delay_alu instid0(VALU_DEP_2) | instskip(SKIP_1) | instid1(VALU_DEP_2)
	v_bfe_u32 v3, v2, 16, 1
	v_cmp_o_f32_e32 vcc_lo, v2, v2
	v_add3_u32 v3, v2, v3, 0x7fff
	s_delay_alu instid0(VALU_DEP_1) | instskip(NEXT) | instid1(VALU_DEP_1)
	v_and_b32_e32 v3, 0xffff0000, v3
	v_cndmask_b32_e32 v2, 0x7fc00000, v3, vcc_lo
	s_wait_loadcnt 0x7
	s_delay_alu instid0(VALU_DEP_1) | instskip(NEXT) | instid1(VALU_DEP_1)
	v_dual_mul_f32 v2, v2, v20 :: v_dual_lshlrev_b32 v20, 16, v11
	v_bfe_u32 v3, v2, 16, 1
	v_cmp_o_f32_e32 vcc_lo, v2, v2
	s_delay_alu instid0(VALU_DEP_2) | instskip(NEXT) | instid1(VALU_DEP_1)
	v_add3_u32 v3, v2, v3, 0x7fff
	v_and_b32_e32 v3, 0xffff0000, v3
	s_delay_alu instid0(VALU_DEP_1) | instskip(SKIP_1) | instid1(VALU_DEP_1)
	v_cndmask_b32_e32 v2, 0x7fc00000, v3, vcc_lo
	s_wait_loadcnt 0x6
	v_dual_mul_f32 v2, v2, v20 :: v_dual_lshlrev_b32 v20, 16, v10
	s_delay_alu instid0(VALU_DEP_1) | instskip(SKIP_1) | instid1(VALU_DEP_2)
	v_bfe_u32 v3, v2, 16, 1
	v_cmp_o_f32_e32 vcc_lo, v2, v2
	v_add3_u32 v3, v2, v3, 0x7fff
	s_delay_alu instid0(VALU_DEP_1) | instskip(NEXT) | instid1(VALU_DEP_1)
	v_and_b32_e32 v3, 0xffff0000, v3
	v_cndmask_b32_e32 v2, 0x7fc00000, v3, vcc_lo
	s_wait_loadcnt 0x5
	s_delay_alu instid0(VALU_DEP_1) | instskip(NEXT) | instid1(VALU_DEP_1)
	v_dual_mul_f32 v2, v2, v20 :: v_dual_lshlrev_b32 v20, 16, v9
	v_bfe_u32 v3, v2, 16, 1
	v_cmp_o_f32_e32 vcc_lo, v2, v2
	s_delay_alu instid0(VALU_DEP_2) | instskip(NEXT) | instid1(VALU_DEP_1)
	v_add3_u32 v3, v2, v3, 0x7fff
	v_and_b32_e32 v3, 0xffff0000, v3
	s_delay_alu instid0(VALU_DEP_1) | instskip(NEXT) | instid1(VALU_DEP_1)
	v_cndmask_b32_e32 v2, 0x7fc00000, v3, vcc_lo
	v_mul_f32_e32 v2, v2, v20
	s_wait_loadcnt 0x4
	v_lshlrev_b32_e32 v20, 16, v8
	s_delay_alu instid0(VALU_DEP_2) | instskip(SKIP_1) | instid1(VALU_DEP_2)
	v_bfe_u32 v3, v2, 16, 1
	v_cmp_o_f32_e32 vcc_lo, v2, v2
	v_add3_u32 v3, v2, v3, 0x7fff
	s_delay_alu instid0(VALU_DEP_1) | instskip(NEXT) | instid1(VALU_DEP_1)
	v_and_b32_e32 v3, 0xffff0000, v3
	v_cndmask_b32_e32 v2, 0x7fc00000, v3, vcc_lo
	s_wait_loadcnt 0x3
	s_delay_alu instid0(VALU_DEP_1) | instskip(NEXT) | instid1(VALU_DEP_1)
	v_dual_mul_f32 v2, v2, v20 :: v_dual_lshlrev_b32 v20, 16, v7
	v_bfe_u32 v3, v2, 16, 1
	v_cmp_o_f32_e32 vcc_lo, v2, v2
	s_delay_alu instid0(VALU_DEP_2) | instskip(NEXT) | instid1(VALU_DEP_1)
	v_add3_u32 v3, v2, v3, 0x7fff
	v_and_b32_e32 v3, 0xffff0000, v3
	s_delay_alu instid0(VALU_DEP_1) | instskip(SKIP_1) | instid1(VALU_DEP_1)
	v_cndmask_b32_e32 v2, 0x7fc00000, v3, vcc_lo
	s_wait_loadcnt 0x2
	v_dual_mul_f32 v2, v2, v20 :: v_dual_lshlrev_b32 v20, 16, v6
	s_delay_alu instid0(VALU_DEP_1) | instskip(SKIP_1) | instid1(VALU_DEP_2)
	v_bfe_u32 v3, v2, 16, 1
	v_cmp_o_f32_e32 vcc_lo, v2, v2
	v_add3_u32 v3, v2, v3, 0x7fff
	s_delay_alu instid0(VALU_DEP_1) | instskip(NEXT) | instid1(VALU_DEP_1)
	v_and_b32_e32 v3, 0xffff0000, v3
	v_cndmask_b32_e32 v2, 0x7fc00000, v3, vcc_lo
	s_delay_alu instid0(VALU_DEP_1) | instskip(SKIP_2) | instid1(VALU_DEP_2)
	v_mul_f32_e32 v2, v2, v20
	s_wait_loadcnt 0x1
	v_lshlrev_b32_e32 v20, 16, v4
	v_bfe_u32 v3, v2, 16, 1
	v_cmp_o_f32_e32 vcc_lo, v2, v2
	s_delay_alu instid0(VALU_DEP_2) | instskip(NEXT) | instid1(VALU_DEP_1)
	v_add3_u32 v3, v2, v3, 0x7fff
	v_and_b32_e32 v3, 0xffff0000, v3
	s_delay_alu instid0(VALU_DEP_1) | instskip(SKIP_1) | instid1(VALU_DEP_1)
	v_cndmask_b32_e32 v2, 0x7fc00000, v3, vcc_lo
	s_wait_loadcnt 0x0
	v_dual_mul_f32 v2, v2, v20 :: v_dual_lshlrev_b32 v20, 16, v5
	s_delay_alu instid0(VALU_DEP_1) | instskip(SKIP_1) | instid1(VALU_DEP_2)
	v_bfe_u32 v3, v2, 16, 1
	v_cmp_o_f32_e32 vcc_lo, v2, v2
	v_add3_u32 v3, v2, v3, 0x7fff
	s_delay_alu instid0(VALU_DEP_1) | instskip(NEXT) | instid1(VALU_DEP_1)
	v_and_b32_e32 v3, 0xffff0000, v3
	v_cndmask_b32_e32 v2, 0x7fc00000, v3, vcc_lo
	s_delay_alu instid0(VALU_DEP_1) | instskip(NEXT) | instid1(VALU_DEP_1)
	v_mul_f32_e32 v2, v2, v20
	v_bfe_u32 v3, v2, 16, 1
	v_cmp_o_f32_e32 vcc_lo, v2, v2
	s_delay_alu instid0(VALU_DEP_2) | instskip(NEXT) | instid1(VALU_DEP_1)
	v_add3_u32 v3, v2, v3, 0x7fff
	v_dual_mov_b32 v3, 0 :: v_dual_lshrrev_b32 v20, 16, v3
	s_delay_alu instid0(VALU_DEP_1)
	v_cndmask_b32_e32 v20, 0x7fc0, v20, vcc_lo
	s_cbranch_scc1 .LBB136_9
; %bb.7:
	v_lshlrev_b32_e32 v2, 1, v0
	s_delay_alu instid0(VALU_DEP_1)
	v_add_nc_u64_e32 v[2:3], s[16:17], v[2:3]
.LBB136_8:                              ; =>This Inner Loop Header: Depth=1
	s_ashr_i32 s1, s0, 31
	s_delay_alu instid0(VALU_DEP_1) | instid1(SALU_CYCLE_1)
	v_lshl_add_u64 v[22:23], s[0:1], 1, v[2:3]
	s_add_co_i32 s1, s0, 0x2000
	s_addk_co_i32 s0, 0x1000
	s_cmp_lt_i32 s1, s28
	s_clause 0xc
	global_load_u16 v19, v[22:23], off
	global_load_u16 v18, v[22:23], off offset:512
	global_load_u16 v17, v[22:23], off offset:1024
	;; [unrolled: 1-line block ×12, first 2 shown]
	v_lshlrev_b32_e32 v4, 16, v20
	global_load_u16 v6, v[22:23], off offset:6656
	s_wait_loadcnt 0xc
	v_dual_lshlrev_b32 v5, 16, v19 :: v_dual_lshlrev_b32 v20, 16, v18
	s_wait_loadcnt 0xb
	s_delay_alu instid0(VALU_DEP_1) | instskip(NEXT) | instid1(VALU_DEP_1)
	v_dual_mul_f32 v4, v5, v4 :: v_dual_lshlrev_b32 v21, 16, v17
	v_bfe_u32 v5, v4, 16, 1
	v_cmp_o_f32_e32 vcc_lo, v4, v4
	s_delay_alu instid0(VALU_DEP_2) | instskip(SKIP_2) | instid1(VALU_DEP_1)
	v_add3_u32 v5, v4, v5, 0x7fff
	global_load_u16 v4, v[22:23], off offset:7168
	v_and_b32_e32 v5, 0xffff0000, v5
	v_cndmask_b32_e32 v5, 0x7fc00000, v5, vcc_lo
	s_delay_alu instid0(VALU_DEP_1) | instskip(NEXT) | instid1(VALU_DEP_1)
	v_mul_f32_e32 v5, v5, v20
	v_bfe_u32 v20, v5, 16, 1
	v_cmp_o_f32_e32 vcc_lo, v5, v5
	s_delay_alu instid0(VALU_DEP_2)
	v_add3_u32 v20, v5, v20, 0x7fff
	global_load_u16 v5, v[22:23], off offset:7680
	s_wait_loadcnt 0xc
	s_wait_xcnt 0x0
	v_lshlrev_b32_e32 v22, 16, v16
	v_and_b32_e32 v20, 0xffff0000, v20
	s_delay_alu instid0(VALU_DEP_1) | instskip(NEXT) | instid1(VALU_DEP_1)
	v_cndmask_b32_e32 v20, 0x7fc00000, v20, vcc_lo
	v_mul_f32_e32 v20, v20, v21
	s_delay_alu instid0(VALU_DEP_1) | instskip(SKIP_1) | instid1(VALU_DEP_2)
	v_bfe_u32 v21, v20, 16, 1
	v_cmp_o_f32_e32 vcc_lo, v20, v20
	v_add3_u32 v21, v20, v21, 0x7fff
	s_delay_alu instid0(VALU_DEP_1) | instskip(NEXT) | instid1(VALU_DEP_1)
	v_and_b32_e32 v21, 0xffff0000, v21
	v_cndmask_b32_e32 v20, 0x7fc00000, v21, vcc_lo
	s_wait_loadcnt 0xb
	s_delay_alu instid0(VALU_DEP_1) | instskip(NEXT) | instid1(VALU_DEP_1)
	v_dual_mul_f32 v20, v20, v22 :: v_dual_lshlrev_b32 v22, 16, v15
	v_bfe_u32 v21, v20, 16, 1
	v_cmp_o_f32_e32 vcc_lo, v20, v20
	s_delay_alu instid0(VALU_DEP_2) | instskip(NEXT) | instid1(VALU_DEP_1)
	v_add3_u32 v21, v20, v21, 0x7fff
	v_and_b32_e32 v21, 0xffff0000, v21
	s_delay_alu instid0(VALU_DEP_1) | instskip(NEXT) | instid1(VALU_DEP_1)
	v_cndmask_b32_e32 v20, 0x7fc00000, v21, vcc_lo
	v_mul_f32_e32 v20, v20, v22
	s_wait_loadcnt 0xa
	v_lshlrev_b32_e32 v22, 16, v14
	s_delay_alu instid0(VALU_DEP_2) | instskip(SKIP_1) | instid1(VALU_DEP_2)
	v_bfe_u32 v21, v20, 16, 1
	v_cmp_o_f32_e32 vcc_lo, v20, v20
	v_add3_u32 v21, v20, v21, 0x7fff
	s_delay_alu instid0(VALU_DEP_1) | instskip(NEXT) | instid1(VALU_DEP_1)
	v_and_b32_e32 v21, 0xffff0000, v21
	v_cndmask_b32_e32 v20, 0x7fc00000, v21, vcc_lo
	s_wait_loadcnt 0x9
	s_delay_alu instid0(VALU_DEP_1) | instskip(NEXT) | instid1(VALU_DEP_1)
	v_dual_mul_f32 v20, v20, v22 :: v_dual_lshlrev_b32 v22, 16, v13
	v_bfe_u32 v21, v20, 16, 1
	v_cmp_o_f32_e32 vcc_lo, v20, v20
	s_delay_alu instid0(VALU_DEP_2) | instskip(NEXT) | instid1(VALU_DEP_1)
	v_add3_u32 v21, v20, v21, 0x7fff
	v_and_b32_e32 v21, 0xffff0000, v21
	s_delay_alu instid0(VALU_DEP_1) | instskip(SKIP_1) | instid1(VALU_DEP_1)
	v_cndmask_b32_e32 v20, 0x7fc00000, v21, vcc_lo
	s_wait_loadcnt 0x8
	v_dual_mul_f32 v20, v20, v22 :: v_dual_lshlrev_b32 v22, 16, v12
	s_delay_alu instid0(VALU_DEP_1) | instskip(SKIP_1) | instid1(VALU_DEP_2)
	v_bfe_u32 v21, v20, 16, 1
	v_cmp_o_f32_e32 vcc_lo, v20, v20
	v_add3_u32 v21, v20, v21, 0x7fff
	s_delay_alu instid0(VALU_DEP_1) | instskip(NEXT) | instid1(VALU_DEP_1)
	v_and_b32_e32 v21, 0xffff0000, v21
	v_cndmask_b32_e32 v20, 0x7fc00000, v21, vcc_lo
	s_wait_loadcnt 0x7
	s_delay_alu instid0(VALU_DEP_1) | instskip(NEXT) | instid1(VALU_DEP_1)
	v_dual_mul_f32 v20, v20, v22 :: v_dual_lshlrev_b32 v22, 16, v11
	v_bfe_u32 v21, v20, 16, 1
	v_cmp_o_f32_e32 vcc_lo, v20, v20
	s_delay_alu instid0(VALU_DEP_2) | instskip(NEXT) | instid1(VALU_DEP_1)
	v_add3_u32 v21, v20, v21, 0x7fff
	v_and_b32_e32 v21, 0xffff0000, v21
	s_delay_alu instid0(VALU_DEP_1) | instskip(NEXT) | instid1(VALU_DEP_1)
	v_cndmask_b32_e32 v20, 0x7fc00000, v21, vcc_lo
	v_mul_f32_e32 v20, v20, v22
	s_wait_loadcnt 0x6
	v_lshlrev_b32_e32 v22, 16, v10
	s_delay_alu instid0(VALU_DEP_2) | instskip(SKIP_1) | instid1(VALU_DEP_2)
	v_bfe_u32 v21, v20, 16, 1
	v_cmp_o_f32_e32 vcc_lo, v20, v20
	v_add3_u32 v21, v20, v21, 0x7fff
	s_delay_alu instid0(VALU_DEP_1) | instskip(NEXT) | instid1(VALU_DEP_1)
	v_and_b32_e32 v21, 0xffff0000, v21
	v_cndmask_b32_e32 v20, 0x7fc00000, v21, vcc_lo
	s_wait_loadcnt 0x5
	s_delay_alu instid0(VALU_DEP_1) | instskip(NEXT) | instid1(VALU_DEP_1)
	v_dual_mul_f32 v20, v20, v22 :: v_dual_lshlrev_b32 v22, 16, v9
	v_bfe_u32 v21, v20, 16, 1
	v_cmp_o_f32_e32 vcc_lo, v20, v20
	s_delay_alu instid0(VALU_DEP_2) | instskip(NEXT) | instid1(VALU_DEP_1)
	v_add3_u32 v21, v20, v21, 0x7fff
	v_and_b32_e32 v21, 0xffff0000, v21
	s_delay_alu instid0(VALU_DEP_1) | instskip(SKIP_1) | instid1(VALU_DEP_1)
	v_cndmask_b32_e32 v20, 0x7fc00000, v21, vcc_lo
	s_wait_loadcnt 0x4
	v_dual_mul_f32 v20, v20, v22 :: v_dual_lshlrev_b32 v22, 16, v8
	s_delay_alu instid0(VALU_DEP_1) | instskip(SKIP_1) | instid1(VALU_DEP_2)
	v_bfe_u32 v21, v20, 16, 1
	v_cmp_o_f32_e32 vcc_lo, v20, v20
	v_add3_u32 v21, v20, v21, 0x7fff
	s_delay_alu instid0(VALU_DEP_1) | instskip(NEXT) | instid1(VALU_DEP_1)
	v_and_b32_e32 v21, 0xffff0000, v21
	v_cndmask_b32_e32 v20, 0x7fc00000, v21, vcc_lo
	s_wait_loadcnt 0x3
	s_delay_alu instid0(VALU_DEP_1) | instskip(NEXT) | instid1(VALU_DEP_1)
	v_dual_mul_f32 v20, v20, v22 :: v_dual_lshlrev_b32 v22, 16, v7
	v_bfe_u32 v21, v20, 16, 1
	v_cmp_o_f32_e32 vcc_lo, v20, v20
	s_delay_alu instid0(VALU_DEP_2) | instskip(NEXT) | instid1(VALU_DEP_1)
	v_add3_u32 v21, v20, v21, 0x7fff
	v_and_b32_e32 v21, 0xffff0000, v21
	s_delay_alu instid0(VALU_DEP_1) | instskip(NEXT) | instid1(VALU_DEP_1)
	v_cndmask_b32_e32 v20, 0x7fc00000, v21, vcc_lo
	v_mul_f32_e32 v20, v20, v22
	s_wait_loadcnt 0x2
	v_lshlrev_b32_e32 v22, 16, v6
	s_delay_alu instid0(VALU_DEP_2) | instskip(SKIP_1) | instid1(VALU_DEP_2)
	v_bfe_u32 v21, v20, 16, 1
	v_cmp_o_f32_e32 vcc_lo, v20, v20
	v_add3_u32 v21, v20, v21, 0x7fff
	s_delay_alu instid0(VALU_DEP_1) | instskip(NEXT) | instid1(VALU_DEP_1)
	v_and_b32_e32 v21, 0xffff0000, v21
	v_cndmask_b32_e32 v20, 0x7fc00000, v21, vcc_lo
	s_delay_alu instid0(VALU_DEP_1) | instskip(NEXT) | instid1(VALU_DEP_1)
	v_mul_f32_e32 v20, v20, v22
	v_bfe_u32 v21, v20, 16, 1
	v_cmp_o_f32_e32 vcc_lo, v20, v20
	s_wait_loadcnt 0x1
	v_lshlrev_b32_e32 v22, 16, v4
	s_delay_alu instid0(VALU_DEP_3) | instskip(NEXT) | instid1(VALU_DEP_1)
	v_add3_u32 v21, v20, v21, 0x7fff
	v_and_b32_e32 v21, 0xffff0000, v21
	s_delay_alu instid0(VALU_DEP_1) | instskip(NEXT) | instid1(VALU_DEP_1)
	v_cndmask_b32_e32 v20, 0x7fc00000, v21, vcc_lo
	v_mul_f32_e32 v20, v20, v22
	s_delay_alu instid0(VALU_DEP_1) | instskip(SKIP_3) | instid1(VALU_DEP_3)
	v_bfe_u32 v21, v20, 16, 1
	v_cmp_o_f32_e32 vcc_lo, v20, v20
	s_wait_loadcnt 0x0
	v_lshlrev_b32_e32 v22, 16, v5
	v_add3_u32 v21, v20, v21, 0x7fff
	s_delay_alu instid0(VALU_DEP_1) | instskip(NEXT) | instid1(VALU_DEP_1)
	v_and_b32_e32 v21, 0xffff0000, v21
	v_cndmask_b32_e32 v20, 0x7fc00000, v21, vcc_lo
	s_delay_alu instid0(VALU_DEP_1) | instskip(NEXT) | instid1(VALU_DEP_1)
	v_mul_f32_e32 v20, v20, v22
	v_bfe_u32 v21, v20, 16, 1
	v_cmp_o_f32_e32 vcc_lo, v20, v20
	s_delay_alu instid0(VALU_DEP_2) | instskip(NEXT) | instid1(VALU_DEP_1)
	v_add3_u32 v21, v20, v21, 0x7fff
	v_lshrrev_b32_e32 v21, 16, v21
	s_delay_alu instid0(VALU_DEP_1)
	v_cndmask_b32_e32 v20, 0x7fc0, v21, vcc_lo
	s_cbranch_scc1 .LBB136_8
.LBB136_9:
	s_sub_co_i32 s25, s28, s0
	s_ashr_i32 s1, s0, 31
	v_cmp_gt_u32_e64 s14, s25, v0
	s_lshl_b64 s[0:1], s[0:1], 1
	s_delay_alu instid0(SALU_CYCLE_1)
	s_add_nc_u64 s[26:27], s[16:17], s[0:1]
	s_and_saveexec_b32 s0, s14
	s_cbranch_execz .LBB136_11
; %bb.10:
	global_load_u16 v19, v0, s[26:27] scale_offset
.LBB136_11:
	s_wait_xcnt 0x0
	s_or_b32 exec_lo, exec_lo, s0
	v_or_b32_e32 v2, 0x100, v0
	s_delay_alu instid0(VALU_DEP_1)
	v_cmp_gt_u32_e64 s13, s25, v2
	s_and_saveexec_b32 s0, s13
	s_cbranch_execz .LBB136_13
; %bb.12:
	global_load_u16 v18, v0, s[26:27] offset:512 scale_offset
.LBB136_13:
	s_wait_xcnt 0x0
	s_or_b32 exec_lo, exec_lo, s0
	v_or_b32_e32 v2, 0x200, v0
	s_delay_alu instid0(VALU_DEP_1)
	v_cmp_gt_u32_e64 s12, s25, v2
	s_and_saveexec_b32 s0, s12
	s_cbranch_execz .LBB136_15
; %bb.14:
	global_load_u16 v17, v0, s[26:27] offset:1024 scale_offset
.LBB136_15:
	;; [unrolled: 10-line block ×14, first 2 shown]
	s_wait_xcnt 0x0
	s_or_b32 exec_lo, exec_lo, s29
	v_or_b32_e32 v2, 0xf00, v0
	s_delay_alu instid0(VALU_DEP_1)
	v_cmp_gt_u32_e32 vcc_lo, s25, v2
	s_and_saveexec_b32 s25, vcc_lo
	s_cbranch_execnz .LBB136_91
; %bb.40:
	s_or_b32 exec_lo, exec_lo, s25
	s_and_saveexec_b32 s25, s14
	s_cbranch_execnz .LBB136_92
.LBB136_41:
	s_or_b32 exec_lo, exec_lo, s25
	s_and_saveexec_b32 s14, s13
	s_cbranch_execnz .LBB136_93
.LBB136_42:
	s_or_b32 exec_lo, exec_lo, s14
	s_and_saveexec_b32 s13, s12
	s_cbranch_execnz .LBB136_94
.LBB136_43:
	s_or_b32 exec_lo, exec_lo, s13
	s_and_saveexec_b32 s12, s11
	s_cbranch_execnz .LBB136_95
.LBB136_44:
	s_or_b32 exec_lo, exec_lo, s12
	s_and_saveexec_b32 s11, s10
	s_cbranch_execnz .LBB136_96
.LBB136_45:
	s_or_b32 exec_lo, exec_lo, s11
	s_and_saveexec_b32 s10, s9
	s_cbranch_execnz .LBB136_97
.LBB136_46:
	s_or_b32 exec_lo, exec_lo, s10
	s_and_saveexec_b32 s9, s8
	s_cbranch_execnz .LBB136_98
.LBB136_47:
	s_or_b32 exec_lo, exec_lo, s9
	s_and_saveexec_b32 s8, s7
	s_cbranch_execnz .LBB136_99
.LBB136_48:
	s_or_b32 exec_lo, exec_lo, s8
	s_and_saveexec_b32 s7, s6
	s_cbranch_execnz .LBB136_100
.LBB136_49:
	s_or_b32 exec_lo, exec_lo, s7
	s_and_saveexec_b32 s6, s5
	s_cbranch_execnz .LBB136_101
.LBB136_50:
	s_or_b32 exec_lo, exec_lo, s6
	s_and_saveexec_b32 s5, s4
	s_cbranch_execnz .LBB136_102
.LBB136_51:
	s_or_b32 exec_lo, exec_lo, s5
	s_and_saveexec_b32 s4, s3
	s_cbranch_execnz .LBB136_103
.LBB136_52:
	s_or_b32 exec_lo, exec_lo, s4
	s_and_saveexec_b32 s3, s2
	s_cbranch_execnz .LBB136_104
.LBB136_53:
	s_or_b32 exec_lo, exec_lo, s3
	s_and_saveexec_b32 s2, s1
	s_cbranch_execnz .LBB136_105
.LBB136_54:
	s_or_b32 exec_lo, exec_lo, s2
	s_and_saveexec_b32 s1, s0
	s_cbranch_execnz .LBB136_106
.LBB136_55:
	s_or_b32 exec_lo, exec_lo, s1
	s_and_saveexec_b32 s0, vcc_lo
	s_cbranch_execz .LBB136_57
.LBB136_56:
	s_wait_loadcnt 0x0
	v_dual_lshlrev_b32 v2, 16, v5 :: v_dual_lshlrev_b32 v3, 16, v20
	s_delay_alu instid0(VALU_DEP_1) | instskip(NEXT) | instid1(VALU_DEP_1)
	v_mul_f32_e32 v2, v3, v2
	v_bfe_u32 v3, v2, 16, 1
	s_delay_alu instid0(VALU_DEP_1) | instskip(NEXT) | instid1(VALU_DEP_1)
	v_add3_u32 v3, v2, v3, 0x7fff
	v_lshrrev_b32_e32 v3, 16, v3
	v_cmp_o_f32_e32 vcc_lo, v2, v2
	s_delay_alu instid0(VALU_DEP_2)
	v_cndmask_b32_e32 v20, 0x7fc0, v3, vcc_lo
.LBB136_57:
	s_or_b32 exec_lo, exec_lo, s0
	s_delay_alu instid0(VALU_DEP_1) | instskip(SKIP_1) | instid1(VALU_DEP_1)
	v_and_b32_e32 v2, 0xffff, v20
	s_mov_b32 s0, exec_lo
	v_mov_b32_dpp v2, v2 quad_perm:[1,0,3,2] row_mask:0xf bank_mask:0xf
	s_delay_alu instid0(VALU_DEP_1) | instskip(NEXT) | instid1(VALU_DEP_1)
	v_dual_lshlrev_b32 v3, 16, v20 :: v_dual_lshlrev_b32 v2, 16, v2
	v_mul_f32_e32 v2, v2, v3
	s_delay_alu instid0(VALU_DEP_1) | instskip(NEXT) | instid1(VALU_DEP_1)
	v_bfe_u32 v3, v2, 16, 1
	v_add3_u32 v3, v2, v3, 0x7fff
	s_delay_alu instid0(VALU_DEP_1) | instskip(SKIP_1) | instid1(VALU_DEP_2)
	v_lshrrev_b32_e32 v3, 16, v3
	v_cmp_o_f32_e32 vcc_lo, v2, v2
	v_cndmask_b32_e32 v2, 0x7fc0, v3, vcc_lo
	s_delay_alu instid0(VALU_DEP_1) | instskip(NEXT) | instid1(VALU_DEP_1)
	v_mov_b32_dpp v3, v2 quad_perm:[2,3,0,1] row_mask:0xf bank_mask:0xf
	v_dual_lshlrev_b32 v3, 16, v3 :: v_dual_lshlrev_b32 v2, 16, v2
	s_delay_alu instid0(VALU_DEP_1) | instskip(NEXT) | instid1(VALU_DEP_1)
	v_mul_f32_e32 v2, v2, v3
	v_bfe_u32 v3, v2, 16, 1
	v_cmp_o_f32_e32 vcc_lo, v2, v2
	s_delay_alu instid0(VALU_DEP_2) | instskip(NEXT) | instid1(VALU_DEP_1)
	v_add3_u32 v3, v2, v3, 0x7fff
	v_lshrrev_b32_e32 v3, 16, v3
	s_delay_alu instid0(VALU_DEP_1) | instskip(NEXT) | instid1(VALU_DEP_1)
	v_cndmask_b32_e32 v2, 0x7fc0, v3, vcc_lo
	v_mov_b32_dpp v3, v2 row_ror:4 row_mask:0xf bank_mask:0xf
	s_delay_alu instid0(VALU_DEP_1) | instskip(NEXT) | instid1(VALU_DEP_1)
	v_dual_lshlrev_b32 v2, 16, v2 :: v_dual_lshlrev_b32 v3, 16, v3
	v_mul_f32_e32 v2, v2, v3
	s_delay_alu instid0(VALU_DEP_1) | instskip(SKIP_1) | instid1(VALU_DEP_2)
	v_bfe_u32 v3, v2, 16, 1
	v_cmp_o_f32_e32 vcc_lo, v2, v2
	v_add3_u32 v3, v2, v3, 0x7fff
	s_delay_alu instid0(VALU_DEP_1) | instskip(NEXT) | instid1(VALU_DEP_1)
	v_lshrrev_b32_e32 v3, 16, v3
	v_cndmask_b32_e32 v2, 0x7fc0, v3, vcc_lo
	s_delay_alu instid0(VALU_DEP_1) | instskip(NEXT) | instid1(VALU_DEP_1)
	v_mov_b32_dpp v3, v2 row_ror:8 row_mask:0xf bank_mask:0xf
	v_dual_lshlrev_b32 v2, 16, v2 :: v_dual_lshlrev_b32 v3, 16, v3
	s_delay_alu instid0(VALU_DEP_1) | instskip(NEXT) | instid1(VALU_DEP_1)
	v_mul_f32_e32 v2, v2, v3
	v_bfe_u32 v3, v2, 16, 1
	v_cmp_o_f32_e32 vcc_lo, v2, v2
	s_delay_alu instid0(VALU_DEP_2) | instskip(NEXT) | instid1(VALU_DEP_1)
	v_add3_u32 v3, v2, v3, 0x7fff
	v_lshrrev_b32_e32 v3, 16, v3
	s_delay_alu instid0(VALU_DEP_1) | instskip(SKIP_3) | instid1(VALU_DEP_1)
	v_cndmask_b32_e32 v2, 0x7fc0, v3, vcc_lo
	ds_swizzle_b32 v3, v2 offset:swizzle(BROADCAST,32,15)
	s_wait_dscnt 0x0
	v_dual_lshlrev_b32 v2, 16, v2 :: v_dual_lshlrev_b32 v3, 16, v3
	v_mul_f32_e32 v2, v2, v3
	s_delay_alu instid0(VALU_DEP_1) | instskip(SKIP_1) | instid1(VALU_DEP_2)
	v_bfe_u32 v3, v2, 16, 1
	v_cmp_o_f32_e32 vcc_lo, v2, v2
	v_add3_u32 v3, v2, v3, 0x7fff
	s_delay_alu instid0(VALU_DEP_1) | instskip(NEXT) | instid1(VALU_DEP_1)
	v_lshrrev_b32_e32 v3, 16, v3
	v_dual_cndmask_b32 v2, 0x7fc0, v3 :: v_dual_mov_b32 v3, 0
	s_wait_loadcnt 0x0
	ds_bpermute_b32 v4, v3, v2 offset:124
	v_mbcnt_lo_u32_b32 v2, -1, 0
	s_delay_alu instid0(VALU_DEP_1)
	v_cmpx_eq_u32_e32 0, v2
	s_xor_b32 s0, exec_lo, s0
	s_cbranch_execz .LBB136_59
; %bb.58:
	v_lshrrev_b32_e32 v3, 4, v0
	s_delay_alu instid0(VALU_DEP_1)
	v_and_b32_e32 v3, 14, v3
	s_wait_dscnt 0x0
	ds_store_b16 v3, v4
.LBB136_59:
	s_or_b32 exec_lo, exec_lo, s0
	s_delay_alu instid0(SALU_CYCLE_1)
	s_mov_b32 s0, exec_lo
	s_wait_dscnt 0x0
	s_barrier_signal -1
	s_barrier_wait -1
	v_cmpx_gt_u32_e32 32, v0
	s_cbranch_execz .LBB136_61
; %bb.60:
	v_and_b32_e32 v3, 7, v2
	s_delay_alu instid0(VALU_DEP_1) | instskip(SKIP_1) | instid1(VALU_DEP_1)
	v_cmp_ne_u32_e32 vcc_lo, 7, v3
	v_add_co_ci_u32_e64 v5, null, 0, v2, vcc_lo
	v_dual_lshlrev_b32 v5, 2, v5 :: v_dual_lshlrev_b32 v4, 1, v3
	v_cmp_gt_u32_e32 vcc_lo, 6, v3
	ds_load_u16 v4, v4
	v_cndmask_b32_e64 v3, 0, 2, vcc_lo
	s_delay_alu instid0(VALU_DEP_1) | instskip(SKIP_1) | instid1(VALU_DEP_1)
	v_add_lshl_u32 v3, v3, v2, 2
	v_lshlrev_b32_e32 v2, 2, v2
	v_or_b32_e32 v2, 16, v2
	s_wait_dscnt 0x0
	ds_bpermute_b32 v5, v5, v4
	s_wait_dscnt 0x0
	v_dual_lshlrev_b32 v4, 16, v4 :: v_dual_lshlrev_b32 v5, 16, v5
	s_delay_alu instid0(VALU_DEP_1) | instskip(NEXT) | instid1(VALU_DEP_1)
	v_mul_f32_e32 v4, v5, v4
	v_bfe_u32 v5, v4, 16, 1
	v_cmp_o_f32_e32 vcc_lo, v4, v4
	s_delay_alu instid0(VALU_DEP_2) | instskip(NEXT) | instid1(VALU_DEP_1)
	v_add3_u32 v5, v4, v5, 0x7fff
	v_lshrrev_b32_e32 v5, 16, v5
	s_delay_alu instid0(VALU_DEP_1) | instskip(SKIP_3) | instid1(VALU_DEP_1)
	v_cndmask_b32_e32 v4, 0x7fc0, v5, vcc_lo
	ds_bpermute_b32 v3, v3, v4
	s_wait_dscnt 0x0
	v_dual_lshlrev_b32 v4, 16, v4 :: v_dual_lshlrev_b32 v3, 16, v3
	v_mul_f32_e32 v3, v4, v3
	s_delay_alu instid0(VALU_DEP_1) | instskip(NEXT) | instid1(VALU_DEP_1)
	v_bfe_u32 v4, v3, 16, 1
	v_add3_u32 v4, v3, v4, 0x7fff
	s_delay_alu instid0(VALU_DEP_1) | instskip(SKIP_1) | instid1(VALU_DEP_2)
	v_lshrrev_b32_e32 v4, 16, v4
	v_cmp_o_f32_e32 vcc_lo, v3, v3
	v_cndmask_b32_e32 v3, 0x7fc0, v4, vcc_lo
	ds_bpermute_b32 v2, v2, v3
	s_wait_dscnt 0x0
	v_dual_lshlrev_b32 v2, 16, v2 :: v_dual_lshlrev_b32 v3, 16, v3
	s_delay_alu instid0(VALU_DEP_1) | instskip(NEXT) | instid1(VALU_DEP_1)
	v_mul_f32_e32 v2, v3, v2
	v_bfe_u32 v3, v2, 16, 1
	v_cmp_o_f32_e32 vcc_lo, v2, v2
	s_delay_alu instid0(VALU_DEP_2) | instskip(NEXT) | instid1(VALU_DEP_1)
	v_add3_u32 v3, v2, v3, 0x7fff
	v_lshrrev_b32_e32 v3, 16, v3
	s_delay_alu instid0(VALU_DEP_1)
	v_cndmask_b32_e32 v4, 0x7fc0, v3, vcc_lo
.LBB136_61:
	s_or_b32 exec_lo, exec_lo, s0
	s_branch .LBB136_113
.LBB136_62:
                                        ; implicit-def: $vgpr4
	s_cbranch_execz .LBB136_113
; %bb.63:
	s_sub_co_i32 s1, s28, s24
	s_mov_b32 s2, exec_lo
                                        ; implicit-def: $vgpr3
	v_cmpx_gt_u32_e64 s1, v0
	s_cbranch_execz .LBB136_69
; %bb.64:
	v_add_nc_u32_e32 v2, s24, v0
	s_mov_b32 s3, exec_lo
	global_load_u16 v3, v2, s[16:17] scale_offset
	s_wait_xcnt 0x0
	v_add_nc_u32_e32 v2, 0x100, v2
	s_delay_alu instid0(VALU_DEP_1)
	v_cmpx_gt_i32_e64 s28, v2
	s_cbranch_execz .LBB136_68
; %bb.65:
	s_mov_b32 s4, 0
.LBB136_66:                             ; =>This Inner Loop Header: Depth=1
	global_load_u16 v4, v2, s[16:17] scale_offset
	s_wait_loadcnt 0x1
	v_lshlrev_b32_e32 v3, 16, v3
	s_wait_xcnt 0x0
	v_add_nc_u32_e32 v2, 0x100, v2
	s_delay_alu instid0(VALU_DEP_1) | instskip(SKIP_3) | instid1(VALU_DEP_1)
	v_cmp_le_i32_e32 vcc_lo, s28, v2
	s_or_b32 s4, vcc_lo, s4
	s_wait_loadcnt 0x0
	v_lshlrev_b32_e32 v4, 16, v4
	v_mul_f32_e32 v3, v4, v3
	s_delay_alu instid0(VALU_DEP_1) | instskip(SKIP_1) | instid1(VALU_DEP_2)
	v_bfe_u32 v4, v3, 16, 1
	v_cmp_o_f32_e64 s0, v3, v3
	v_add3_u32 v4, v3, v4, 0x7fff
	s_delay_alu instid0(VALU_DEP_1) | instskip(NEXT) | instid1(VALU_DEP_1)
	v_lshrrev_b32_e32 v4, 16, v4
	v_cndmask_b32_e64 v3, 0x7fc0, v4, s0
	s_and_not1_b32 exec_lo, exec_lo, s4
	s_cbranch_execnz .LBB136_66
; %bb.67:
	s_or_b32 exec_lo, exec_lo, s4
.LBB136_68:
	s_delay_alu instid0(SALU_CYCLE_1)
	s_or_b32 exec_lo, exec_lo, s3
.LBB136_69:
	s_delay_alu instid0(SALU_CYCLE_1)
	s_or_b32 exec_lo, exec_lo, s2
	v_mbcnt_lo_u32_b32 v2, -1, 0
	s_wait_loadcnt 0x0
	v_and_b32_e32 v5, 0xffff, v3
	s_cmp_lt_u32 s1, 0x100
	s_cbranch_scc0 .LBB136_107
; %bb.70:
	v_cmp_ne_u32_e32 vcc_lo, 31, v2
	s_delay_alu instid0(VALU_DEP_2) | instskip(SKIP_1) | instid1(VALU_DEP_1)
	v_mov_b32_e32 v8, v5
	v_add_co_ci_u32_e64 v4, null, 0, v2, vcc_lo
	v_lshlrev_b32_e32 v4, 2, v4
	ds_bpermute_b32 v7, v4, v5
	v_and_b32_e32 v4, 0xe0, v0
	s_delay_alu instid0(VALU_DEP_1) | instskip(SKIP_1) | instid1(VALU_DEP_1)
	v_sub_nc_u32_e64 v6, s1, v4 clamp
	v_add_nc_u32_e32 v4, 1, v2
	v_cmp_lt_u32_e32 vcc_lo, v4, v6
	v_mov_b32_e32 v4, v3
	s_and_saveexec_b32 s0, vcc_lo
	s_cbranch_execz .LBB136_72
; %bb.71:
	s_wait_dscnt 0x0
	v_dual_lshlrev_b32 v4, 16, v5 :: v_dual_lshlrev_b32 v7, 16, v7
	s_delay_alu instid0(VALU_DEP_1) | instskip(NEXT) | instid1(VALU_DEP_1)
	v_mul_f32_e32 v4, v7, v4
	v_bfe_u32 v7, v4, 16, 1
	s_delay_alu instid0(VALU_DEP_1) | instskip(NEXT) | instid1(VALU_DEP_1)
	v_add3_u32 v7, v4, v7, 0x7fff
	v_lshrrev_b32_e32 v7, 16, v7
	v_cmp_o_f32_e32 vcc_lo, v4, v4
	s_delay_alu instid0(VALU_DEP_2) | instskip(NEXT) | instid1(VALU_DEP_1)
	v_cndmask_b32_e32 v4, 0x7fc0, v7, vcc_lo
	v_and_b32_e32 v8, 0xffff, v4
.LBB136_72:
	s_or_b32 exec_lo, exec_lo, s0
	v_cmp_gt_u32_e32 vcc_lo, 30, v2
	v_add_nc_u32_e32 v9, 2, v2
	s_mov_b32 s0, exec_lo
	s_wait_dscnt 0x0
	v_cndmask_b32_e64 v7, 0, 2, vcc_lo
	s_delay_alu instid0(VALU_DEP_1)
	v_add_lshl_u32 v7, v7, v2, 2
	ds_bpermute_b32 v7, v7, v8
	v_cmpx_lt_u32_e64 v9, v6
	s_cbranch_execz .LBB136_74
; %bb.73:
	s_wait_dscnt 0x0
	v_dual_lshlrev_b32 v4, 16, v8 :: v_dual_lshlrev_b32 v7, 16, v7
	s_delay_alu instid0(VALU_DEP_1) | instskip(NEXT) | instid1(VALU_DEP_1)
	v_mul_f32_e32 v4, v7, v4
	v_bfe_u32 v7, v4, 16, 1
	s_delay_alu instid0(VALU_DEP_1) | instskip(NEXT) | instid1(VALU_DEP_1)
	v_add3_u32 v7, v4, v7, 0x7fff
	v_lshrrev_b32_e32 v7, 16, v7
	v_cmp_o_f32_e32 vcc_lo, v4, v4
	s_delay_alu instid0(VALU_DEP_2) | instskip(NEXT) | instid1(VALU_DEP_1)
	v_cndmask_b32_e32 v4, 0x7fc0, v7, vcc_lo
	v_and_b32_e32 v8, 0xffff, v4
.LBB136_74:
	s_or_b32 exec_lo, exec_lo, s0
	v_cmp_gt_u32_e32 vcc_lo, 28, v2
	v_add_nc_u32_e32 v9, 4, v2
	s_mov_b32 s0, exec_lo
	s_wait_dscnt 0x0
	v_cndmask_b32_e64 v7, 0, 4, vcc_lo
	s_delay_alu instid0(VALU_DEP_1)
	v_add_lshl_u32 v7, v7, v2, 2
	ds_bpermute_b32 v7, v7, v8
	v_cmpx_lt_u32_e64 v9, v6
	s_cbranch_execz .LBB136_76
; %bb.75:
	s_wait_dscnt 0x0
	v_dual_lshlrev_b32 v4, 16, v8 :: v_dual_lshlrev_b32 v7, 16, v7
	s_delay_alu instid0(VALU_DEP_1) | instskip(NEXT) | instid1(VALU_DEP_1)
	v_mul_f32_e32 v4, v7, v4
	v_bfe_u32 v7, v4, 16, 1
	s_delay_alu instid0(VALU_DEP_1) | instskip(NEXT) | instid1(VALU_DEP_1)
	v_add3_u32 v7, v4, v7, 0x7fff
	v_lshrrev_b32_e32 v7, 16, v7
	v_cmp_o_f32_e32 vcc_lo, v4, v4
	s_delay_alu instid0(VALU_DEP_2) | instskip(NEXT) | instid1(VALU_DEP_1)
	v_cndmask_b32_e32 v4, 0x7fc0, v7, vcc_lo
	v_and_b32_e32 v8, 0xffff, v4
.LBB136_76:
	s_or_b32 exec_lo, exec_lo, s0
	v_cmp_gt_u32_e32 vcc_lo, 24, v2
	v_add_nc_u32_e32 v9, 8, v2
	s_mov_b32 s0, exec_lo
	s_wait_dscnt 0x0
	v_cndmask_b32_e64 v7, 0, 8, vcc_lo
	s_delay_alu instid0(VALU_DEP_1)
	v_add_lshl_u32 v7, v7, v2, 2
	ds_bpermute_b32 v7, v7, v8
	v_cmpx_lt_u32_e64 v9, v6
	s_cbranch_execz .LBB136_78
; %bb.77:
	s_wait_dscnt 0x0
	v_dual_lshlrev_b32 v4, 16, v8 :: v_dual_lshlrev_b32 v7, 16, v7
	s_delay_alu instid0(VALU_DEP_1) | instskip(NEXT) | instid1(VALU_DEP_1)
	v_mul_f32_e32 v4, v7, v4
	v_bfe_u32 v7, v4, 16, 1
	s_delay_alu instid0(VALU_DEP_1) | instskip(NEXT) | instid1(VALU_DEP_1)
	v_add3_u32 v7, v4, v7, 0x7fff
	v_lshrrev_b32_e32 v7, 16, v7
	v_cmp_o_f32_e32 vcc_lo, v4, v4
	s_delay_alu instid0(VALU_DEP_2) | instskip(NEXT) | instid1(VALU_DEP_1)
	v_cndmask_b32_e32 v4, 0x7fc0, v7, vcc_lo
	v_and_b32_e32 v8, 0xffff, v4
.LBB136_78:
	s_or_b32 exec_lo, exec_lo, s0
	s_wait_dscnt 0x0
	v_dual_lshlrev_b32 v7, 2, v2 :: v_dual_add_nc_u32 v10, 16, v2
	s_mov_b32 s0, exec_lo
	s_delay_alu instid0(VALU_DEP_1)
	v_or_b32_e32 v9, 64, v7
	ds_bpermute_b32 v9, v9, v8
	v_cmpx_lt_u32_e64 v10, v6
	s_cbranch_execz .LBB136_80
; %bb.79:
	s_wait_dscnt 0x0
	v_dual_lshlrev_b32 v4, 16, v8 :: v_dual_lshlrev_b32 v6, 16, v9
	s_delay_alu instid0(VALU_DEP_1) | instskip(NEXT) | instid1(VALU_DEP_1)
	v_mul_f32_e32 v4, v6, v4
	v_bfe_u32 v6, v4, 16, 1
	s_delay_alu instid0(VALU_DEP_1) | instskip(NEXT) | instid1(VALU_DEP_1)
	v_add3_u32 v6, v4, v6, 0x7fff
	v_lshrrev_b32_e32 v6, 16, v6
	v_cmp_o_f32_e32 vcc_lo, v4, v4
	s_delay_alu instid0(VALU_DEP_2)
	v_cndmask_b32_e32 v4, 0x7fc0, v6, vcc_lo
.LBB136_80:
	s_or_b32 exec_lo, exec_lo, s0
	s_delay_alu instid0(SALU_CYCLE_1)
	s_mov_b32 s0, exec_lo
	v_cmpx_eq_u32_e32 0, v2
; %bb.81:
	v_lshrrev_b32_e32 v6, 4, v0
	s_delay_alu instid0(VALU_DEP_1)
	v_and_b32_e32 v6, 14, v6
	ds_store_b16 v6, v4
; %bb.82:
	s_or_b32 exec_lo, exec_lo, s0
	s_delay_alu instid0(SALU_CYCLE_1)
	s_mov_b32 s0, exec_lo
	s_wait_dscnt 0x0
	s_barrier_signal -1
	s_barrier_wait -1
	v_cmpx_gt_u32_e32 8, v0
	s_cbranch_execz .LBB136_90
; %bb.83:
	v_dual_lshlrev_b32 v4, 1, v2 :: v_dual_bitop2_b32 v6, 7, v2 bitop3:0x40
	s_add_co_i32 s1, s1, 31
	s_mov_b32 s2, exec_lo
	s_lshr_b32 s1, s1, 5
	ds_load_u16 v4, v4
	v_cmp_ne_u32_e32 vcc_lo, 7, v6
	v_add_nc_u32_e32 v10, 1, v6
	v_add_co_ci_u32_e64 v8, null, 0, v2, vcc_lo
	s_delay_alu instid0(VALU_DEP_1)
	v_lshlrev_b32_e32 v9, 2, v8
	s_wait_dscnt 0x0
	v_and_b32_e32 v8, 0xffff, v4
	ds_bpermute_b32 v9, v9, v8
	v_cmpx_gt_u32_e64 s1, v10
	s_cbranch_execz .LBB136_85
; %bb.84:
	s_wait_dscnt 0x0
	v_dual_lshlrev_b32 v4, 16, v8 :: v_dual_lshlrev_b32 v8, 16, v9
	s_delay_alu instid0(VALU_DEP_1) | instskip(NEXT) | instid1(VALU_DEP_1)
	v_mul_f32_e32 v4, v8, v4
	v_bfe_u32 v8, v4, 16, 1
	v_cmp_o_f32_e32 vcc_lo, v4, v4
	s_delay_alu instid0(VALU_DEP_2) | instskip(NEXT) | instid1(VALU_DEP_1)
	v_add3_u32 v8, v4, v8, 0x7fff
	v_lshrrev_b32_e32 v8, 16, v8
	s_delay_alu instid0(VALU_DEP_1) | instskip(NEXT) | instid1(VALU_DEP_1)
	v_cndmask_b32_e32 v4, 0x7fc0, v8, vcc_lo
	v_and_b32_e32 v8, 0xffff, v4
.LBB136_85:
	s_or_b32 exec_lo, exec_lo, s2
	v_cmp_gt_u32_e32 vcc_lo, 6, v6
	v_add_nc_u32_e32 v10, 2, v6
	s_mov_b32 s2, exec_lo
	s_wait_dscnt 0x0
	v_cndmask_b32_e64 v9, 0, 2, vcc_lo
	s_delay_alu instid0(VALU_DEP_1)
	v_add_lshl_u32 v9, v9, v2, 2
	ds_bpermute_b32 v9, v9, v8
	v_cmpx_gt_u32_e64 s1, v10
	s_cbranch_execz .LBB136_87
; %bb.86:
	s_wait_dscnt 0x0
	v_dual_lshlrev_b32 v4, 16, v8 :: v_dual_lshlrev_b32 v8, 16, v9
	s_delay_alu instid0(VALU_DEP_1) | instskip(NEXT) | instid1(VALU_DEP_1)
	v_mul_f32_e32 v4, v8, v4
	v_bfe_u32 v8, v4, 16, 1
	v_cmp_o_f32_e32 vcc_lo, v4, v4
	s_delay_alu instid0(VALU_DEP_2) | instskip(NEXT) | instid1(VALU_DEP_1)
	v_add3_u32 v8, v4, v8, 0x7fff
	v_lshrrev_b32_e32 v8, 16, v8
	s_delay_alu instid0(VALU_DEP_1) | instskip(NEXT) | instid1(VALU_DEP_1)
	v_cndmask_b32_e32 v4, 0x7fc0, v8, vcc_lo
	v_and_b32_e32 v8, 0xffff, v4
.LBB136_87:
	s_or_b32 exec_lo, exec_lo, s2
	v_dual_add_nc_u32 v6, 4, v6 :: v_dual_bitop2_b32 v7, 16, v7 bitop3:0x54
	ds_bpermute_b32 v7, v7, v8
	v_cmp_gt_u32_e32 vcc_lo, s1, v6
	s_and_saveexec_b32 s1, vcc_lo
	s_cbranch_execz .LBB136_89
; %bb.88:
	s_wait_dscnt 0x0
	v_dual_lshlrev_b32 v4, 16, v8 :: v_dual_lshlrev_b32 v6, 16, v7
	s_delay_alu instid0(VALU_DEP_1) | instskip(NEXT) | instid1(VALU_DEP_1)
	v_mul_f32_e32 v4, v6, v4
	v_bfe_u32 v6, v4, 16, 1
	s_delay_alu instid0(VALU_DEP_1) | instskip(NEXT) | instid1(VALU_DEP_1)
	v_add3_u32 v6, v4, v6, 0x7fff
	v_lshrrev_b32_e32 v6, 16, v6
	v_cmp_o_f32_e32 vcc_lo, v4, v4
	s_delay_alu instid0(VALU_DEP_2)
	v_cndmask_b32_e32 v4, 0x7fc0, v6, vcc_lo
.LBB136_89:
	s_or_b32 exec_lo, exec_lo, s1
.LBB136_90:
	s_delay_alu instid0(SALU_CYCLE_1)
	s_or_b32 exec_lo, exec_lo, s0
	s_branch .LBB136_113
.LBB136_91:
	global_load_u16 v5, v0, s[26:27] offset:7680 scale_offset
	s_wait_xcnt 0x0
	s_or_b32 exec_lo, exec_lo, s25
	s_and_saveexec_b32 s25, s14
	s_cbranch_execz .LBB136_41
.LBB136_92:
	s_wait_loadcnt 0x0
	v_dual_lshlrev_b32 v2, 16, v20 :: v_dual_lshlrev_b32 v3, 16, v19
	s_delay_alu instid0(VALU_DEP_1) | instskip(NEXT) | instid1(VALU_DEP_1)
	v_mul_f32_e32 v2, v3, v2
	v_bfe_u32 v3, v2, 16, 1
	s_delay_alu instid0(VALU_DEP_1) | instskip(NEXT) | instid1(VALU_DEP_1)
	v_add3_u32 v3, v2, v3, 0x7fff
	v_lshrrev_b32_e32 v3, 16, v3
	v_cmp_o_f32_e64 s14, v2, v2
	s_delay_alu instid0(VALU_DEP_1)
	v_cndmask_b32_e64 v20, 0x7fc0, v3, s14
	s_or_b32 exec_lo, exec_lo, s25
	s_and_saveexec_b32 s14, s13
	s_cbranch_execz .LBB136_42
.LBB136_93:
	s_wait_loadcnt 0x0
	v_dual_lshlrev_b32 v2, 16, v18 :: v_dual_lshlrev_b32 v3, 16, v20
	s_delay_alu instid0(VALU_DEP_1) | instskip(NEXT) | instid1(VALU_DEP_1)
	v_mul_f32_e32 v2, v3, v2
	v_bfe_u32 v3, v2, 16, 1
	s_delay_alu instid0(VALU_DEP_1) | instskip(NEXT) | instid1(VALU_DEP_1)
	v_add3_u32 v3, v2, v3, 0x7fff
	v_lshrrev_b32_e32 v3, 16, v3
	v_cmp_o_f32_e64 s13, v2, v2
	s_delay_alu instid0(VALU_DEP_1)
	v_cndmask_b32_e64 v20, 0x7fc0, v3, s13
	s_or_b32 exec_lo, exec_lo, s14
	s_and_saveexec_b32 s13, s12
	s_cbranch_execz .LBB136_43
.LBB136_94:
	s_wait_loadcnt 0x0
	v_dual_lshlrev_b32 v2, 16, v17 :: v_dual_lshlrev_b32 v3, 16, v20
	s_delay_alu instid0(VALU_DEP_1) | instskip(NEXT) | instid1(VALU_DEP_1)
	v_mul_f32_e32 v2, v3, v2
	v_bfe_u32 v3, v2, 16, 1
	s_delay_alu instid0(VALU_DEP_1) | instskip(NEXT) | instid1(VALU_DEP_1)
	v_add3_u32 v3, v2, v3, 0x7fff
	v_lshrrev_b32_e32 v3, 16, v3
	v_cmp_o_f32_e64 s12, v2, v2
	s_delay_alu instid0(VALU_DEP_1)
	v_cndmask_b32_e64 v20, 0x7fc0, v3, s12
	s_or_b32 exec_lo, exec_lo, s13
	s_and_saveexec_b32 s12, s11
	s_cbranch_execz .LBB136_44
.LBB136_95:
	s_wait_loadcnt 0x0
	v_lshlrev_b32_e32 v2, 16, v16
	v_lshlrev_b32_e32 v3, 16, v20
	s_delay_alu instid0(VALU_DEP_1) | instskip(NEXT) | instid1(VALU_DEP_1)
	v_mul_f32_e32 v2, v3, v2
	v_bfe_u32 v3, v2, 16, 1
	v_cmp_o_f32_e64 s11, v2, v2
	s_delay_alu instid0(VALU_DEP_2) | instskip(NEXT) | instid1(VALU_DEP_1)
	v_add3_u32 v3, v2, v3, 0x7fff
	v_lshrrev_b32_e32 v3, 16, v3
	s_delay_alu instid0(VALU_DEP_1)
	v_cndmask_b32_e64 v20, 0x7fc0, v3, s11
	s_or_b32 exec_lo, exec_lo, s12
	s_and_saveexec_b32 s11, s10
	s_cbranch_execz .LBB136_45
.LBB136_96:
	s_wait_loadcnt 0x0
	v_dual_lshlrev_b32 v2, 16, v15 :: v_dual_lshlrev_b32 v3, 16, v20
	s_delay_alu instid0(VALU_DEP_1) | instskip(NEXT) | instid1(VALU_DEP_1)
	v_mul_f32_e32 v2, v3, v2
	v_bfe_u32 v3, v2, 16, 1
	s_delay_alu instid0(VALU_DEP_1) | instskip(NEXT) | instid1(VALU_DEP_1)
	v_add3_u32 v3, v2, v3, 0x7fff
	v_lshrrev_b32_e32 v3, 16, v3
	v_cmp_o_f32_e64 s10, v2, v2
	s_delay_alu instid0(VALU_DEP_1)
	v_cndmask_b32_e64 v20, 0x7fc0, v3, s10
	s_or_b32 exec_lo, exec_lo, s11
	s_and_saveexec_b32 s10, s9
	s_cbranch_execz .LBB136_46
.LBB136_97:
	s_wait_loadcnt 0x0
	v_dual_lshlrev_b32 v2, 16, v14 :: v_dual_lshlrev_b32 v3, 16, v20
	s_delay_alu instid0(VALU_DEP_1) | instskip(NEXT) | instid1(VALU_DEP_1)
	v_mul_f32_e32 v2, v3, v2
	v_bfe_u32 v3, v2, 16, 1
	s_delay_alu instid0(VALU_DEP_1) | instskip(NEXT) | instid1(VALU_DEP_1)
	v_add3_u32 v3, v2, v3, 0x7fff
	v_lshrrev_b32_e32 v3, 16, v3
	v_cmp_o_f32_e64 s9, v2, v2
	s_delay_alu instid0(VALU_DEP_1)
	v_cndmask_b32_e64 v20, 0x7fc0, v3, s9
	s_or_b32 exec_lo, exec_lo, s10
	s_and_saveexec_b32 s9, s8
	s_cbranch_execz .LBB136_47
.LBB136_98:
	s_wait_loadcnt 0x0
	v_dual_lshlrev_b32 v2, 16, v13 :: v_dual_lshlrev_b32 v3, 16, v20
	s_delay_alu instid0(VALU_DEP_1) | instskip(NEXT) | instid1(VALU_DEP_1)
	v_mul_f32_e32 v2, v3, v2
	v_bfe_u32 v3, v2, 16, 1
	s_delay_alu instid0(VALU_DEP_1) | instskip(NEXT) | instid1(VALU_DEP_1)
	v_add3_u32 v3, v2, v3, 0x7fff
	v_lshrrev_b32_e32 v3, 16, v3
	v_cmp_o_f32_e64 s8, v2, v2
	s_delay_alu instid0(VALU_DEP_1)
	v_cndmask_b32_e64 v20, 0x7fc0, v3, s8
	s_or_b32 exec_lo, exec_lo, s9
	s_and_saveexec_b32 s8, s7
	s_cbranch_execz .LBB136_48
.LBB136_99:
	s_wait_loadcnt 0x0
	v_lshlrev_b32_e32 v2, 16, v12
	v_lshlrev_b32_e32 v3, 16, v20
	s_delay_alu instid0(VALU_DEP_1) | instskip(NEXT) | instid1(VALU_DEP_1)
	v_mul_f32_e32 v2, v3, v2
	v_bfe_u32 v3, v2, 16, 1
	v_cmp_o_f32_e64 s7, v2, v2
	s_delay_alu instid0(VALU_DEP_2) | instskip(NEXT) | instid1(VALU_DEP_1)
	v_add3_u32 v3, v2, v3, 0x7fff
	v_lshrrev_b32_e32 v3, 16, v3
	s_delay_alu instid0(VALU_DEP_1)
	v_cndmask_b32_e64 v20, 0x7fc0, v3, s7
	s_or_b32 exec_lo, exec_lo, s8
	s_and_saveexec_b32 s7, s6
	s_cbranch_execz .LBB136_49
.LBB136_100:
	s_wait_loadcnt 0x0
	v_dual_lshlrev_b32 v2, 16, v11 :: v_dual_lshlrev_b32 v3, 16, v20
	s_delay_alu instid0(VALU_DEP_1) | instskip(NEXT) | instid1(VALU_DEP_1)
	v_mul_f32_e32 v2, v3, v2
	v_bfe_u32 v3, v2, 16, 1
	s_delay_alu instid0(VALU_DEP_1) | instskip(NEXT) | instid1(VALU_DEP_1)
	v_add3_u32 v3, v2, v3, 0x7fff
	v_lshrrev_b32_e32 v3, 16, v3
	v_cmp_o_f32_e64 s6, v2, v2
	s_delay_alu instid0(VALU_DEP_1)
	v_cndmask_b32_e64 v20, 0x7fc0, v3, s6
	s_or_b32 exec_lo, exec_lo, s7
	s_and_saveexec_b32 s6, s5
	s_cbranch_execz .LBB136_50
.LBB136_101:
	s_wait_loadcnt 0x0
	v_dual_lshlrev_b32 v2, 16, v10 :: v_dual_lshlrev_b32 v3, 16, v20
	s_delay_alu instid0(VALU_DEP_1) | instskip(NEXT) | instid1(VALU_DEP_1)
	v_mul_f32_e32 v2, v3, v2
	v_bfe_u32 v3, v2, 16, 1
	s_delay_alu instid0(VALU_DEP_1) | instskip(NEXT) | instid1(VALU_DEP_1)
	v_add3_u32 v3, v2, v3, 0x7fff
	v_lshrrev_b32_e32 v3, 16, v3
	v_cmp_o_f32_e64 s5, v2, v2
	s_delay_alu instid0(VALU_DEP_1)
	v_cndmask_b32_e64 v20, 0x7fc0, v3, s5
	s_or_b32 exec_lo, exec_lo, s6
	s_and_saveexec_b32 s5, s4
	s_cbranch_execz .LBB136_51
.LBB136_102:
	s_wait_loadcnt 0x0
	v_dual_lshlrev_b32 v2, 16, v9 :: v_dual_lshlrev_b32 v3, 16, v20
	s_delay_alu instid0(VALU_DEP_1) | instskip(NEXT) | instid1(VALU_DEP_1)
	v_mul_f32_e32 v2, v3, v2
	v_bfe_u32 v3, v2, 16, 1
	s_delay_alu instid0(VALU_DEP_1) | instskip(NEXT) | instid1(VALU_DEP_1)
	v_add3_u32 v3, v2, v3, 0x7fff
	v_lshrrev_b32_e32 v3, 16, v3
	v_cmp_o_f32_e64 s4, v2, v2
	s_delay_alu instid0(VALU_DEP_1)
	v_cndmask_b32_e64 v20, 0x7fc0, v3, s4
	s_or_b32 exec_lo, exec_lo, s5
	s_and_saveexec_b32 s4, s3
	s_cbranch_execz .LBB136_52
.LBB136_103:
	s_wait_loadcnt 0x0
	v_lshlrev_b32_e32 v2, 16, v8
	v_lshlrev_b32_e32 v3, 16, v20
	s_delay_alu instid0(VALU_DEP_1) | instskip(NEXT) | instid1(VALU_DEP_1)
	v_mul_f32_e32 v2, v3, v2
	v_bfe_u32 v3, v2, 16, 1
	v_cmp_o_f32_e64 s3, v2, v2
	s_delay_alu instid0(VALU_DEP_2) | instskip(NEXT) | instid1(VALU_DEP_1)
	v_add3_u32 v3, v2, v3, 0x7fff
	v_lshrrev_b32_e32 v3, 16, v3
	s_delay_alu instid0(VALU_DEP_1)
	v_cndmask_b32_e64 v20, 0x7fc0, v3, s3
	s_or_b32 exec_lo, exec_lo, s4
	s_and_saveexec_b32 s3, s2
	s_cbranch_execz .LBB136_53
.LBB136_104:
	s_wait_loadcnt 0x0
	v_dual_lshlrev_b32 v2, 16, v7 :: v_dual_lshlrev_b32 v3, 16, v20
	s_delay_alu instid0(VALU_DEP_1) | instskip(NEXT) | instid1(VALU_DEP_1)
	v_mul_f32_e32 v2, v3, v2
	v_bfe_u32 v3, v2, 16, 1
	s_delay_alu instid0(VALU_DEP_1) | instskip(NEXT) | instid1(VALU_DEP_1)
	v_add3_u32 v3, v2, v3, 0x7fff
	v_lshrrev_b32_e32 v3, 16, v3
	v_cmp_o_f32_e64 s2, v2, v2
	s_delay_alu instid0(VALU_DEP_1)
	v_cndmask_b32_e64 v20, 0x7fc0, v3, s2
	s_or_b32 exec_lo, exec_lo, s3
	s_and_saveexec_b32 s2, s1
	s_cbranch_execz .LBB136_54
.LBB136_105:
	s_wait_loadcnt 0x0
	v_dual_lshlrev_b32 v2, 16, v6 :: v_dual_lshlrev_b32 v3, 16, v20
	s_delay_alu instid0(VALU_DEP_1) | instskip(NEXT) | instid1(VALU_DEP_1)
	v_mul_f32_e32 v2, v3, v2
	v_bfe_u32 v3, v2, 16, 1
	s_delay_alu instid0(VALU_DEP_1) | instskip(NEXT) | instid1(VALU_DEP_1)
	v_add3_u32 v3, v2, v3, 0x7fff
	v_lshrrev_b32_e32 v3, 16, v3
	v_cmp_o_f32_e64 s1, v2, v2
	s_delay_alu instid0(VALU_DEP_1)
	v_cndmask_b32_e64 v20, 0x7fc0, v3, s1
	s_or_b32 exec_lo, exec_lo, s2
	s_and_saveexec_b32 s1, s0
	s_cbranch_execz .LBB136_55
.LBB136_106:
	s_wait_loadcnt 0x0
	v_lshlrev_b32_e32 v2, 16, v4
	v_lshlrev_b32_e32 v3, 16, v20
	s_delay_alu instid0(VALU_DEP_1) | instskip(NEXT) | instid1(VALU_DEP_1)
	v_mul_f32_e32 v2, v3, v2
	v_bfe_u32 v3, v2, 16, 1
	v_cmp_o_f32_e64 s0, v2, v2
	s_delay_alu instid0(VALU_DEP_2) | instskip(NEXT) | instid1(VALU_DEP_1)
	v_add3_u32 v3, v2, v3, 0x7fff
	v_lshrrev_b32_e32 v3, 16, v3
	s_delay_alu instid0(VALU_DEP_1)
	v_cndmask_b32_e64 v20, 0x7fc0, v3, s0
	s_or_b32 exec_lo, exec_lo, s1
	s_and_saveexec_b32 s0, vcc_lo
	s_cbranch_execnz .LBB136_56
	s_branch .LBB136_57
.LBB136_107:
                                        ; implicit-def: $vgpr4
	s_cbranch_execz .LBB136_113
; %bb.108:
	s_delay_alu instid0(VALU_DEP_1) | instskip(SKIP_2) | instid1(VALU_DEP_2)
	v_mov_b32_dpp v4, v5 quad_perm:[1,0,3,2] row_mask:0xf bank_mask:0xf
	v_lshlrev_b32_e32 v3, 16, v3
	s_mov_b32 s0, exec_lo
	v_lshlrev_b32_e32 v4, 16, v4
	s_delay_alu instid0(VALU_DEP_1) | instskip(NEXT) | instid1(VALU_DEP_1)
	v_mul_f32_e32 v3, v4, v3
	v_bfe_u32 v4, v3, 16, 1
	s_delay_alu instid0(VALU_DEP_1) | instskip(NEXT) | instid1(VALU_DEP_1)
	v_add3_u32 v4, v3, v4, 0x7fff
	v_lshrrev_b32_e32 v4, 16, v4
	v_cmp_o_f32_e32 vcc_lo, v3, v3
	s_delay_alu instid0(VALU_DEP_2) | instskip(NEXT) | instid1(VALU_DEP_1)
	v_cndmask_b32_e32 v3, 0x7fc0, v4, vcc_lo
	v_mov_b32_dpp v4, v3 quad_perm:[2,3,0,1] row_mask:0xf bank_mask:0xf
	s_delay_alu instid0(VALU_DEP_1) | instskip(NEXT) | instid1(VALU_DEP_1)
	v_dual_lshlrev_b32 v4, 16, v4 :: v_dual_lshlrev_b32 v3, 16, v3
	v_mul_f32_e32 v3, v3, v4
	s_delay_alu instid0(VALU_DEP_1) | instskip(SKIP_1) | instid1(VALU_DEP_2)
	v_bfe_u32 v4, v3, 16, 1
	v_cmp_o_f32_e32 vcc_lo, v3, v3
	v_add3_u32 v4, v3, v4, 0x7fff
	s_delay_alu instid0(VALU_DEP_1) | instskip(NEXT) | instid1(VALU_DEP_1)
	v_lshrrev_b32_e32 v4, 16, v4
	v_cndmask_b32_e32 v3, 0x7fc0, v4, vcc_lo
	s_delay_alu instid0(VALU_DEP_1) | instskip(NEXT) | instid1(VALU_DEP_1)
	v_mov_b32_dpp v4, v3 row_ror:4 row_mask:0xf bank_mask:0xf
	v_dual_lshlrev_b32 v3, 16, v3 :: v_dual_lshlrev_b32 v4, 16, v4
	s_delay_alu instid0(VALU_DEP_1) | instskip(NEXT) | instid1(VALU_DEP_1)
	v_mul_f32_e32 v3, v3, v4
	v_bfe_u32 v4, v3, 16, 1
	v_cmp_o_f32_e32 vcc_lo, v3, v3
	s_delay_alu instid0(VALU_DEP_2) | instskip(NEXT) | instid1(VALU_DEP_1)
	v_add3_u32 v4, v3, v4, 0x7fff
	v_lshrrev_b32_e32 v4, 16, v4
	s_delay_alu instid0(VALU_DEP_1) | instskip(NEXT) | instid1(VALU_DEP_1)
	v_cndmask_b32_e32 v3, 0x7fc0, v4, vcc_lo
	v_mov_b32_dpp v4, v3 row_ror:8 row_mask:0xf bank_mask:0xf
	s_delay_alu instid0(VALU_DEP_1) | instskip(NEXT) | instid1(VALU_DEP_1)
	v_dual_lshlrev_b32 v3, 16, v3 :: v_dual_lshlrev_b32 v4, 16, v4
	v_mul_f32_e32 v3, v3, v4
	s_delay_alu instid0(VALU_DEP_1) | instskip(SKIP_1) | instid1(VALU_DEP_2)
	v_bfe_u32 v4, v3, 16, 1
	v_cmp_o_f32_e32 vcc_lo, v3, v3
	v_add3_u32 v4, v3, v4, 0x7fff
	s_delay_alu instid0(VALU_DEP_1) | instskip(NEXT) | instid1(VALU_DEP_1)
	v_lshrrev_b32_e32 v4, 16, v4
	v_cndmask_b32_e32 v3, 0x7fc0, v4, vcc_lo
	ds_swizzle_b32 v4, v3 offset:swizzle(BROADCAST,32,15)
	s_wait_dscnt 0x0
	v_dual_lshlrev_b32 v3, 16, v3 :: v_dual_lshlrev_b32 v4, 16, v4
	s_delay_alu instid0(VALU_DEP_1) | instskip(NEXT) | instid1(VALU_DEP_1)
	v_mul_f32_e32 v3, v3, v4
	v_bfe_u32 v4, v3, 16, 1
	v_cmp_o_f32_e32 vcc_lo, v3, v3
	s_delay_alu instid0(VALU_DEP_2) | instskip(NEXT) | instid1(VALU_DEP_1)
	v_add3_u32 v4, v3, v4, 0x7fff
	v_lshrrev_b32_e32 v4, 16, v4
	s_delay_alu instid0(VALU_DEP_1)
	v_dual_cndmask_b32 v3, 0x7fc0, v4 :: v_dual_mov_b32 v4, 0
	ds_bpermute_b32 v4, v4, v3 offset:124
	v_cmpx_eq_u32_e32 0, v2
	s_cbranch_execz .LBB136_110
; %bb.109:
	v_lshrrev_b32_e32 v3, 4, v0
	s_delay_alu instid0(VALU_DEP_1)
	v_and_b32_e32 v3, 14, v3
	s_wait_dscnt 0x0
	ds_store_b16 v3, v4
.LBB136_110:
	s_or_b32 exec_lo, exec_lo, s0
	s_delay_alu instid0(SALU_CYCLE_1)
	s_mov_b32 s0, exec_lo
	s_wait_dscnt 0x0
	s_barrier_signal -1
	s_barrier_wait -1
	v_cmpx_gt_u32_e32 32, v0
	s_cbranch_execz .LBB136_112
; %bb.111:
	v_and_b32_e32 v3, 7, v2
	s_delay_alu instid0(VALU_DEP_1) | instskip(SKIP_1) | instid1(VALU_DEP_1)
	v_cmp_ne_u32_e32 vcc_lo, 7, v3
	v_add_co_ci_u32_e64 v5, null, 0, v2, vcc_lo
	v_dual_lshlrev_b32 v5, 2, v5 :: v_dual_lshlrev_b32 v4, 1, v3
	v_cmp_gt_u32_e32 vcc_lo, 6, v3
	ds_load_u16 v4, v4
	v_cndmask_b32_e64 v3, 0, 2, vcc_lo
	s_delay_alu instid0(VALU_DEP_1) | instskip(SKIP_1) | instid1(VALU_DEP_1)
	v_add_lshl_u32 v3, v3, v2, 2
	v_lshlrev_b32_e32 v2, 2, v2
	v_or_b32_e32 v2, 16, v2
	s_wait_dscnt 0x0
	ds_bpermute_b32 v5, v5, v4
	s_wait_dscnt 0x0
	v_dual_lshlrev_b32 v4, 16, v4 :: v_dual_lshlrev_b32 v5, 16, v5
	s_delay_alu instid0(VALU_DEP_1) | instskip(NEXT) | instid1(VALU_DEP_1)
	v_mul_f32_e32 v4, v5, v4
	v_bfe_u32 v5, v4, 16, 1
	v_cmp_o_f32_e32 vcc_lo, v4, v4
	s_delay_alu instid0(VALU_DEP_2) | instskip(NEXT) | instid1(VALU_DEP_1)
	v_add3_u32 v5, v4, v5, 0x7fff
	v_lshrrev_b32_e32 v5, 16, v5
	s_delay_alu instid0(VALU_DEP_1) | instskip(SKIP_3) | instid1(VALU_DEP_1)
	v_cndmask_b32_e32 v4, 0x7fc0, v5, vcc_lo
	ds_bpermute_b32 v3, v3, v4
	s_wait_dscnt 0x0
	v_dual_lshlrev_b32 v4, 16, v4 :: v_dual_lshlrev_b32 v3, 16, v3
	v_mul_f32_e32 v3, v4, v3
	s_delay_alu instid0(VALU_DEP_1) | instskip(NEXT) | instid1(VALU_DEP_1)
	v_bfe_u32 v4, v3, 16, 1
	v_add3_u32 v4, v3, v4, 0x7fff
	s_delay_alu instid0(VALU_DEP_1) | instskip(SKIP_1) | instid1(VALU_DEP_2)
	v_lshrrev_b32_e32 v4, 16, v4
	v_cmp_o_f32_e32 vcc_lo, v3, v3
	v_cndmask_b32_e32 v3, 0x7fc0, v4, vcc_lo
	ds_bpermute_b32 v2, v2, v3
	s_wait_dscnt 0x0
	v_dual_lshlrev_b32 v2, 16, v2 :: v_dual_lshlrev_b32 v3, 16, v3
	s_delay_alu instid0(VALU_DEP_1) | instskip(NEXT) | instid1(VALU_DEP_1)
	v_mul_f32_e32 v2, v3, v2
	v_bfe_u32 v3, v2, 16, 1
	v_cmp_o_f32_e32 vcc_lo, v2, v2
	s_delay_alu instid0(VALU_DEP_2) | instskip(NEXT) | instid1(VALU_DEP_1)
	v_add3_u32 v3, v2, v3, 0x7fff
	v_lshrrev_b32_e32 v3, 16, v3
	s_delay_alu instid0(VALU_DEP_1)
	v_cndmask_b32_e32 v4, 0x7fc0, v3, vcc_lo
.LBB136_112:
	s_or_b32 exec_lo, exec_lo, s0
.LBB136_113:
	s_delay_alu instid0(SALU_CYCLE_1)
	s_mov_b32 s0, exec_lo
	v_cmpx_eq_u32_e32 0, v0
	s_cbranch_execz .LBB136_115
; %bb.114:
	s_wait_loadcnt 0x0
	v_dual_lshlrev_b32 v0, 16, v1 :: v_dual_lshlrev_b32 v1, 16, v4
	s_or_b32 s15, s15, exec_lo
	s_delay_alu instid0(VALU_DEP_1) | instskip(NEXT) | instid1(VALU_DEP_1)
	v_mul_f32_e32 v0, v1, v0
	v_bfe_u32 v1, v0, 16, 1
	s_delay_alu instid0(VALU_DEP_1) | instskip(NEXT) | instid1(VALU_DEP_1)
	v_add3_u32 v1, v0, v1, 0x7fff
	v_lshrrev_b32_e32 v1, 16, v1
	v_cmp_o_f32_e32 vcc_lo, v0, v0
	s_delay_alu instid0(VALU_DEP_2)
	v_cndmask_b32_e32 v1, 0x7fc0, v1, vcc_lo
.LBB136_115:
	s_or_b32 exec_lo, exec_lo, s0
	s_and_saveexec_b32 s0, s15
	s_cbranch_execz .LBB136_3
.LBB136_116:
	s_lshl_b64 s[0:1], s[20:21], 1
	v_mov_b32_e32 v0, 0
	s_add_nc_u64 s[0:1], s[18:19], s[0:1]
	s_lshl_b64 s[2:3], s[22:23], 1
	s_delay_alu instid0(SALU_CYCLE_1)
	s_add_nc_u64 s[0:1], s[0:1], s[2:3]
	s_wait_loadcnt 0x0
	global_store_b16 v0, v1, s[0:1]
	s_endpgm
	.section	.rodata,"a",@progbits
	.p2align	6, 0x0
	.amdhsa_kernel _ZN7rocprim17ROCPRIM_400000_NS6detail17trampoline_kernelINS0_14default_configENS1_32segmented_reduce_config_selectorIN3c108BFloat16EEEZNS1_21segmented_reduce_implIS3_PKS6_PS6_PKiS6_N6hipcub16HIPCUB_304000_NS6detail27convert_result_type_wrapperISA_SB_N2at6native12_GLOBAL__N_110CustomProdEEEEE10hipError_tPvRmT0_T1_jT2_SS_T4_T3_P12ihipStream_tbEUlT_E_NS1_11comp_targetILNS1_3genE0ELNS1_11target_archE4294967295ELNS1_3gpuE0ELNS1_3repE0EEENS1_30default_config_static_selectorELNS0_4arch9wavefront6targetE0EEEvSR_
		.amdhsa_group_segment_fixed_size 16
		.amdhsa_private_segment_fixed_size 0
		.amdhsa_kernarg_size 48
		.amdhsa_user_sgpr_count 2
		.amdhsa_user_sgpr_dispatch_ptr 0
		.amdhsa_user_sgpr_queue_ptr 0
		.amdhsa_user_sgpr_kernarg_segment_ptr 1
		.amdhsa_user_sgpr_dispatch_id 0
		.amdhsa_user_sgpr_kernarg_preload_length 0
		.amdhsa_user_sgpr_kernarg_preload_offset 0
		.amdhsa_user_sgpr_private_segment_size 0
		.amdhsa_wavefront_size32 1
		.amdhsa_uses_dynamic_stack 0
		.amdhsa_enable_private_segment 0
		.amdhsa_system_sgpr_workgroup_id_x 1
		.amdhsa_system_sgpr_workgroup_id_y 0
		.amdhsa_system_sgpr_workgroup_id_z 0
		.amdhsa_system_sgpr_workgroup_info 0
		.amdhsa_system_vgpr_workitem_id 0
		.amdhsa_next_free_vgpr 24
		.amdhsa_next_free_sgpr 30
		.amdhsa_named_barrier_count 0
		.amdhsa_reserve_vcc 1
		.amdhsa_float_round_mode_32 0
		.amdhsa_float_round_mode_16_64 0
		.amdhsa_float_denorm_mode_32 3
		.amdhsa_float_denorm_mode_16_64 3
		.amdhsa_fp16_overflow 0
		.amdhsa_memory_ordered 1
		.amdhsa_forward_progress 1
		.amdhsa_inst_pref_size 64
		.amdhsa_round_robin_scheduling 0
		.amdhsa_exception_fp_ieee_invalid_op 0
		.amdhsa_exception_fp_denorm_src 0
		.amdhsa_exception_fp_ieee_div_zero 0
		.amdhsa_exception_fp_ieee_overflow 0
		.amdhsa_exception_fp_ieee_underflow 0
		.amdhsa_exception_fp_ieee_inexact 0
		.amdhsa_exception_int_div_zero 0
	.end_amdhsa_kernel
	.section	.text._ZN7rocprim17ROCPRIM_400000_NS6detail17trampoline_kernelINS0_14default_configENS1_32segmented_reduce_config_selectorIN3c108BFloat16EEEZNS1_21segmented_reduce_implIS3_PKS6_PS6_PKiS6_N6hipcub16HIPCUB_304000_NS6detail27convert_result_type_wrapperISA_SB_N2at6native12_GLOBAL__N_110CustomProdEEEEE10hipError_tPvRmT0_T1_jT2_SS_T4_T3_P12ihipStream_tbEUlT_E_NS1_11comp_targetILNS1_3genE0ELNS1_11target_archE4294967295ELNS1_3gpuE0ELNS1_3repE0EEENS1_30default_config_static_selectorELNS0_4arch9wavefront6targetE0EEEvSR_,"axG",@progbits,_ZN7rocprim17ROCPRIM_400000_NS6detail17trampoline_kernelINS0_14default_configENS1_32segmented_reduce_config_selectorIN3c108BFloat16EEEZNS1_21segmented_reduce_implIS3_PKS6_PS6_PKiS6_N6hipcub16HIPCUB_304000_NS6detail27convert_result_type_wrapperISA_SB_N2at6native12_GLOBAL__N_110CustomProdEEEEE10hipError_tPvRmT0_T1_jT2_SS_T4_T3_P12ihipStream_tbEUlT_E_NS1_11comp_targetILNS1_3genE0ELNS1_11target_archE4294967295ELNS1_3gpuE0ELNS1_3repE0EEENS1_30default_config_static_selectorELNS0_4arch9wavefront6targetE0EEEvSR_,comdat
.Lfunc_end136:
	.size	_ZN7rocprim17ROCPRIM_400000_NS6detail17trampoline_kernelINS0_14default_configENS1_32segmented_reduce_config_selectorIN3c108BFloat16EEEZNS1_21segmented_reduce_implIS3_PKS6_PS6_PKiS6_N6hipcub16HIPCUB_304000_NS6detail27convert_result_type_wrapperISA_SB_N2at6native12_GLOBAL__N_110CustomProdEEEEE10hipError_tPvRmT0_T1_jT2_SS_T4_T3_P12ihipStream_tbEUlT_E_NS1_11comp_targetILNS1_3genE0ELNS1_11target_archE4294967295ELNS1_3gpuE0ELNS1_3repE0EEENS1_30default_config_static_selectorELNS0_4arch9wavefront6targetE0EEEvSR_, .Lfunc_end136-_ZN7rocprim17ROCPRIM_400000_NS6detail17trampoline_kernelINS0_14default_configENS1_32segmented_reduce_config_selectorIN3c108BFloat16EEEZNS1_21segmented_reduce_implIS3_PKS6_PS6_PKiS6_N6hipcub16HIPCUB_304000_NS6detail27convert_result_type_wrapperISA_SB_N2at6native12_GLOBAL__N_110CustomProdEEEEE10hipError_tPvRmT0_T1_jT2_SS_T4_T3_P12ihipStream_tbEUlT_E_NS1_11comp_targetILNS1_3genE0ELNS1_11target_archE4294967295ELNS1_3gpuE0ELNS1_3repE0EEENS1_30default_config_static_selectorELNS0_4arch9wavefront6targetE0EEEvSR_
                                        ; -- End function
	.set _ZN7rocprim17ROCPRIM_400000_NS6detail17trampoline_kernelINS0_14default_configENS1_32segmented_reduce_config_selectorIN3c108BFloat16EEEZNS1_21segmented_reduce_implIS3_PKS6_PS6_PKiS6_N6hipcub16HIPCUB_304000_NS6detail27convert_result_type_wrapperISA_SB_N2at6native12_GLOBAL__N_110CustomProdEEEEE10hipError_tPvRmT0_T1_jT2_SS_T4_T3_P12ihipStream_tbEUlT_E_NS1_11comp_targetILNS1_3genE0ELNS1_11target_archE4294967295ELNS1_3gpuE0ELNS1_3repE0EEENS1_30default_config_static_selectorELNS0_4arch9wavefront6targetE0EEEvSR_.num_vgpr, 24
	.set _ZN7rocprim17ROCPRIM_400000_NS6detail17trampoline_kernelINS0_14default_configENS1_32segmented_reduce_config_selectorIN3c108BFloat16EEEZNS1_21segmented_reduce_implIS3_PKS6_PS6_PKiS6_N6hipcub16HIPCUB_304000_NS6detail27convert_result_type_wrapperISA_SB_N2at6native12_GLOBAL__N_110CustomProdEEEEE10hipError_tPvRmT0_T1_jT2_SS_T4_T3_P12ihipStream_tbEUlT_E_NS1_11comp_targetILNS1_3genE0ELNS1_11target_archE4294967295ELNS1_3gpuE0ELNS1_3repE0EEENS1_30default_config_static_selectorELNS0_4arch9wavefront6targetE0EEEvSR_.num_agpr, 0
	.set _ZN7rocprim17ROCPRIM_400000_NS6detail17trampoline_kernelINS0_14default_configENS1_32segmented_reduce_config_selectorIN3c108BFloat16EEEZNS1_21segmented_reduce_implIS3_PKS6_PS6_PKiS6_N6hipcub16HIPCUB_304000_NS6detail27convert_result_type_wrapperISA_SB_N2at6native12_GLOBAL__N_110CustomProdEEEEE10hipError_tPvRmT0_T1_jT2_SS_T4_T3_P12ihipStream_tbEUlT_E_NS1_11comp_targetILNS1_3genE0ELNS1_11target_archE4294967295ELNS1_3gpuE0ELNS1_3repE0EEENS1_30default_config_static_selectorELNS0_4arch9wavefront6targetE0EEEvSR_.numbered_sgpr, 30
	.set _ZN7rocprim17ROCPRIM_400000_NS6detail17trampoline_kernelINS0_14default_configENS1_32segmented_reduce_config_selectorIN3c108BFloat16EEEZNS1_21segmented_reduce_implIS3_PKS6_PS6_PKiS6_N6hipcub16HIPCUB_304000_NS6detail27convert_result_type_wrapperISA_SB_N2at6native12_GLOBAL__N_110CustomProdEEEEE10hipError_tPvRmT0_T1_jT2_SS_T4_T3_P12ihipStream_tbEUlT_E_NS1_11comp_targetILNS1_3genE0ELNS1_11target_archE4294967295ELNS1_3gpuE0ELNS1_3repE0EEENS1_30default_config_static_selectorELNS0_4arch9wavefront6targetE0EEEvSR_.num_named_barrier, 0
	.set _ZN7rocprim17ROCPRIM_400000_NS6detail17trampoline_kernelINS0_14default_configENS1_32segmented_reduce_config_selectorIN3c108BFloat16EEEZNS1_21segmented_reduce_implIS3_PKS6_PS6_PKiS6_N6hipcub16HIPCUB_304000_NS6detail27convert_result_type_wrapperISA_SB_N2at6native12_GLOBAL__N_110CustomProdEEEEE10hipError_tPvRmT0_T1_jT2_SS_T4_T3_P12ihipStream_tbEUlT_E_NS1_11comp_targetILNS1_3genE0ELNS1_11target_archE4294967295ELNS1_3gpuE0ELNS1_3repE0EEENS1_30default_config_static_selectorELNS0_4arch9wavefront6targetE0EEEvSR_.private_seg_size, 0
	.set _ZN7rocprim17ROCPRIM_400000_NS6detail17trampoline_kernelINS0_14default_configENS1_32segmented_reduce_config_selectorIN3c108BFloat16EEEZNS1_21segmented_reduce_implIS3_PKS6_PS6_PKiS6_N6hipcub16HIPCUB_304000_NS6detail27convert_result_type_wrapperISA_SB_N2at6native12_GLOBAL__N_110CustomProdEEEEE10hipError_tPvRmT0_T1_jT2_SS_T4_T3_P12ihipStream_tbEUlT_E_NS1_11comp_targetILNS1_3genE0ELNS1_11target_archE4294967295ELNS1_3gpuE0ELNS1_3repE0EEENS1_30default_config_static_selectorELNS0_4arch9wavefront6targetE0EEEvSR_.uses_vcc, 1
	.set _ZN7rocprim17ROCPRIM_400000_NS6detail17trampoline_kernelINS0_14default_configENS1_32segmented_reduce_config_selectorIN3c108BFloat16EEEZNS1_21segmented_reduce_implIS3_PKS6_PS6_PKiS6_N6hipcub16HIPCUB_304000_NS6detail27convert_result_type_wrapperISA_SB_N2at6native12_GLOBAL__N_110CustomProdEEEEE10hipError_tPvRmT0_T1_jT2_SS_T4_T3_P12ihipStream_tbEUlT_E_NS1_11comp_targetILNS1_3genE0ELNS1_11target_archE4294967295ELNS1_3gpuE0ELNS1_3repE0EEENS1_30default_config_static_selectorELNS0_4arch9wavefront6targetE0EEEvSR_.uses_flat_scratch, 0
	.set _ZN7rocprim17ROCPRIM_400000_NS6detail17trampoline_kernelINS0_14default_configENS1_32segmented_reduce_config_selectorIN3c108BFloat16EEEZNS1_21segmented_reduce_implIS3_PKS6_PS6_PKiS6_N6hipcub16HIPCUB_304000_NS6detail27convert_result_type_wrapperISA_SB_N2at6native12_GLOBAL__N_110CustomProdEEEEE10hipError_tPvRmT0_T1_jT2_SS_T4_T3_P12ihipStream_tbEUlT_E_NS1_11comp_targetILNS1_3genE0ELNS1_11target_archE4294967295ELNS1_3gpuE0ELNS1_3repE0EEENS1_30default_config_static_selectorELNS0_4arch9wavefront6targetE0EEEvSR_.has_dyn_sized_stack, 0
	.set _ZN7rocprim17ROCPRIM_400000_NS6detail17trampoline_kernelINS0_14default_configENS1_32segmented_reduce_config_selectorIN3c108BFloat16EEEZNS1_21segmented_reduce_implIS3_PKS6_PS6_PKiS6_N6hipcub16HIPCUB_304000_NS6detail27convert_result_type_wrapperISA_SB_N2at6native12_GLOBAL__N_110CustomProdEEEEE10hipError_tPvRmT0_T1_jT2_SS_T4_T3_P12ihipStream_tbEUlT_E_NS1_11comp_targetILNS1_3genE0ELNS1_11target_archE4294967295ELNS1_3gpuE0ELNS1_3repE0EEENS1_30default_config_static_selectorELNS0_4arch9wavefront6targetE0EEEvSR_.has_recursion, 0
	.set _ZN7rocprim17ROCPRIM_400000_NS6detail17trampoline_kernelINS0_14default_configENS1_32segmented_reduce_config_selectorIN3c108BFloat16EEEZNS1_21segmented_reduce_implIS3_PKS6_PS6_PKiS6_N6hipcub16HIPCUB_304000_NS6detail27convert_result_type_wrapperISA_SB_N2at6native12_GLOBAL__N_110CustomProdEEEEE10hipError_tPvRmT0_T1_jT2_SS_T4_T3_P12ihipStream_tbEUlT_E_NS1_11comp_targetILNS1_3genE0ELNS1_11target_archE4294967295ELNS1_3gpuE0ELNS1_3repE0EEENS1_30default_config_static_selectorELNS0_4arch9wavefront6targetE0EEEvSR_.has_indirect_call, 0
	.section	.AMDGPU.csdata,"",@progbits
; Kernel info:
; codeLenInByte = 8104
; TotalNumSgprs: 32
; NumVgprs: 24
; ScratchSize: 0
; MemoryBound: 0
; FloatMode: 240
; IeeeMode: 1
; LDSByteSize: 16 bytes/workgroup (compile time only)
; SGPRBlocks: 0
; VGPRBlocks: 1
; NumSGPRsForWavesPerEU: 32
; NumVGPRsForWavesPerEU: 24
; NamedBarCnt: 0
; Occupancy: 16
; WaveLimiterHint : 1
; COMPUTE_PGM_RSRC2:SCRATCH_EN: 0
; COMPUTE_PGM_RSRC2:USER_SGPR: 2
; COMPUTE_PGM_RSRC2:TRAP_HANDLER: 0
; COMPUTE_PGM_RSRC2:TGID_X_EN: 1
; COMPUTE_PGM_RSRC2:TGID_Y_EN: 0
; COMPUTE_PGM_RSRC2:TGID_Z_EN: 0
; COMPUTE_PGM_RSRC2:TIDIG_COMP_CNT: 0
	.section	.text._ZN7rocprim17ROCPRIM_400000_NS6detail17trampoline_kernelINS0_14default_configENS1_32segmented_reduce_config_selectorIN3c108BFloat16EEEZNS1_21segmented_reduce_implIS3_PKS6_PS6_PKiS6_N6hipcub16HIPCUB_304000_NS6detail27convert_result_type_wrapperISA_SB_N2at6native12_GLOBAL__N_110CustomProdEEEEE10hipError_tPvRmT0_T1_jT2_SS_T4_T3_P12ihipStream_tbEUlT_E_NS1_11comp_targetILNS1_3genE5ELNS1_11target_archE942ELNS1_3gpuE9ELNS1_3repE0EEENS1_30default_config_static_selectorELNS0_4arch9wavefront6targetE0EEEvSR_,"axG",@progbits,_ZN7rocprim17ROCPRIM_400000_NS6detail17trampoline_kernelINS0_14default_configENS1_32segmented_reduce_config_selectorIN3c108BFloat16EEEZNS1_21segmented_reduce_implIS3_PKS6_PS6_PKiS6_N6hipcub16HIPCUB_304000_NS6detail27convert_result_type_wrapperISA_SB_N2at6native12_GLOBAL__N_110CustomProdEEEEE10hipError_tPvRmT0_T1_jT2_SS_T4_T3_P12ihipStream_tbEUlT_E_NS1_11comp_targetILNS1_3genE5ELNS1_11target_archE942ELNS1_3gpuE9ELNS1_3repE0EEENS1_30default_config_static_selectorELNS0_4arch9wavefront6targetE0EEEvSR_,comdat
	.globl	_ZN7rocprim17ROCPRIM_400000_NS6detail17trampoline_kernelINS0_14default_configENS1_32segmented_reduce_config_selectorIN3c108BFloat16EEEZNS1_21segmented_reduce_implIS3_PKS6_PS6_PKiS6_N6hipcub16HIPCUB_304000_NS6detail27convert_result_type_wrapperISA_SB_N2at6native12_GLOBAL__N_110CustomProdEEEEE10hipError_tPvRmT0_T1_jT2_SS_T4_T3_P12ihipStream_tbEUlT_E_NS1_11comp_targetILNS1_3genE5ELNS1_11target_archE942ELNS1_3gpuE9ELNS1_3repE0EEENS1_30default_config_static_selectorELNS0_4arch9wavefront6targetE0EEEvSR_ ; -- Begin function _ZN7rocprim17ROCPRIM_400000_NS6detail17trampoline_kernelINS0_14default_configENS1_32segmented_reduce_config_selectorIN3c108BFloat16EEEZNS1_21segmented_reduce_implIS3_PKS6_PS6_PKiS6_N6hipcub16HIPCUB_304000_NS6detail27convert_result_type_wrapperISA_SB_N2at6native12_GLOBAL__N_110CustomProdEEEEE10hipError_tPvRmT0_T1_jT2_SS_T4_T3_P12ihipStream_tbEUlT_E_NS1_11comp_targetILNS1_3genE5ELNS1_11target_archE942ELNS1_3gpuE9ELNS1_3repE0EEENS1_30default_config_static_selectorELNS0_4arch9wavefront6targetE0EEEvSR_
	.p2align	8
	.type	_ZN7rocprim17ROCPRIM_400000_NS6detail17trampoline_kernelINS0_14default_configENS1_32segmented_reduce_config_selectorIN3c108BFloat16EEEZNS1_21segmented_reduce_implIS3_PKS6_PS6_PKiS6_N6hipcub16HIPCUB_304000_NS6detail27convert_result_type_wrapperISA_SB_N2at6native12_GLOBAL__N_110CustomProdEEEEE10hipError_tPvRmT0_T1_jT2_SS_T4_T3_P12ihipStream_tbEUlT_E_NS1_11comp_targetILNS1_3genE5ELNS1_11target_archE942ELNS1_3gpuE9ELNS1_3repE0EEENS1_30default_config_static_selectorELNS0_4arch9wavefront6targetE0EEEvSR_,@function
_ZN7rocprim17ROCPRIM_400000_NS6detail17trampoline_kernelINS0_14default_configENS1_32segmented_reduce_config_selectorIN3c108BFloat16EEEZNS1_21segmented_reduce_implIS3_PKS6_PS6_PKiS6_N6hipcub16HIPCUB_304000_NS6detail27convert_result_type_wrapperISA_SB_N2at6native12_GLOBAL__N_110CustomProdEEEEE10hipError_tPvRmT0_T1_jT2_SS_T4_T3_P12ihipStream_tbEUlT_E_NS1_11comp_targetILNS1_3genE5ELNS1_11target_archE942ELNS1_3gpuE9ELNS1_3repE0EEENS1_30default_config_static_selectorELNS0_4arch9wavefront6targetE0EEEvSR_: ; @_ZN7rocprim17ROCPRIM_400000_NS6detail17trampoline_kernelINS0_14default_configENS1_32segmented_reduce_config_selectorIN3c108BFloat16EEEZNS1_21segmented_reduce_implIS3_PKS6_PS6_PKiS6_N6hipcub16HIPCUB_304000_NS6detail27convert_result_type_wrapperISA_SB_N2at6native12_GLOBAL__N_110CustomProdEEEEE10hipError_tPvRmT0_T1_jT2_SS_T4_T3_P12ihipStream_tbEUlT_E_NS1_11comp_targetILNS1_3genE5ELNS1_11target_archE942ELNS1_3gpuE9ELNS1_3repE0EEENS1_30default_config_static_selectorELNS0_4arch9wavefront6targetE0EEEvSR_
; %bb.0:
	.section	.rodata,"a",@progbits
	.p2align	6, 0x0
	.amdhsa_kernel _ZN7rocprim17ROCPRIM_400000_NS6detail17trampoline_kernelINS0_14default_configENS1_32segmented_reduce_config_selectorIN3c108BFloat16EEEZNS1_21segmented_reduce_implIS3_PKS6_PS6_PKiS6_N6hipcub16HIPCUB_304000_NS6detail27convert_result_type_wrapperISA_SB_N2at6native12_GLOBAL__N_110CustomProdEEEEE10hipError_tPvRmT0_T1_jT2_SS_T4_T3_P12ihipStream_tbEUlT_E_NS1_11comp_targetILNS1_3genE5ELNS1_11target_archE942ELNS1_3gpuE9ELNS1_3repE0EEENS1_30default_config_static_selectorELNS0_4arch9wavefront6targetE0EEEvSR_
		.amdhsa_group_segment_fixed_size 0
		.amdhsa_private_segment_fixed_size 0
		.amdhsa_kernarg_size 48
		.amdhsa_user_sgpr_count 2
		.amdhsa_user_sgpr_dispatch_ptr 0
		.amdhsa_user_sgpr_queue_ptr 0
		.amdhsa_user_sgpr_kernarg_segment_ptr 1
		.amdhsa_user_sgpr_dispatch_id 0
		.amdhsa_user_sgpr_kernarg_preload_length 0
		.amdhsa_user_sgpr_kernarg_preload_offset 0
		.amdhsa_user_sgpr_private_segment_size 0
		.amdhsa_wavefront_size32 1
		.amdhsa_uses_dynamic_stack 0
		.amdhsa_enable_private_segment 0
		.amdhsa_system_sgpr_workgroup_id_x 1
		.amdhsa_system_sgpr_workgroup_id_y 0
		.amdhsa_system_sgpr_workgroup_id_z 0
		.amdhsa_system_sgpr_workgroup_info 0
		.amdhsa_system_vgpr_workitem_id 0
		.amdhsa_next_free_vgpr 1
		.amdhsa_next_free_sgpr 1
		.amdhsa_named_barrier_count 0
		.amdhsa_reserve_vcc 0
		.amdhsa_float_round_mode_32 0
		.amdhsa_float_round_mode_16_64 0
		.amdhsa_float_denorm_mode_32 3
		.amdhsa_float_denorm_mode_16_64 3
		.amdhsa_fp16_overflow 0
		.amdhsa_memory_ordered 1
		.amdhsa_forward_progress 1
		.amdhsa_inst_pref_size 0
		.amdhsa_round_robin_scheduling 0
		.amdhsa_exception_fp_ieee_invalid_op 0
		.amdhsa_exception_fp_denorm_src 0
		.amdhsa_exception_fp_ieee_div_zero 0
		.amdhsa_exception_fp_ieee_overflow 0
		.amdhsa_exception_fp_ieee_underflow 0
		.amdhsa_exception_fp_ieee_inexact 0
		.amdhsa_exception_int_div_zero 0
	.end_amdhsa_kernel
	.section	.text._ZN7rocprim17ROCPRIM_400000_NS6detail17trampoline_kernelINS0_14default_configENS1_32segmented_reduce_config_selectorIN3c108BFloat16EEEZNS1_21segmented_reduce_implIS3_PKS6_PS6_PKiS6_N6hipcub16HIPCUB_304000_NS6detail27convert_result_type_wrapperISA_SB_N2at6native12_GLOBAL__N_110CustomProdEEEEE10hipError_tPvRmT0_T1_jT2_SS_T4_T3_P12ihipStream_tbEUlT_E_NS1_11comp_targetILNS1_3genE5ELNS1_11target_archE942ELNS1_3gpuE9ELNS1_3repE0EEENS1_30default_config_static_selectorELNS0_4arch9wavefront6targetE0EEEvSR_,"axG",@progbits,_ZN7rocprim17ROCPRIM_400000_NS6detail17trampoline_kernelINS0_14default_configENS1_32segmented_reduce_config_selectorIN3c108BFloat16EEEZNS1_21segmented_reduce_implIS3_PKS6_PS6_PKiS6_N6hipcub16HIPCUB_304000_NS6detail27convert_result_type_wrapperISA_SB_N2at6native12_GLOBAL__N_110CustomProdEEEEE10hipError_tPvRmT0_T1_jT2_SS_T4_T3_P12ihipStream_tbEUlT_E_NS1_11comp_targetILNS1_3genE5ELNS1_11target_archE942ELNS1_3gpuE9ELNS1_3repE0EEENS1_30default_config_static_selectorELNS0_4arch9wavefront6targetE0EEEvSR_,comdat
.Lfunc_end137:
	.size	_ZN7rocprim17ROCPRIM_400000_NS6detail17trampoline_kernelINS0_14default_configENS1_32segmented_reduce_config_selectorIN3c108BFloat16EEEZNS1_21segmented_reduce_implIS3_PKS6_PS6_PKiS6_N6hipcub16HIPCUB_304000_NS6detail27convert_result_type_wrapperISA_SB_N2at6native12_GLOBAL__N_110CustomProdEEEEE10hipError_tPvRmT0_T1_jT2_SS_T4_T3_P12ihipStream_tbEUlT_E_NS1_11comp_targetILNS1_3genE5ELNS1_11target_archE942ELNS1_3gpuE9ELNS1_3repE0EEENS1_30default_config_static_selectorELNS0_4arch9wavefront6targetE0EEEvSR_, .Lfunc_end137-_ZN7rocprim17ROCPRIM_400000_NS6detail17trampoline_kernelINS0_14default_configENS1_32segmented_reduce_config_selectorIN3c108BFloat16EEEZNS1_21segmented_reduce_implIS3_PKS6_PS6_PKiS6_N6hipcub16HIPCUB_304000_NS6detail27convert_result_type_wrapperISA_SB_N2at6native12_GLOBAL__N_110CustomProdEEEEE10hipError_tPvRmT0_T1_jT2_SS_T4_T3_P12ihipStream_tbEUlT_E_NS1_11comp_targetILNS1_3genE5ELNS1_11target_archE942ELNS1_3gpuE9ELNS1_3repE0EEENS1_30default_config_static_selectorELNS0_4arch9wavefront6targetE0EEEvSR_
                                        ; -- End function
	.set _ZN7rocprim17ROCPRIM_400000_NS6detail17trampoline_kernelINS0_14default_configENS1_32segmented_reduce_config_selectorIN3c108BFloat16EEEZNS1_21segmented_reduce_implIS3_PKS6_PS6_PKiS6_N6hipcub16HIPCUB_304000_NS6detail27convert_result_type_wrapperISA_SB_N2at6native12_GLOBAL__N_110CustomProdEEEEE10hipError_tPvRmT0_T1_jT2_SS_T4_T3_P12ihipStream_tbEUlT_E_NS1_11comp_targetILNS1_3genE5ELNS1_11target_archE942ELNS1_3gpuE9ELNS1_3repE0EEENS1_30default_config_static_selectorELNS0_4arch9wavefront6targetE0EEEvSR_.num_vgpr, 0
	.set _ZN7rocprim17ROCPRIM_400000_NS6detail17trampoline_kernelINS0_14default_configENS1_32segmented_reduce_config_selectorIN3c108BFloat16EEEZNS1_21segmented_reduce_implIS3_PKS6_PS6_PKiS6_N6hipcub16HIPCUB_304000_NS6detail27convert_result_type_wrapperISA_SB_N2at6native12_GLOBAL__N_110CustomProdEEEEE10hipError_tPvRmT0_T1_jT2_SS_T4_T3_P12ihipStream_tbEUlT_E_NS1_11comp_targetILNS1_3genE5ELNS1_11target_archE942ELNS1_3gpuE9ELNS1_3repE0EEENS1_30default_config_static_selectorELNS0_4arch9wavefront6targetE0EEEvSR_.num_agpr, 0
	.set _ZN7rocprim17ROCPRIM_400000_NS6detail17trampoline_kernelINS0_14default_configENS1_32segmented_reduce_config_selectorIN3c108BFloat16EEEZNS1_21segmented_reduce_implIS3_PKS6_PS6_PKiS6_N6hipcub16HIPCUB_304000_NS6detail27convert_result_type_wrapperISA_SB_N2at6native12_GLOBAL__N_110CustomProdEEEEE10hipError_tPvRmT0_T1_jT2_SS_T4_T3_P12ihipStream_tbEUlT_E_NS1_11comp_targetILNS1_3genE5ELNS1_11target_archE942ELNS1_3gpuE9ELNS1_3repE0EEENS1_30default_config_static_selectorELNS0_4arch9wavefront6targetE0EEEvSR_.numbered_sgpr, 0
	.set _ZN7rocprim17ROCPRIM_400000_NS6detail17trampoline_kernelINS0_14default_configENS1_32segmented_reduce_config_selectorIN3c108BFloat16EEEZNS1_21segmented_reduce_implIS3_PKS6_PS6_PKiS6_N6hipcub16HIPCUB_304000_NS6detail27convert_result_type_wrapperISA_SB_N2at6native12_GLOBAL__N_110CustomProdEEEEE10hipError_tPvRmT0_T1_jT2_SS_T4_T3_P12ihipStream_tbEUlT_E_NS1_11comp_targetILNS1_3genE5ELNS1_11target_archE942ELNS1_3gpuE9ELNS1_3repE0EEENS1_30default_config_static_selectorELNS0_4arch9wavefront6targetE0EEEvSR_.num_named_barrier, 0
	.set _ZN7rocprim17ROCPRIM_400000_NS6detail17trampoline_kernelINS0_14default_configENS1_32segmented_reduce_config_selectorIN3c108BFloat16EEEZNS1_21segmented_reduce_implIS3_PKS6_PS6_PKiS6_N6hipcub16HIPCUB_304000_NS6detail27convert_result_type_wrapperISA_SB_N2at6native12_GLOBAL__N_110CustomProdEEEEE10hipError_tPvRmT0_T1_jT2_SS_T4_T3_P12ihipStream_tbEUlT_E_NS1_11comp_targetILNS1_3genE5ELNS1_11target_archE942ELNS1_3gpuE9ELNS1_3repE0EEENS1_30default_config_static_selectorELNS0_4arch9wavefront6targetE0EEEvSR_.private_seg_size, 0
	.set _ZN7rocprim17ROCPRIM_400000_NS6detail17trampoline_kernelINS0_14default_configENS1_32segmented_reduce_config_selectorIN3c108BFloat16EEEZNS1_21segmented_reduce_implIS3_PKS6_PS6_PKiS6_N6hipcub16HIPCUB_304000_NS6detail27convert_result_type_wrapperISA_SB_N2at6native12_GLOBAL__N_110CustomProdEEEEE10hipError_tPvRmT0_T1_jT2_SS_T4_T3_P12ihipStream_tbEUlT_E_NS1_11comp_targetILNS1_3genE5ELNS1_11target_archE942ELNS1_3gpuE9ELNS1_3repE0EEENS1_30default_config_static_selectorELNS0_4arch9wavefront6targetE0EEEvSR_.uses_vcc, 0
	.set _ZN7rocprim17ROCPRIM_400000_NS6detail17trampoline_kernelINS0_14default_configENS1_32segmented_reduce_config_selectorIN3c108BFloat16EEEZNS1_21segmented_reduce_implIS3_PKS6_PS6_PKiS6_N6hipcub16HIPCUB_304000_NS6detail27convert_result_type_wrapperISA_SB_N2at6native12_GLOBAL__N_110CustomProdEEEEE10hipError_tPvRmT0_T1_jT2_SS_T4_T3_P12ihipStream_tbEUlT_E_NS1_11comp_targetILNS1_3genE5ELNS1_11target_archE942ELNS1_3gpuE9ELNS1_3repE0EEENS1_30default_config_static_selectorELNS0_4arch9wavefront6targetE0EEEvSR_.uses_flat_scratch, 0
	.set _ZN7rocprim17ROCPRIM_400000_NS6detail17trampoline_kernelINS0_14default_configENS1_32segmented_reduce_config_selectorIN3c108BFloat16EEEZNS1_21segmented_reduce_implIS3_PKS6_PS6_PKiS6_N6hipcub16HIPCUB_304000_NS6detail27convert_result_type_wrapperISA_SB_N2at6native12_GLOBAL__N_110CustomProdEEEEE10hipError_tPvRmT0_T1_jT2_SS_T4_T3_P12ihipStream_tbEUlT_E_NS1_11comp_targetILNS1_3genE5ELNS1_11target_archE942ELNS1_3gpuE9ELNS1_3repE0EEENS1_30default_config_static_selectorELNS0_4arch9wavefront6targetE0EEEvSR_.has_dyn_sized_stack, 0
	.set _ZN7rocprim17ROCPRIM_400000_NS6detail17trampoline_kernelINS0_14default_configENS1_32segmented_reduce_config_selectorIN3c108BFloat16EEEZNS1_21segmented_reduce_implIS3_PKS6_PS6_PKiS6_N6hipcub16HIPCUB_304000_NS6detail27convert_result_type_wrapperISA_SB_N2at6native12_GLOBAL__N_110CustomProdEEEEE10hipError_tPvRmT0_T1_jT2_SS_T4_T3_P12ihipStream_tbEUlT_E_NS1_11comp_targetILNS1_3genE5ELNS1_11target_archE942ELNS1_3gpuE9ELNS1_3repE0EEENS1_30default_config_static_selectorELNS0_4arch9wavefront6targetE0EEEvSR_.has_recursion, 0
	.set _ZN7rocprim17ROCPRIM_400000_NS6detail17trampoline_kernelINS0_14default_configENS1_32segmented_reduce_config_selectorIN3c108BFloat16EEEZNS1_21segmented_reduce_implIS3_PKS6_PS6_PKiS6_N6hipcub16HIPCUB_304000_NS6detail27convert_result_type_wrapperISA_SB_N2at6native12_GLOBAL__N_110CustomProdEEEEE10hipError_tPvRmT0_T1_jT2_SS_T4_T3_P12ihipStream_tbEUlT_E_NS1_11comp_targetILNS1_3genE5ELNS1_11target_archE942ELNS1_3gpuE9ELNS1_3repE0EEENS1_30default_config_static_selectorELNS0_4arch9wavefront6targetE0EEEvSR_.has_indirect_call, 0
	.section	.AMDGPU.csdata,"",@progbits
; Kernel info:
; codeLenInByte = 0
; TotalNumSgprs: 0
; NumVgprs: 0
; ScratchSize: 0
; MemoryBound: 0
; FloatMode: 240
; IeeeMode: 1
; LDSByteSize: 0 bytes/workgroup (compile time only)
; SGPRBlocks: 0
; VGPRBlocks: 0
; NumSGPRsForWavesPerEU: 1
; NumVGPRsForWavesPerEU: 1
; NamedBarCnt: 0
; Occupancy: 16
; WaveLimiterHint : 0
; COMPUTE_PGM_RSRC2:SCRATCH_EN: 0
; COMPUTE_PGM_RSRC2:USER_SGPR: 2
; COMPUTE_PGM_RSRC2:TRAP_HANDLER: 0
; COMPUTE_PGM_RSRC2:TGID_X_EN: 1
; COMPUTE_PGM_RSRC2:TGID_Y_EN: 0
; COMPUTE_PGM_RSRC2:TGID_Z_EN: 0
; COMPUTE_PGM_RSRC2:TIDIG_COMP_CNT: 0
	.section	.text._ZN7rocprim17ROCPRIM_400000_NS6detail17trampoline_kernelINS0_14default_configENS1_32segmented_reduce_config_selectorIN3c108BFloat16EEEZNS1_21segmented_reduce_implIS3_PKS6_PS6_PKiS6_N6hipcub16HIPCUB_304000_NS6detail27convert_result_type_wrapperISA_SB_N2at6native12_GLOBAL__N_110CustomProdEEEEE10hipError_tPvRmT0_T1_jT2_SS_T4_T3_P12ihipStream_tbEUlT_E_NS1_11comp_targetILNS1_3genE10ELNS1_11target_archE1201ELNS1_3gpuE5ELNS1_3repE0EEENS1_30default_config_static_selectorELNS0_4arch9wavefront6targetE0EEEvSR_,"axG",@progbits,_ZN7rocprim17ROCPRIM_400000_NS6detail17trampoline_kernelINS0_14default_configENS1_32segmented_reduce_config_selectorIN3c108BFloat16EEEZNS1_21segmented_reduce_implIS3_PKS6_PS6_PKiS6_N6hipcub16HIPCUB_304000_NS6detail27convert_result_type_wrapperISA_SB_N2at6native12_GLOBAL__N_110CustomProdEEEEE10hipError_tPvRmT0_T1_jT2_SS_T4_T3_P12ihipStream_tbEUlT_E_NS1_11comp_targetILNS1_3genE10ELNS1_11target_archE1201ELNS1_3gpuE5ELNS1_3repE0EEENS1_30default_config_static_selectorELNS0_4arch9wavefront6targetE0EEEvSR_,comdat
	.globl	_ZN7rocprim17ROCPRIM_400000_NS6detail17trampoline_kernelINS0_14default_configENS1_32segmented_reduce_config_selectorIN3c108BFloat16EEEZNS1_21segmented_reduce_implIS3_PKS6_PS6_PKiS6_N6hipcub16HIPCUB_304000_NS6detail27convert_result_type_wrapperISA_SB_N2at6native12_GLOBAL__N_110CustomProdEEEEE10hipError_tPvRmT0_T1_jT2_SS_T4_T3_P12ihipStream_tbEUlT_E_NS1_11comp_targetILNS1_3genE10ELNS1_11target_archE1201ELNS1_3gpuE5ELNS1_3repE0EEENS1_30default_config_static_selectorELNS0_4arch9wavefront6targetE0EEEvSR_ ; -- Begin function _ZN7rocprim17ROCPRIM_400000_NS6detail17trampoline_kernelINS0_14default_configENS1_32segmented_reduce_config_selectorIN3c108BFloat16EEEZNS1_21segmented_reduce_implIS3_PKS6_PS6_PKiS6_N6hipcub16HIPCUB_304000_NS6detail27convert_result_type_wrapperISA_SB_N2at6native12_GLOBAL__N_110CustomProdEEEEE10hipError_tPvRmT0_T1_jT2_SS_T4_T3_P12ihipStream_tbEUlT_E_NS1_11comp_targetILNS1_3genE10ELNS1_11target_archE1201ELNS1_3gpuE5ELNS1_3repE0EEENS1_30default_config_static_selectorELNS0_4arch9wavefront6targetE0EEEvSR_
	.p2align	8
	.type	_ZN7rocprim17ROCPRIM_400000_NS6detail17trampoline_kernelINS0_14default_configENS1_32segmented_reduce_config_selectorIN3c108BFloat16EEEZNS1_21segmented_reduce_implIS3_PKS6_PS6_PKiS6_N6hipcub16HIPCUB_304000_NS6detail27convert_result_type_wrapperISA_SB_N2at6native12_GLOBAL__N_110CustomProdEEEEE10hipError_tPvRmT0_T1_jT2_SS_T4_T3_P12ihipStream_tbEUlT_E_NS1_11comp_targetILNS1_3genE10ELNS1_11target_archE1201ELNS1_3gpuE5ELNS1_3repE0EEENS1_30default_config_static_selectorELNS0_4arch9wavefront6targetE0EEEvSR_,@function
_ZN7rocprim17ROCPRIM_400000_NS6detail17trampoline_kernelINS0_14default_configENS1_32segmented_reduce_config_selectorIN3c108BFloat16EEEZNS1_21segmented_reduce_implIS3_PKS6_PS6_PKiS6_N6hipcub16HIPCUB_304000_NS6detail27convert_result_type_wrapperISA_SB_N2at6native12_GLOBAL__N_110CustomProdEEEEE10hipError_tPvRmT0_T1_jT2_SS_T4_T3_P12ihipStream_tbEUlT_E_NS1_11comp_targetILNS1_3genE10ELNS1_11target_archE1201ELNS1_3gpuE5ELNS1_3repE0EEENS1_30default_config_static_selectorELNS0_4arch9wavefront6targetE0EEEvSR_: ; @_ZN7rocprim17ROCPRIM_400000_NS6detail17trampoline_kernelINS0_14default_configENS1_32segmented_reduce_config_selectorIN3c108BFloat16EEEZNS1_21segmented_reduce_implIS3_PKS6_PS6_PKiS6_N6hipcub16HIPCUB_304000_NS6detail27convert_result_type_wrapperISA_SB_N2at6native12_GLOBAL__N_110CustomProdEEEEE10hipError_tPvRmT0_T1_jT2_SS_T4_T3_P12ihipStream_tbEUlT_E_NS1_11comp_targetILNS1_3genE10ELNS1_11target_archE1201ELNS1_3gpuE5ELNS1_3repE0EEENS1_30default_config_static_selectorELNS0_4arch9wavefront6targetE0EEEvSR_
; %bb.0:
	.section	.rodata,"a",@progbits
	.p2align	6, 0x0
	.amdhsa_kernel _ZN7rocprim17ROCPRIM_400000_NS6detail17trampoline_kernelINS0_14default_configENS1_32segmented_reduce_config_selectorIN3c108BFloat16EEEZNS1_21segmented_reduce_implIS3_PKS6_PS6_PKiS6_N6hipcub16HIPCUB_304000_NS6detail27convert_result_type_wrapperISA_SB_N2at6native12_GLOBAL__N_110CustomProdEEEEE10hipError_tPvRmT0_T1_jT2_SS_T4_T3_P12ihipStream_tbEUlT_E_NS1_11comp_targetILNS1_3genE10ELNS1_11target_archE1201ELNS1_3gpuE5ELNS1_3repE0EEENS1_30default_config_static_selectorELNS0_4arch9wavefront6targetE0EEEvSR_
		.amdhsa_group_segment_fixed_size 0
		.amdhsa_private_segment_fixed_size 0
		.amdhsa_kernarg_size 48
		.amdhsa_user_sgpr_count 2
		.amdhsa_user_sgpr_dispatch_ptr 0
		.amdhsa_user_sgpr_queue_ptr 0
		.amdhsa_user_sgpr_kernarg_segment_ptr 1
		.amdhsa_user_sgpr_dispatch_id 0
		.amdhsa_user_sgpr_kernarg_preload_length 0
		.amdhsa_user_sgpr_kernarg_preload_offset 0
		.amdhsa_user_sgpr_private_segment_size 0
		.amdhsa_wavefront_size32 1
		.amdhsa_uses_dynamic_stack 0
		.amdhsa_enable_private_segment 0
		.amdhsa_system_sgpr_workgroup_id_x 1
		.amdhsa_system_sgpr_workgroup_id_y 0
		.amdhsa_system_sgpr_workgroup_id_z 0
		.amdhsa_system_sgpr_workgroup_info 0
		.amdhsa_system_vgpr_workitem_id 0
		.amdhsa_next_free_vgpr 1
		.amdhsa_next_free_sgpr 1
		.amdhsa_named_barrier_count 0
		.amdhsa_reserve_vcc 0
		.amdhsa_float_round_mode_32 0
		.amdhsa_float_round_mode_16_64 0
		.amdhsa_float_denorm_mode_32 3
		.amdhsa_float_denorm_mode_16_64 3
		.amdhsa_fp16_overflow 0
		.amdhsa_memory_ordered 1
		.amdhsa_forward_progress 1
		.amdhsa_inst_pref_size 0
		.amdhsa_round_robin_scheduling 0
		.amdhsa_exception_fp_ieee_invalid_op 0
		.amdhsa_exception_fp_denorm_src 0
		.amdhsa_exception_fp_ieee_div_zero 0
		.amdhsa_exception_fp_ieee_overflow 0
		.amdhsa_exception_fp_ieee_underflow 0
		.amdhsa_exception_fp_ieee_inexact 0
		.amdhsa_exception_int_div_zero 0
	.end_amdhsa_kernel
	.section	.text._ZN7rocprim17ROCPRIM_400000_NS6detail17trampoline_kernelINS0_14default_configENS1_32segmented_reduce_config_selectorIN3c108BFloat16EEEZNS1_21segmented_reduce_implIS3_PKS6_PS6_PKiS6_N6hipcub16HIPCUB_304000_NS6detail27convert_result_type_wrapperISA_SB_N2at6native12_GLOBAL__N_110CustomProdEEEEE10hipError_tPvRmT0_T1_jT2_SS_T4_T3_P12ihipStream_tbEUlT_E_NS1_11comp_targetILNS1_3genE10ELNS1_11target_archE1201ELNS1_3gpuE5ELNS1_3repE0EEENS1_30default_config_static_selectorELNS0_4arch9wavefront6targetE0EEEvSR_,"axG",@progbits,_ZN7rocprim17ROCPRIM_400000_NS6detail17trampoline_kernelINS0_14default_configENS1_32segmented_reduce_config_selectorIN3c108BFloat16EEEZNS1_21segmented_reduce_implIS3_PKS6_PS6_PKiS6_N6hipcub16HIPCUB_304000_NS6detail27convert_result_type_wrapperISA_SB_N2at6native12_GLOBAL__N_110CustomProdEEEEE10hipError_tPvRmT0_T1_jT2_SS_T4_T3_P12ihipStream_tbEUlT_E_NS1_11comp_targetILNS1_3genE10ELNS1_11target_archE1201ELNS1_3gpuE5ELNS1_3repE0EEENS1_30default_config_static_selectorELNS0_4arch9wavefront6targetE0EEEvSR_,comdat
.Lfunc_end138:
	.size	_ZN7rocprim17ROCPRIM_400000_NS6detail17trampoline_kernelINS0_14default_configENS1_32segmented_reduce_config_selectorIN3c108BFloat16EEEZNS1_21segmented_reduce_implIS3_PKS6_PS6_PKiS6_N6hipcub16HIPCUB_304000_NS6detail27convert_result_type_wrapperISA_SB_N2at6native12_GLOBAL__N_110CustomProdEEEEE10hipError_tPvRmT0_T1_jT2_SS_T4_T3_P12ihipStream_tbEUlT_E_NS1_11comp_targetILNS1_3genE10ELNS1_11target_archE1201ELNS1_3gpuE5ELNS1_3repE0EEENS1_30default_config_static_selectorELNS0_4arch9wavefront6targetE0EEEvSR_, .Lfunc_end138-_ZN7rocprim17ROCPRIM_400000_NS6detail17trampoline_kernelINS0_14default_configENS1_32segmented_reduce_config_selectorIN3c108BFloat16EEEZNS1_21segmented_reduce_implIS3_PKS6_PS6_PKiS6_N6hipcub16HIPCUB_304000_NS6detail27convert_result_type_wrapperISA_SB_N2at6native12_GLOBAL__N_110CustomProdEEEEE10hipError_tPvRmT0_T1_jT2_SS_T4_T3_P12ihipStream_tbEUlT_E_NS1_11comp_targetILNS1_3genE10ELNS1_11target_archE1201ELNS1_3gpuE5ELNS1_3repE0EEENS1_30default_config_static_selectorELNS0_4arch9wavefront6targetE0EEEvSR_
                                        ; -- End function
	.set _ZN7rocprim17ROCPRIM_400000_NS6detail17trampoline_kernelINS0_14default_configENS1_32segmented_reduce_config_selectorIN3c108BFloat16EEEZNS1_21segmented_reduce_implIS3_PKS6_PS6_PKiS6_N6hipcub16HIPCUB_304000_NS6detail27convert_result_type_wrapperISA_SB_N2at6native12_GLOBAL__N_110CustomProdEEEEE10hipError_tPvRmT0_T1_jT2_SS_T4_T3_P12ihipStream_tbEUlT_E_NS1_11comp_targetILNS1_3genE10ELNS1_11target_archE1201ELNS1_3gpuE5ELNS1_3repE0EEENS1_30default_config_static_selectorELNS0_4arch9wavefront6targetE0EEEvSR_.num_vgpr, 0
	.set _ZN7rocprim17ROCPRIM_400000_NS6detail17trampoline_kernelINS0_14default_configENS1_32segmented_reduce_config_selectorIN3c108BFloat16EEEZNS1_21segmented_reduce_implIS3_PKS6_PS6_PKiS6_N6hipcub16HIPCUB_304000_NS6detail27convert_result_type_wrapperISA_SB_N2at6native12_GLOBAL__N_110CustomProdEEEEE10hipError_tPvRmT0_T1_jT2_SS_T4_T3_P12ihipStream_tbEUlT_E_NS1_11comp_targetILNS1_3genE10ELNS1_11target_archE1201ELNS1_3gpuE5ELNS1_3repE0EEENS1_30default_config_static_selectorELNS0_4arch9wavefront6targetE0EEEvSR_.num_agpr, 0
	.set _ZN7rocprim17ROCPRIM_400000_NS6detail17trampoline_kernelINS0_14default_configENS1_32segmented_reduce_config_selectorIN3c108BFloat16EEEZNS1_21segmented_reduce_implIS3_PKS6_PS6_PKiS6_N6hipcub16HIPCUB_304000_NS6detail27convert_result_type_wrapperISA_SB_N2at6native12_GLOBAL__N_110CustomProdEEEEE10hipError_tPvRmT0_T1_jT2_SS_T4_T3_P12ihipStream_tbEUlT_E_NS1_11comp_targetILNS1_3genE10ELNS1_11target_archE1201ELNS1_3gpuE5ELNS1_3repE0EEENS1_30default_config_static_selectorELNS0_4arch9wavefront6targetE0EEEvSR_.numbered_sgpr, 0
	.set _ZN7rocprim17ROCPRIM_400000_NS6detail17trampoline_kernelINS0_14default_configENS1_32segmented_reduce_config_selectorIN3c108BFloat16EEEZNS1_21segmented_reduce_implIS3_PKS6_PS6_PKiS6_N6hipcub16HIPCUB_304000_NS6detail27convert_result_type_wrapperISA_SB_N2at6native12_GLOBAL__N_110CustomProdEEEEE10hipError_tPvRmT0_T1_jT2_SS_T4_T3_P12ihipStream_tbEUlT_E_NS1_11comp_targetILNS1_3genE10ELNS1_11target_archE1201ELNS1_3gpuE5ELNS1_3repE0EEENS1_30default_config_static_selectorELNS0_4arch9wavefront6targetE0EEEvSR_.num_named_barrier, 0
	.set _ZN7rocprim17ROCPRIM_400000_NS6detail17trampoline_kernelINS0_14default_configENS1_32segmented_reduce_config_selectorIN3c108BFloat16EEEZNS1_21segmented_reduce_implIS3_PKS6_PS6_PKiS6_N6hipcub16HIPCUB_304000_NS6detail27convert_result_type_wrapperISA_SB_N2at6native12_GLOBAL__N_110CustomProdEEEEE10hipError_tPvRmT0_T1_jT2_SS_T4_T3_P12ihipStream_tbEUlT_E_NS1_11comp_targetILNS1_3genE10ELNS1_11target_archE1201ELNS1_3gpuE5ELNS1_3repE0EEENS1_30default_config_static_selectorELNS0_4arch9wavefront6targetE0EEEvSR_.private_seg_size, 0
	.set _ZN7rocprim17ROCPRIM_400000_NS6detail17trampoline_kernelINS0_14default_configENS1_32segmented_reduce_config_selectorIN3c108BFloat16EEEZNS1_21segmented_reduce_implIS3_PKS6_PS6_PKiS6_N6hipcub16HIPCUB_304000_NS6detail27convert_result_type_wrapperISA_SB_N2at6native12_GLOBAL__N_110CustomProdEEEEE10hipError_tPvRmT0_T1_jT2_SS_T4_T3_P12ihipStream_tbEUlT_E_NS1_11comp_targetILNS1_3genE10ELNS1_11target_archE1201ELNS1_3gpuE5ELNS1_3repE0EEENS1_30default_config_static_selectorELNS0_4arch9wavefront6targetE0EEEvSR_.uses_vcc, 0
	.set _ZN7rocprim17ROCPRIM_400000_NS6detail17trampoline_kernelINS0_14default_configENS1_32segmented_reduce_config_selectorIN3c108BFloat16EEEZNS1_21segmented_reduce_implIS3_PKS6_PS6_PKiS6_N6hipcub16HIPCUB_304000_NS6detail27convert_result_type_wrapperISA_SB_N2at6native12_GLOBAL__N_110CustomProdEEEEE10hipError_tPvRmT0_T1_jT2_SS_T4_T3_P12ihipStream_tbEUlT_E_NS1_11comp_targetILNS1_3genE10ELNS1_11target_archE1201ELNS1_3gpuE5ELNS1_3repE0EEENS1_30default_config_static_selectorELNS0_4arch9wavefront6targetE0EEEvSR_.uses_flat_scratch, 0
	.set _ZN7rocprim17ROCPRIM_400000_NS6detail17trampoline_kernelINS0_14default_configENS1_32segmented_reduce_config_selectorIN3c108BFloat16EEEZNS1_21segmented_reduce_implIS3_PKS6_PS6_PKiS6_N6hipcub16HIPCUB_304000_NS6detail27convert_result_type_wrapperISA_SB_N2at6native12_GLOBAL__N_110CustomProdEEEEE10hipError_tPvRmT0_T1_jT2_SS_T4_T3_P12ihipStream_tbEUlT_E_NS1_11comp_targetILNS1_3genE10ELNS1_11target_archE1201ELNS1_3gpuE5ELNS1_3repE0EEENS1_30default_config_static_selectorELNS0_4arch9wavefront6targetE0EEEvSR_.has_dyn_sized_stack, 0
	.set _ZN7rocprim17ROCPRIM_400000_NS6detail17trampoline_kernelINS0_14default_configENS1_32segmented_reduce_config_selectorIN3c108BFloat16EEEZNS1_21segmented_reduce_implIS3_PKS6_PS6_PKiS6_N6hipcub16HIPCUB_304000_NS6detail27convert_result_type_wrapperISA_SB_N2at6native12_GLOBAL__N_110CustomProdEEEEE10hipError_tPvRmT0_T1_jT2_SS_T4_T3_P12ihipStream_tbEUlT_E_NS1_11comp_targetILNS1_3genE10ELNS1_11target_archE1201ELNS1_3gpuE5ELNS1_3repE0EEENS1_30default_config_static_selectorELNS0_4arch9wavefront6targetE0EEEvSR_.has_recursion, 0
	.set _ZN7rocprim17ROCPRIM_400000_NS6detail17trampoline_kernelINS0_14default_configENS1_32segmented_reduce_config_selectorIN3c108BFloat16EEEZNS1_21segmented_reduce_implIS3_PKS6_PS6_PKiS6_N6hipcub16HIPCUB_304000_NS6detail27convert_result_type_wrapperISA_SB_N2at6native12_GLOBAL__N_110CustomProdEEEEE10hipError_tPvRmT0_T1_jT2_SS_T4_T3_P12ihipStream_tbEUlT_E_NS1_11comp_targetILNS1_3genE10ELNS1_11target_archE1201ELNS1_3gpuE5ELNS1_3repE0EEENS1_30default_config_static_selectorELNS0_4arch9wavefront6targetE0EEEvSR_.has_indirect_call, 0
	.section	.AMDGPU.csdata,"",@progbits
; Kernel info:
; codeLenInByte = 0
; TotalNumSgprs: 0
; NumVgprs: 0
; ScratchSize: 0
; MemoryBound: 0
; FloatMode: 240
; IeeeMode: 1
; LDSByteSize: 0 bytes/workgroup (compile time only)
; SGPRBlocks: 0
; VGPRBlocks: 0
; NumSGPRsForWavesPerEU: 1
; NumVGPRsForWavesPerEU: 1
; NamedBarCnt: 0
; Occupancy: 16
; WaveLimiterHint : 0
; COMPUTE_PGM_RSRC2:SCRATCH_EN: 0
; COMPUTE_PGM_RSRC2:USER_SGPR: 2
; COMPUTE_PGM_RSRC2:TRAP_HANDLER: 0
; COMPUTE_PGM_RSRC2:TGID_X_EN: 1
; COMPUTE_PGM_RSRC2:TGID_Y_EN: 0
; COMPUTE_PGM_RSRC2:TGID_Z_EN: 0
; COMPUTE_PGM_RSRC2:TIDIG_COMP_CNT: 0
	.section	.text._ZN7rocprim17ROCPRIM_400000_NS6detail17trampoline_kernelINS0_14default_configENS1_32segmented_reduce_config_selectorIN3c108BFloat16EEEZNS1_21segmented_reduce_implIS3_PKS6_PS6_PKiS6_N6hipcub16HIPCUB_304000_NS6detail27convert_result_type_wrapperISA_SB_N2at6native12_GLOBAL__N_110CustomProdEEEEE10hipError_tPvRmT0_T1_jT2_SS_T4_T3_P12ihipStream_tbEUlT_E_NS1_11comp_targetILNS1_3genE4ELNS1_11target_archE910ELNS1_3gpuE8ELNS1_3repE0EEENS1_30default_config_static_selectorELNS0_4arch9wavefront6targetE0EEEvSR_,"axG",@progbits,_ZN7rocprim17ROCPRIM_400000_NS6detail17trampoline_kernelINS0_14default_configENS1_32segmented_reduce_config_selectorIN3c108BFloat16EEEZNS1_21segmented_reduce_implIS3_PKS6_PS6_PKiS6_N6hipcub16HIPCUB_304000_NS6detail27convert_result_type_wrapperISA_SB_N2at6native12_GLOBAL__N_110CustomProdEEEEE10hipError_tPvRmT0_T1_jT2_SS_T4_T3_P12ihipStream_tbEUlT_E_NS1_11comp_targetILNS1_3genE4ELNS1_11target_archE910ELNS1_3gpuE8ELNS1_3repE0EEENS1_30default_config_static_selectorELNS0_4arch9wavefront6targetE0EEEvSR_,comdat
	.globl	_ZN7rocprim17ROCPRIM_400000_NS6detail17trampoline_kernelINS0_14default_configENS1_32segmented_reduce_config_selectorIN3c108BFloat16EEEZNS1_21segmented_reduce_implIS3_PKS6_PS6_PKiS6_N6hipcub16HIPCUB_304000_NS6detail27convert_result_type_wrapperISA_SB_N2at6native12_GLOBAL__N_110CustomProdEEEEE10hipError_tPvRmT0_T1_jT2_SS_T4_T3_P12ihipStream_tbEUlT_E_NS1_11comp_targetILNS1_3genE4ELNS1_11target_archE910ELNS1_3gpuE8ELNS1_3repE0EEENS1_30default_config_static_selectorELNS0_4arch9wavefront6targetE0EEEvSR_ ; -- Begin function _ZN7rocprim17ROCPRIM_400000_NS6detail17trampoline_kernelINS0_14default_configENS1_32segmented_reduce_config_selectorIN3c108BFloat16EEEZNS1_21segmented_reduce_implIS3_PKS6_PS6_PKiS6_N6hipcub16HIPCUB_304000_NS6detail27convert_result_type_wrapperISA_SB_N2at6native12_GLOBAL__N_110CustomProdEEEEE10hipError_tPvRmT0_T1_jT2_SS_T4_T3_P12ihipStream_tbEUlT_E_NS1_11comp_targetILNS1_3genE4ELNS1_11target_archE910ELNS1_3gpuE8ELNS1_3repE0EEENS1_30default_config_static_selectorELNS0_4arch9wavefront6targetE0EEEvSR_
	.p2align	8
	.type	_ZN7rocprim17ROCPRIM_400000_NS6detail17trampoline_kernelINS0_14default_configENS1_32segmented_reduce_config_selectorIN3c108BFloat16EEEZNS1_21segmented_reduce_implIS3_PKS6_PS6_PKiS6_N6hipcub16HIPCUB_304000_NS6detail27convert_result_type_wrapperISA_SB_N2at6native12_GLOBAL__N_110CustomProdEEEEE10hipError_tPvRmT0_T1_jT2_SS_T4_T3_P12ihipStream_tbEUlT_E_NS1_11comp_targetILNS1_3genE4ELNS1_11target_archE910ELNS1_3gpuE8ELNS1_3repE0EEENS1_30default_config_static_selectorELNS0_4arch9wavefront6targetE0EEEvSR_,@function
_ZN7rocprim17ROCPRIM_400000_NS6detail17trampoline_kernelINS0_14default_configENS1_32segmented_reduce_config_selectorIN3c108BFloat16EEEZNS1_21segmented_reduce_implIS3_PKS6_PS6_PKiS6_N6hipcub16HIPCUB_304000_NS6detail27convert_result_type_wrapperISA_SB_N2at6native12_GLOBAL__N_110CustomProdEEEEE10hipError_tPvRmT0_T1_jT2_SS_T4_T3_P12ihipStream_tbEUlT_E_NS1_11comp_targetILNS1_3genE4ELNS1_11target_archE910ELNS1_3gpuE8ELNS1_3repE0EEENS1_30default_config_static_selectorELNS0_4arch9wavefront6targetE0EEEvSR_: ; @_ZN7rocprim17ROCPRIM_400000_NS6detail17trampoline_kernelINS0_14default_configENS1_32segmented_reduce_config_selectorIN3c108BFloat16EEEZNS1_21segmented_reduce_implIS3_PKS6_PS6_PKiS6_N6hipcub16HIPCUB_304000_NS6detail27convert_result_type_wrapperISA_SB_N2at6native12_GLOBAL__N_110CustomProdEEEEE10hipError_tPvRmT0_T1_jT2_SS_T4_T3_P12ihipStream_tbEUlT_E_NS1_11comp_targetILNS1_3genE4ELNS1_11target_archE910ELNS1_3gpuE8ELNS1_3repE0EEENS1_30default_config_static_selectorELNS0_4arch9wavefront6targetE0EEEvSR_
; %bb.0:
	.section	.rodata,"a",@progbits
	.p2align	6, 0x0
	.amdhsa_kernel _ZN7rocprim17ROCPRIM_400000_NS6detail17trampoline_kernelINS0_14default_configENS1_32segmented_reduce_config_selectorIN3c108BFloat16EEEZNS1_21segmented_reduce_implIS3_PKS6_PS6_PKiS6_N6hipcub16HIPCUB_304000_NS6detail27convert_result_type_wrapperISA_SB_N2at6native12_GLOBAL__N_110CustomProdEEEEE10hipError_tPvRmT0_T1_jT2_SS_T4_T3_P12ihipStream_tbEUlT_E_NS1_11comp_targetILNS1_3genE4ELNS1_11target_archE910ELNS1_3gpuE8ELNS1_3repE0EEENS1_30default_config_static_selectorELNS0_4arch9wavefront6targetE0EEEvSR_
		.amdhsa_group_segment_fixed_size 0
		.amdhsa_private_segment_fixed_size 0
		.amdhsa_kernarg_size 48
		.amdhsa_user_sgpr_count 2
		.amdhsa_user_sgpr_dispatch_ptr 0
		.amdhsa_user_sgpr_queue_ptr 0
		.amdhsa_user_sgpr_kernarg_segment_ptr 1
		.amdhsa_user_sgpr_dispatch_id 0
		.amdhsa_user_sgpr_kernarg_preload_length 0
		.amdhsa_user_sgpr_kernarg_preload_offset 0
		.amdhsa_user_sgpr_private_segment_size 0
		.amdhsa_wavefront_size32 1
		.amdhsa_uses_dynamic_stack 0
		.amdhsa_enable_private_segment 0
		.amdhsa_system_sgpr_workgroup_id_x 1
		.amdhsa_system_sgpr_workgroup_id_y 0
		.amdhsa_system_sgpr_workgroup_id_z 0
		.amdhsa_system_sgpr_workgroup_info 0
		.amdhsa_system_vgpr_workitem_id 0
		.amdhsa_next_free_vgpr 1
		.amdhsa_next_free_sgpr 1
		.amdhsa_named_barrier_count 0
		.amdhsa_reserve_vcc 0
		.amdhsa_float_round_mode_32 0
		.amdhsa_float_round_mode_16_64 0
		.amdhsa_float_denorm_mode_32 3
		.amdhsa_float_denorm_mode_16_64 3
		.amdhsa_fp16_overflow 0
		.amdhsa_memory_ordered 1
		.amdhsa_forward_progress 1
		.amdhsa_inst_pref_size 0
		.amdhsa_round_robin_scheduling 0
		.amdhsa_exception_fp_ieee_invalid_op 0
		.amdhsa_exception_fp_denorm_src 0
		.amdhsa_exception_fp_ieee_div_zero 0
		.amdhsa_exception_fp_ieee_overflow 0
		.amdhsa_exception_fp_ieee_underflow 0
		.amdhsa_exception_fp_ieee_inexact 0
		.amdhsa_exception_int_div_zero 0
	.end_amdhsa_kernel
	.section	.text._ZN7rocprim17ROCPRIM_400000_NS6detail17trampoline_kernelINS0_14default_configENS1_32segmented_reduce_config_selectorIN3c108BFloat16EEEZNS1_21segmented_reduce_implIS3_PKS6_PS6_PKiS6_N6hipcub16HIPCUB_304000_NS6detail27convert_result_type_wrapperISA_SB_N2at6native12_GLOBAL__N_110CustomProdEEEEE10hipError_tPvRmT0_T1_jT2_SS_T4_T3_P12ihipStream_tbEUlT_E_NS1_11comp_targetILNS1_3genE4ELNS1_11target_archE910ELNS1_3gpuE8ELNS1_3repE0EEENS1_30default_config_static_selectorELNS0_4arch9wavefront6targetE0EEEvSR_,"axG",@progbits,_ZN7rocprim17ROCPRIM_400000_NS6detail17trampoline_kernelINS0_14default_configENS1_32segmented_reduce_config_selectorIN3c108BFloat16EEEZNS1_21segmented_reduce_implIS3_PKS6_PS6_PKiS6_N6hipcub16HIPCUB_304000_NS6detail27convert_result_type_wrapperISA_SB_N2at6native12_GLOBAL__N_110CustomProdEEEEE10hipError_tPvRmT0_T1_jT2_SS_T4_T3_P12ihipStream_tbEUlT_E_NS1_11comp_targetILNS1_3genE4ELNS1_11target_archE910ELNS1_3gpuE8ELNS1_3repE0EEENS1_30default_config_static_selectorELNS0_4arch9wavefront6targetE0EEEvSR_,comdat
.Lfunc_end139:
	.size	_ZN7rocprim17ROCPRIM_400000_NS6detail17trampoline_kernelINS0_14default_configENS1_32segmented_reduce_config_selectorIN3c108BFloat16EEEZNS1_21segmented_reduce_implIS3_PKS6_PS6_PKiS6_N6hipcub16HIPCUB_304000_NS6detail27convert_result_type_wrapperISA_SB_N2at6native12_GLOBAL__N_110CustomProdEEEEE10hipError_tPvRmT0_T1_jT2_SS_T4_T3_P12ihipStream_tbEUlT_E_NS1_11comp_targetILNS1_3genE4ELNS1_11target_archE910ELNS1_3gpuE8ELNS1_3repE0EEENS1_30default_config_static_selectorELNS0_4arch9wavefront6targetE0EEEvSR_, .Lfunc_end139-_ZN7rocprim17ROCPRIM_400000_NS6detail17trampoline_kernelINS0_14default_configENS1_32segmented_reduce_config_selectorIN3c108BFloat16EEEZNS1_21segmented_reduce_implIS3_PKS6_PS6_PKiS6_N6hipcub16HIPCUB_304000_NS6detail27convert_result_type_wrapperISA_SB_N2at6native12_GLOBAL__N_110CustomProdEEEEE10hipError_tPvRmT0_T1_jT2_SS_T4_T3_P12ihipStream_tbEUlT_E_NS1_11comp_targetILNS1_3genE4ELNS1_11target_archE910ELNS1_3gpuE8ELNS1_3repE0EEENS1_30default_config_static_selectorELNS0_4arch9wavefront6targetE0EEEvSR_
                                        ; -- End function
	.set _ZN7rocprim17ROCPRIM_400000_NS6detail17trampoline_kernelINS0_14default_configENS1_32segmented_reduce_config_selectorIN3c108BFloat16EEEZNS1_21segmented_reduce_implIS3_PKS6_PS6_PKiS6_N6hipcub16HIPCUB_304000_NS6detail27convert_result_type_wrapperISA_SB_N2at6native12_GLOBAL__N_110CustomProdEEEEE10hipError_tPvRmT0_T1_jT2_SS_T4_T3_P12ihipStream_tbEUlT_E_NS1_11comp_targetILNS1_3genE4ELNS1_11target_archE910ELNS1_3gpuE8ELNS1_3repE0EEENS1_30default_config_static_selectorELNS0_4arch9wavefront6targetE0EEEvSR_.num_vgpr, 0
	.set _ZN7rocprim17ROCPRIM_400000_NS6detail17trampoline_kernelINS0_14default_configENS1_32segmented_reduce_config_selectorIN3c108BFloat16EEEZNS1_21segmented_reduce_implIS3_PKS6_PS6_PKiS6_N6hipcub16HIPCUB_304000_NS6detail27convert_result_type_wrapperISA_SB_N2at6native12_GLOBAL__N_110CustomProdEEEEE10hipError_tPvRmT0_T1_jT2_SS_T4_T3_P12ihipStream_tbEUlT_E_NS1_11comp_targetILNS1_3genE4ELNS1_11target_archE910ELNS1_3gpuE8ELNS1_3repE0EEENS1_30default_config_static_selectorELNS0_4arch9wavefront6targetE0EEEvSR_.num_agpr, 0
	.set _ZN7rocprim17ROCPRIM_400000_NS6detail17trampoline_kernelINS0_14default_configENS1_32segmented_reduce_config_selectorIN3c108BFloat16EEEZNS1_21segmented_reduce_implIS3_PKS6_PS6_PKiS6_N6hipcub16HIPCUB_304000_NS6detail27convert_result_type_wrapperISA_SB_N2at6native12_GLOBAL__N_110CustomProdEEEEE10hipError_tPvRmT0_T1_jT2_SS_T4_T3_P12ihipStream_tbEUlT_E_NS1_11comp_targetILNS1_3genE4ELNS1_11target_archE910ELNS1_3gpuE8ELNS1_3repE0EEENS1_30default_config_static_selectorELNS0_4arch9wavefront6targetE0EEEvSR_.numbered_sgpr, 0
	.set _ZN7rocprim17ROCPRIM_400000_NS6detail17trampoline_kernelINS0_14default_configENS1_32segmented_reduce_config_selectorIN3c108BFloat16EEEZNS1_21segmented_reduce_implIS3_PKS6_PS6_PKiS6_N6hipcub16HIPCUB_304000_NS6detail27convert_result_type_wrapperISA_SB_N2at6native12_GLOBAL__N_110CustomProdEEEEE10hipError_tPvRmT0_T1_jT2_SS_T4_T3_P12ihipStream_tbEUlT_E_NS1_11comp_targetILNS1_3genE4ELNS1_11target_archE910ELNS1_3gpuE8ELNS1_3repE0EEENS1_30default_config_static_selectorELNS0_4arch9wavefront6targetE0EEEvSR_.num_named_barrier, 0
	.set _ZN7rocprim17ROCPRIM_400000_NS6detail17trampoline_kernelINS0_14default_configENS1_32segmented_reduce_config_selectorIN3c108BFloat16EEEZNS1_21segmented_reduce_implIS3_PKS6_PS6_PKiS6_N6hipcub16HIPCUB_304000_NS6detail27convert_result_type_wrapperISA_SB_N2at6native12_GLOBAL__N_110CustomProdEEEEE10hipError_tPvRmT0_T1_jT2_SS_T4_T3_P12ihipStream_tbEUlT_E_NS1_11comp_targetILNS1_3genE4ELNS1_11target_archE910ELNS1_3gpuE8ELNS1_3repE0EEENS1_30default_config_static_selectorELNS0_4arch9wavefront6targetE0EEEvSR_.private_seg_size, 0
	.set _ZN7rocprim17ROCPRIM_400000_NS6detail17trampoline_kernelINS0_14default_configENS1_32segmented_reduce_config_selectorIN3c108BFloat16EEEZNS1_21segmented_reduce_implIS3_PKS6_PS6_PKiS6_N6hipcub16HIPCUB_304000_NS6detail27convert_result_type_wrapperISA_SB_N2at6native12_GLOBAL__N_110CustomProdEEEEE10hipError_tPvRmT0_T1_jT2_SS_T4_T3_P12ihipStream_tbEUlT_E_NS1_11comp_targetILNS1_3genE4ELNS1_11target_archE910ELNS1_3gpuE8ELNS1_3repE0EEENS1_30default_config_static_selectorELNS0_4arch9wavefront6targetE0EEEvSR_.uses_vcc, 0
	.set _ZN7rocprim17ROCPRIM_400000_NS6detail17trampoline_kernelINS0_14default_configENS1_32segmented_reduce_config_selectorIN3c108BFloat16EEEZNS1_21segmented_reduce_implIS3_PKS6_PS6_PKiS6_N6hipcub16HIPCUB_304000_NS6detail27convert_result_type_wrapperISA_SB_N2at6native12_GLOBAL__N_110CustomProdEEEEE10hipError_tPvRmT0_T1_jT2_SS_T4_T3_P12ihipStream_tbEUlT_E_NS1_11comp_targetILNS1_3genE4ELNS1_11target_archE910ELNS1_3gpuE8ELNS1_3repE0EEENS1_30default_config_static_selectorELNS0_4arch9wavefront6targetE0EEEvSR_.uses_flat_scratch, 0
	.set _ZN7rocprim17ROCPRIM_400000_NS6detail17trampoline_kernelINS0_14default_configENS1_32segmented_reduce_config_selectorIN3c108BFloat16EEEZNS1_21segmented_reduce_implIS3_PKS6_PS6_PKiS6_N6hipcub16HIPCUB_304000_NS6detail27convert_result_type_wrapperISA_SB_N2at6native12_GLOBAL__N_110CustomProdEEEEE10hipError_tPvRmT0_T1_jT2_SS_T4_T3_P12ihipStream_tbEUlT_E_NS1_11comp_targetILNS1_3genE4ELNS1_11target_archE910ELNS1_3gpuE8ELNS1_3repE0EEENS1_30default_config_static_selectorELNS0_4arch9wavefront6targetE0EEEvSR_.has_dyn_sized_stack, 0
	.set _ZN7rocprim17ROCPRIM_400000_NS6detail17trampoline_kernelINS0_14default_configENS1_32segmented_reduce_config_selectorIN3c108BFloat16EEEZNS1_21segmented_reduce_implIS3_PKS6_PS6_PKiS6_N6hipcub16HIPCUB_304000_NS6detail27convert_result_type_wrapperISA_SB_N2at6native12_GLOBAL__N_110CustomProdEEEEE10hipError_tPvRmT0_T1_jT2_SS_T4_T3_P12ihipStream_tbEUlT_E_NS1_11comp_targetILNS1_3genE4ELNS1_11target_archE910ELNS1_3gpuE8ELNS1_3repE0EEENS1_30default_config_static_selectorELNS0_4arch9wavefront6targetE0EEEvSR_.has_recursion, 0
	.set _ZN7rocprim17ROCPRIM_400000_NS6detail17trampoline_kernelINS0_14default_configENS1_32segmented_reduce_config_selectorIN3c108BFloat16EEEZNS1_21segmented_reduce_implIS3_PKS6_PS6_PKiS6_N6hipcub16HIPCUB_304000_NS6detail27convert_result_type_wrapperISA_SB_N2at6native12_GLOBAL__N_110CustomProdEEEEE10hipError_tPvRmT0_T1_jT2_SS_T4_T3_P12ihipStream_tbEUlT_E_NS1_11comp_targetILNS1_3genE4ELNS1_11target_archE910ELNS1_3gpuE8ELNS1_3repE0EEENS1_30default_config_static_selectorELNS0_4arch9wavefront6targetE0EEEvSR_.has_indirect_call, 0
	.section	.AMDGPU.csdata,"",@progbits
; Kernel info:
; codeLenInByte = 0
; TotalNumSgprs: 0
; NumVgprs: 0
; ScratchSize: 0
; MemoryBound: 0
; FloatMode: 240
; IeeeMode: 1
; LDSByteSize: 0 bytes/workgroup (compile time only)
; SGPRBlocks: 0
; VGPRBlocks: 0
; NumSGPRsForWavesPerEU: 1
; NumVGPRsForWavesPerEU: 1
; NamedBarCnt: 0
; Occupancy: 16
; WaveLimiterHint : 0
; COMPUTE_PGM_RSRC2:SCRATCH_EN: 0
; COMPUTE_PGM_RSRC2:USER_SGPR: 2
; COMPUTE_PGM_RSRC2:TRAP_HANDLER: 0
; COMPUTE_PGM_RSRC2:TGID_X_EN: 1
; COMPUTE_PGM_RSRC2:TGID_Y_EN: 0
; COMPUTE_PGM_RSRC2:TGID_Z_EN: 0
; COMPUTE_PGM_RSRC2:TIDIG_COMP_CNT: 0
	.section	.text._ZN7rocprim17ROCPRIM_400000_NS6detail17trampoline_kernelINS0_14default_configENS1_32segmented_reduce_config_selectorIN3c108BFloat16EEEZNS1_21segmented_reduce_implIS3_PKS6_PS6_PKiS6_N6hipcub16HIPCUB_304000_NS6detail27convert_result_type_wrapperISA_SB_N2at6native12_GLOBAL__N_110CustomProdEEEEE10hipError_tPvRmT0_T1_jT2_SS_T4_T3_P12ihipStream_tbEUlT_E_NS1_11comp_targetILNS1_3genE3ELNS1_11target_archE908ELNS1_3gpuE7ELNS1_3repE0EEENS1_30default_config_static_selectorELNS0_4arch9wavefront6targetE0EEEvSR_,"axG",@progbits,_ZN7rocprim17ROCPRIM_400000_NS6detail17trampoline_kernelINS0_14default_configENS1_32segmented_reduce_config_selectorIN3c108BFloat16EEEZNS1_21segmented_reduce_implIS3_PKS6_PS6_PKiS6_N6hipcub16HIPCUB_304000_NS6detail27convert_result_type_wrapperISA_SB_N2at6native12_GLOBAL__N_110CustomProdEEEEE10hipError_tPvRmT0_T1_jT2_SS_T4_T3_P12ihipStream_tbEUlT_E_NS1_11comp_targetILNS1_3genE3ELNS1_11target_archE908ELNS1_3gpuE7ELNS1_3repE0EEENS1_30default_config_static_selectorELNS0_4arch9wavefront6targetE0EEEvSR_,comdat
	.globl	_ZN7rocprim17ROCPRIM_400000_NS6detail17trampoline_kernelINS0_14default_configENS1_32segmented_reduce_config_selectorIN3c108BFloat16EEEZNS1_21segmented_reduce_implIS3_PKS6_PS6_PKiS6_N6hipcub16HIPCUB_304000_NS6detail27convert_result_type_wrapperISA_SB_N2at6native12_GLOBAL__N_110CustomProdEEEEE10hipError_tPvRmT0_T1_jT2_SS_T4_T3_P12ihipStream_tbEUlT_E_NS1_11comp_targetILNS1_3genE3ELNS1_11target_archE908ELNS1_3gpuE7ELNS1_3repE0EEENS1_30default_config_static_selectorELNS0_4arch9wavefront6targetE0EEEvSR_ ; -- Begin function _ZN7rocprim17ROCPRIM_400000_NS6detail17trampoline_kernelINS0_14default_configENS1_32segmented_reduce_config_selectorIN3c108BFloat16EEEZNS1_21segmented_reduce_implIS3_PKS6_PS6_PKiS6_N6hipcub16HIPCUB_304000_NS6detail27convert_result_type_wrapperISA_SB_N2at6native12_GLOBAL__N_110CustomProdEEEEE10hipError_tPvRmT0_T1_jT2_SS_T4_T3_P12ihipStream_tbEUlT_E_NS1_11comp_targetILNS1_3genE3ELNS1_11target_archE908ELNS1_3gpuE7ELNS1_3repE0EEENS1_30default_config_static_selectorELNS0_4arch9wavefront6targetE0EEEvSR_
	.p2align	8
	.type	_ZN7rocprim17ROCPRIM_400000_NS6detail17trampoline_kernelINS0_14default_configENS1_32segmented_reduce_config_selectorIN3c108BFloat16EEEZNS1_21segmented_reduce_implIS3_PKS6_PS6_PKiS6_N6hipcub16HIPCUB_304000_NS6detail27convert_result_type_wrapperISA_SB_N2at6native12_GLOBAL__N_110CustomProdEEEEE10hipError_tPvRmT0_T1_jT2_SS_T4_T3_P12ihipStream_tbEUlT_E_NS1_11comp_targetILNS1_3genE3ELNS1_11target_archE908ELNS1_3gpuE7ELNS1_3repE0EEENS1_30default_config_static_selectorELNS0_4arch9wavefront6targetE0EEEvSR_,@function
_ZN7rocprim17ROCPRIM_400000_NS6detail17trampoline_kernelINS0_14default_configENS1_32segmented_reduce_config_selectorIN3c108BFloat16EEEZNS1_21segmented_reduce_implIS3_PKS6_PS6_PKiS6_N6hipcub16HIPCUB_304000_NS6detail27convert_result_type_wrapperISA_SB_N2at6native12_GLOBAL__N_110CustomProdEEEEE10hipError_tPvRmT0_T1_jT2_SS_T4_T3_P12ihipStream_tbEUlT_E_NS1_11comp_targetILNS1_3genE3ELNS1_11target_archE908ELNS1_3gpuE7ELNS1_3repE0EEENS1_30default_config_static_selectorELNS0_4arch9wavefront6targetE0EEEvSR_: ; @_ZN7rocprim17ROCPRIM_400000_NS6detail17trampoline_kernelINS0_14default_configENS1_32segmented_reduce_config_selectorIN3c108BFloat16EEEZNS1_21segmented_reduce_implIS3_PKS6_PS6_PKiS6_N6hipcub16HIPCUB_304000_NS6detail27convert_result_type_wrapperISA_SB_N2at6native12_GLOBAL__N_110CustomProdEEEEE10hipError_tPvRmT0_T1_jT2_SS_T4_T3_P12ihipStream_tbEUlT_E_NS1_11comp_targetILNS1_3genE3ELNS1_11target_archE908ELNS1_3gpuE7ELNS1_3repE0EEENS1_30default_config_static_selectorELNS0_4arch9wavefront6targetE0EEEvSR_
; %bb.0:
	.section	.rodata,"a",@progbits
	.p2align	6, 0x0
	.amdhsa_kernel _ZN7rocprim17ROCPRIM_400000_NS6detail17trampoline_kernelINS0_14default_configENS1_32segmented_reduce_config_selectorIN3c108BFloat16EEEZNS1_21segmented_reduce_implIS3_PKS6_PS6_PKiS6_N6hipcub16HIPCUB_304000_NS6detail27convert_result_type_wrapperISA_SB_N2at6native12_GLOBAL__N_110CustomProdEEEEE10hipError_tPvRmT0_T1_jT2_SS_T4_T3_P12ihipStream_tbEUlT_E_NS1_11comp_targetILNS1_3genE3ELNS1_11target_archE908ELNS1_3gpuE7ELNS1_3repE0EEENS1_30default_config_static_selectorELNS0_4arch9wavefront6targetE0EEEvSR_
		.amdhsa_group_segment_fixed_size 0
		.amdhsa_private_segment_fixed_size 0
		.amdhsa_kernarg_size 48
		.amdhsa_user_sgpr_count 2
		.amdhsa_user_sgpr_dispatch_ptr 0
		.amdhsa_user_sgpr_queue_ptr 0
		.amdhsa_user_sgpr_kernarg_segment_ptr 1
		.amdhsa_user_sgpr_dispatch_id 0
		.amdhsa_user_sgpr_kernarg_preload_length 0
		.amdhsa_user_sgpr_kernarg_preload_offset 0
		.amdhsa_user_sgpr_private_segment_size 0
		.amdhsa_wavefront_size32 1
		.amdhsa_uses_dynamic_stack 0
		.amdhsa_enable_private_segment 0
		.amdhsa_system_sgpr_workgroup_id_x 1
		.amdhsa_system_sgpr_workgroup_id_y 0
		.amdhsa_system_sgpr_workgroup_id_z 0
		.amdhsa_system_sgpr_workgroup_info 0
		.amdhsa_system_vgpr_workitem_id 0
		.amdhsa_next_free_vgpr 1
		.amdhsa_next_free_sgpr 1
		.amdhsa_named_barrier_count 0
		.amdhsa_reserve_vcc 0
		.amdhsa_float_round_mode_32 0
		.amdhsa_float_round_mode_16_64 0
		.amdhsa_float_denorm_mode_32 3
		.amdhsa_float_denorm_mode_16_64 3
		.amdhsa_fp16_overflow 0
		.amdhsa_memory_ordered 1
		.amdhsa_forward_progress 1
		.amdhsa_inst_pref_size 0
		.amdhsa_round_robin_scheduling 0
		.amdhsa_exception_fp_ieee_invalid_op 0
		.amdhsa_exception_fp_denorm_src 0
		.amdhsa_exception_fp_ieee_div_zero 0
		.amdhsa_exception_fp_ieee_overflow 0
		.amdhsa_exception_fp_ieee_underflow 0
		.amdhsa_exception_fp_ieee_inexact 0
		.amdhsa_exception_int_div_zero 0
	.end_amdhsa_kernel
	.section	.text._ZN7rocprim17ROCPRIM_400000_NS6detail17trampoline_kernelINS0_14default_configENS1_32segmented_reduce_config_selectorIN3c108BFloat16EEEZNS1_21segmented_reduce_implIS3_PKS6_PS6_PKiS6_N6hipcub16HIPCUB_304000_NS6detail27convert_result_type_wrapperISA_SB_N2at6native12_GLOBAL__N_110CustomProdEEEEE10hipError_tPvRmT0_T1_jT2_SS_T4_T3_P12ihipStream_tbEUlT_E_NS1_11comp_targetILNS1_3genE3ELNS1_11target_archE908ELNS1_3gpuE7ELNS1_3repE0EEENS1_30default_config_static_selectorELNS0_4arch9wavefront6targetE0EEEvSR_,"axG",@progbits,_ZN7rocprim17ROCPRIM_400000_NS6detail17trampoline_kernelINS0_14default_configENS1_32segmented_reduce_config_selectorIN3c108BFloat16EEEZNS1_21segmented_reduce_implIS3_PKS6_PS6_PKiS6_N6hipcub16HIPCUB_304000_NS6detail27convert_result_type_wrapperISA_SB_N2at6native12_GLOBAL__N_110CustomProdEEEEE10hipError_tPvRmT0_T1_jT2_SS_T4_T3_P12ihipStream_tbEUlT_E_NS1_11comp_targetILNS1_3genE3ELNS1_11target_archE908ELNS1_3gpuE7ELNS1_3repE0EEENS1_30default_config_static_selectorELNS0_4arch9wavefront6targetE0EEEvSR_,comdat
.Lfunc_end140:
	.size	_ZN7rocprim17ROCPRIM_400000_NS6detail17trampoline_kernelINS0_14default_configENS1_32segmented_reduce_config_selectorIN3c108BFloat16EEEZNS1_21segmented_reduce_implIS3_PKS6_PS6_PKiS6_N6hipcub16HIPCUB_304000_NS6detail27convert_result_type_wrapperISA_SB_N2at6native12_GLOBAL__N_110CustomProdEEEEE10hipError_tPvRmT0_T1_jT2_SS_T4_T3_P12ihipStream_tbEUlT_E_NS1_11comp_targetILNS1_3genE3ELNS1_11target_archE908ELNS1_3gpuE7ELNS1_3repE0EEENS1_30default_config_static_selectorELNS0_4arch9wavefront6targetE0EEEvSR_, .Lfunc_end140-_ZN7rocprim17ROCPRIM_400000_NS6detail17trampoline_kernelINS0_14default_configENS1_32segmented_reduce_config_selectorIN3c108BFloat16EEEZNS1_21segmented_reduce_implIS3_PKS6_PS6_PKiS6_N6hipcub16HIPCUB_304000_NS6detail27convert_result_type_wrapperISA_SB_N2at6native12_GLOBAL__N_110CustomProdEEEEE10hipError_tPvRmT0_T1_jT2_SS_T4_T3_P12ihipStream_tbEUlT_E_NS1_11comp_targetILNS1_3genE3ELNS1_11target_archE908ELNS1_3gpuE7ELNS1_3repE0EEENS1_30default_config_static_selectorELNS0_4arch9wavefront6targetE0EEEvSR_
                                        ; -- End function
	.set _ZN7rocprim17ROCPRIM_400000_NS6detail17trampoline_kernelINS0_14default_configENS1_32segmented_reduce_config_selectorIN3c108BFloat16EEEZNS1_21segmented_reduce_implIS3_PKS6_PS6_PKiS6_N6hipcub16HIPCUB_304000_NS6detail27convert_result_type_wrapperISA_SB_N2at6native12_GLOBAL__N_110CustomProdEEEEE10hipError_tPvRmT0_T1_jT2_SS_T4_T3_P12ihipStream_tbEUlT_E_NS1_11comp_targetILNS1_3genE3ELNS1_11target_archE908ELNS1_3gpuE7ELNS1_3repE0EEENS1_30default_config_static_selectorELNS0_4arch9wavefront6targetE0EEEvSR_.num_vgpr, 0
	.set _ZN7rocprim17ROCPRIM_400000_NS6detail17trampoline_kernelINS0_14default_configENS1_32segmented_reduce_config_selectorIN3c108BFloat16EEEZNS1_21segmented_reduce_implIS3_PKS6_PS6_PKiS6_N6hipcub16HIPCUB_304000_NS6detail27convert_result_type_wrapperISA_SB_N2at6native12_GLOBAL__N_110CustomProdEEEEE10hipError_tPvRmT0_T1_jT2_SS_T4_T3_P12ihipStream_tbEUlT_E_NS1_11comp_targetILNS1_3genE3ELNS1_11target_archE908ELNS1_3gpuE7ELNS1_3repE0EEENS1_30default_config_static_selectorELNS0_4arch9wavefront6targetE0EEEvSR_.num_agpr, 0
	.set _ZN7rocprim17ROCPRIM_400000_NS6detail17trampoline_kernelINS0_14default_configENS1_32segmented_reduce_config_selectorIN3c108BFloat16EEEZNS1_21segmented_reduce_implIS3_PKS6_PS6_PKiS6_N6hipcub16HIPCUB_304000_NS6detail27convert_result_type_wrapperISA_SB_N2at6native12_GLOBAL__N_110CustomProdEEEEE10hipError_tPvRmT0_T1_jT2_SS_T4_T3_P12ihipStream_tbEUlT_E_NS1_11comp_targetILNS1_3genE3ELNS1_11target_archE908ELNS1_3gpuE7ELNS1_3repE0EEENS1_30default_config_static_selectorELNS0_4arch9wavefront6targetE0EEEvSR_.numbered_sgpr, 0
	.set _ZN7rocprim17ROCPRIM_400000_NS6detail17trampoline_kernelINS0_14default_configENS1_32segmented_reduce_config_selectorIN3c108BFloat16EEEZNS1_21segmented_reduce_implIS3_PKS6_PS6_PKiS6_N6hipcub16HIPCUB_304000_NS6detail27convert_result_type_wrapperISA_SB_N2at6native12_GLOBAL__N_110CustomProdEEEEE10hipError_tPvRmT0_T1_jT2_SS_T4_T3_P12ihipStream_tbEUlT_E_NS1_11comp_targetILNS1_3genE3ELNS1_11target_archE908ELNS1_3gpuE7ELNS1_3repE0EEENS1_30default_config_static_selectorELNS0_4arch9wavefront6targetE0EEEvSR_.num_named_barrier, 0
	.set _ZN7rocprim17ROCPRIM_400000_NS6detail17trampoline_kernelINS0_14default_configENS1_32segmented_reduce_config_selectorIN3c108BFloat16EEEZNS1_21segmented_reduce_implIS3_PKS6_PS6_PKiS6_N6hipcub16HIPCUB_304000_NS6detail27convert_result_type_wrapperISA_SB_N2at6native12_GLOBAL__N_110CustomProdEEEEE10hipError_tPvRmT0_T1_jT2_SS_T4_T3_P12ihipStream_tbEUlT_E_NS1_11comp_targetILNS1_3genE3ELNS1_11target_archE908ELNS1_3gpuE7ELNS1_3repE0EEENS1_30default_config_static_selectorELNS0_4arch9wavefront6targetE0EEEvSR_.private_seg_size, 0
	.set _ZN7rocprim17ROCPRIM_400000_NS6detail17trampoline_kernelINS0_14default_configENS1_32segmented_reduce_config_selectorIN3c108BFloat16EEEZNS1_21segmented_reduce_implIS3_PKS6_PS6_PKiS6_N6hipcub16HIPCUB_304000_NS6detail27convert_result_type_wrapperISA_SB_N2at6native12_GLOBAL__N_110CustomProdEEEEE10hipError_tPvRmT0_T1_jT2_SS_T4_T3_P12ihipStream_tbEUlT_E_NS1_11comp_targetILNS1_3genE3ELNS1_11target_archE908ELNS1_3gpuE7ELNS1_3repE0EEENS1_30default_config_static_selectorELNS0_4arch9wavefront6targetE0EEEvSR_.uses_vcc, 0
	.set _ZN7rocprim17ROCPRIM_400000_NS6detail17trampoline_kernelINS0_14default_configENS1_32segmented_reduce_config_selectorIN3c108BFloat16EEEZNS1_21segmented_reduce_implIS3_PKS6_PS6_PKiS6_N6hipcub16HIPCUB_304000_NS6detail27convert_result_type_wrapperISA_SB_N2at6native12_GLOBAL__N_110CustomProdEEEEE10hipError_tPvRmT0_T1_jT2_SS_T4_T3_P12ihipStream_tbEUlT_E_NS1_11comp_targetILNS1_3genE3ELNS1_11target_archE908ELNS1_3gpuE7ELNS1_3repE0EEENS1_30default_config_static_selectorELNS0_4arch9wavefront6targetE0EEEvSR_.uses_flat_scratch, 0
	.set _ZN7rocprim17ROCPRIM_400000_NS6detail17trampoline_kernelINS0_14default_configENS1_32segmented_reduce_config_selectorIN3c108BFloat16EEEZNS1_21segmented_reduce_implIS3_PKS6_PS6_PKiS6_N6hipcub16HIPCUB_304000_NS6detail27convert_result_type_wrapperISA_SB_N2at6native12_GLOBAL__N_110CustomProdEEEEE10hipError_tPvRmT0_T1_jT2_SS_T4_T3_P12ihipStream_tbEUlT_E_NS1_11comp_targetILNS1_3genE3ELNS1_11target_archE908ELNS1_3gpuE7ELNS1_3repE0EEENS1_30default_config_static_selectorELNS0_4arch9wavefront6targetE0EEEvSR_.has_dyn_sized_stack, 0
	.set _ZN7rocprim17ROCPRIM_400000_NS6detail17trampoline_kernelINS0_14default_configENS1_32segmented_reduce_config_selectorIN3c108BFloat16EEEZNS1_21segmented_reduce_implIS3_PKS6_PS6_PKiS6_N6hipcub16HIPCUB_304000_NS6detail27convert_result_type_wrapperISA_SB_N2at6native12_GLOBAL__N_110CustomProdEEEEE10hipError_tPvRmT0_T1_jT2_SS_T4_T3_P12ihipStream_tbEUlT_E_NS1_11comp_targetILNS1_3genE3ELNS1_11target_archE908ELNS1_3gpuE7ELNS1_3repE0EEENS1_30default_config_static_selectorELNS0_4arch9wavefront6targetE0EEEvSR_.has_recursion, 0
	.set _ZN7rocprim17ROCPRIM_400000_NS6detail17trampoline_kernelINS0_14default_configENS1_32segmented_reduce_config_selectorIN3c108BFloat16EEEZNS1_21segmented_reduce_implIS3_PKS6_PS6_PKiS6_N6hipcub16HIPCUB_304000_NS6detail27convert_result_type_wrapperISA_SB_N2at6native12_GLOBAL__N_110CustomProdEEEEE10hipError_tPvRmT0_T1_jT2_SS_T4_T3_P12ihipStream_tbEUlT_E_NS1_11comp_targetILNS1_3genE3ELNS1_11target_archE908ELNS1_3gpuE7ELNS1_3repE0EEENS1_30default_config_static_selectorELNS0_4arch9wavefront6targetE0EEEvSR_.has_indirect_call, 0
	.section	.AMDGPU.csdata,"",@progbits
; Kernel info:
; codeLenInByte = 0
; TotalNumSgprs: 0
; NumVgprs: 0
; ScratchSize: 0
; MemoryBound: 0
; FloatMode: 240
; IeeeMode: 1
; LDSByteSize: 0 bytes/workgroup (compile time only)
; SGPRBlocks: 0
; VGPRBlocks: 0
; NumSGPRsForWavesPerEU: 1
; NumVGPRsForWavesPerEU: 1
; NamedBarCnt: 0
; Occupancy: 16
; WaveLimiterHint : 0
; COMPUTE_PGM_RSRC2:SCRATCH_EN: 0
; COMPUTE_PGM_RSRC2:USER_SGPR: 2
; COMPUTE_PGM_RSRC2:TRAP_HANDLER: 0
; COMPUTE_PGM_RSRC2:TGID_X_EN: 1
; COMPUTE_PGM_RSRC2:TGID_Y_EN: 0
; COMPUTE_PGM_RSRC2:TGID_Z_EN: 0
; COMPUTE_PGM_RSRC2:TIDIG_COMP_CNT: 0
	.section	.text._ZN7rocprim17ROCPRIM_400000_NS6detail17trampoline_kernelINS0_14default_configENS1_32segmented_reduce_config_selectorIN3c108BFloat16EEEZNS1_21segmented_reduce_implIS3_PKS6_PS6_PKiS6_N6hipcub16HIPCUB_304000_NS6detail27convert_result_type_wrapperISA_SB_N2at6native12_GLOBAL__N_110CustomProdEEEEE10hipError_tPvRmT0_T1_jT2_SS_T4_T3_P12ihipStream_tbEUlT_E_NS1_11comp_targetILNS1_3genE2ELNS1_11target_archE906ELNS1_3gpuE6ELNS1_3repE0EEENS1_30default_config_static_selectorELNS0_4arch9wavefront6targetE0EEEvSR_,"axG",@progbits,_ZN7rocprim17ROCPRIM_400000_NS6detail17trampoline_kernelINS0_14default_configENS1_32segmented_reduce_config_selectorIN3c108BFloat16EEEZNS1_21segmented_reduce_implIS3_PKS6_PS6_PKiS6_N6hipcub16HIPCUB_304000_NS6detail27convert_result_type_wrapperISA_SB_N2at6native12_GLOBAL__N_110CustomProdEEEEE10hipError_tPvRmT0_T1_jT2_SS_T4_T3_P12ihipStream_tbEUlT_E_NS1_11comp_targetILNS1_3genE2ELNS1_11target_archE906ELNS1_3gpuE6ELNS1_3repE0EEENS1_30default_config_static_selectorELNS0_4arch9wavefront6targetE0EEEvSR_,comdat
	.globl	_ZN7rocprim17ROCPRIM_400000_NS6detail17trampoline_kernelINS0_14default_configENS1_32segmented_reduce_config_selectorIN3c108BFloat16EEEZNS1_21segmented_reduce_implIS3_PKS6_PS6_PKiS6_N6hipcub16HIPCUB_304000_NS6detail27convert_result_type_wrapperISA_SB_N2at6native12_GLOBAL__N_110CustomProdEEEEE10hipError_tPvRmT0_T1_jT2_SS_T4_T3_P12ihipStream_tbEUlT_E_NS1_11comp_targetILNS1_3genE2ELNS1_11target_archE906ELNS1_3gpuE6ELNS1_3repE0EEENS1_30default_config_static_selectorELNS0_4arch9wavefront6targetE0EEEvSR_ ; -- Begin function _ZN7rocprim17ROCPRIM_400000_NS6detail17trampoline_kernelINS0_14default_configENS1_32segmented_reduce_config_selectorIN3c108BFloat16EEEZNS1_21segmented_reduce_implIS3_PKS6_PS6_PKiS6_N6hipcub16HIPCUB_304000_NS6detail27convert_result_type_wrapperISA_SB_N2at6native12_GLOBAL__N_110CustomProdEEEEE10hipError_tPvRmT0_T1_jT2_SS_T4_T3_P12ihipStream_tbEUlT_E_NS1_11comp_targetILNS1_3genE2ELNS1_11target_archE906ELNS1_3gpuE6ELNS1_3repE0EEENS1_30default_config_static_selectorELNS0_4arch9wavefront6targetE0EEEvSR_
	.p2align	8
	.type	_ZN7rocprim17ROCPRIM_400000_NS6detail17trampoline_kernelINS0_14default_configENS1_32segmented_reduce_config_selectorIN3c108BFloat16EEEZNS1_21segmented_reduce_implIS3_PKS6_PS6_PKiS6_N6hipcub16HIPCUB_304000_NS6detail27convert_result_type_wrapperISA_SB_N2at6native12_GLOBAL__N_110CustomProdEEEEE10hipError_tPvRmT0_T1_jT2_SS_T4_T3_P12ihipStream_tbEUlT_E_NS1_11comp_targetILNS1_3genE2ELNS1_11target_archE906ELNS1_3gpuE6ELNS1_3repE0EEENS1_30default_config_static_selectorELNS0_4arch9wavefront6targetE0EEEvSR_,@function
_ZN7rocprim17ROCPRIM_400000_NS6detail17trampoline_kernelINS0_14default_configENS1_32segmented_reduce_config_selectorIN3c108BFloat16EEEZNS1_21segmented_reduce_implIS3_PKS6_PS6_PKiS6_N6hipcub16HIPCUB_304000_NS6detail27convert_result_type_wrapperISA_SB_N2at6native12_GLOBAL__N_110CustomProdEEEEE10hipError_tPvRmT0_T1_jT2_SS_T4_T3_P12ihipStream_tbEUlT_E_NS1_11comp_targetILNS1_3genE2ELNS1_11target_archE906ELNS1_3gpuE6ELNS1_3repE0EEENS1_30default_config_static_selectorELNS0_4arch9wavefront6targetE0EEEvSR_: ; @_ZN7rocprim17ROCPRIM_400000_NS6detail17trampoline_kernelINS0_14default_configENS1_32segmented_reduce_config_selectorIN3c108BFloat16EEEZNS1_21segmented_reduce_implIS3_PKS6_PS6_PKiS6_N6hipcub16HIPCUB_304000_NS6detail27convert_result_type_wrapperISA_SB_N2at6native12_GLOBAL__N_110CustomProdEEEEE10hipError_tPvRmT0_T1_jT2_SS_T4_T3_P12ihipStream_tbEUlT_E_NS1_11comp_targetILNS1_3genE2ELNS1_11target_archE906ELNS1_3gpuE6ELNS1_3repE0EEENS1_30default_config_static_selectorELNS0_4arch9wavefront6targetE0EEEvSR_
; %bb.0:
	.section	.rodata,"a",@progbits
	.p2align	6, 0x0
	.amdhsa_kernel _ZN7rocprim17ROCPRIM_400000_NS6detail17trampoline_kernelINS0_14default_configENS1_32segmented_reduce_config_selectorIN3c108BFloat16EEEZNS1_21segmented_reduce_implIS3_PKS6_PS6_PKiS6_N6hipcub16HIPCUB_304000_NS6detail27convert_result_type_wrapperISA_SB_N2at6native12_GLOBAL__N_110CustomProdEEEEE10hipError_tPvRmT0_T1_jT2_SS_T4_T3_P12ihipStream_tbEUlT_E_NS1_11comp_targetILNS1_3genE2ELNS1_11target_archE906ELNS1_3gpuE6ELNS1_3repE0EEENS1_30default_config_static_selectorELNS0_4arch9wavefront6targetE0EEEvSR_
		.amdhsa_group_segment_fixed_size 0
		.amdhsa_private_segment_fixed_size 0
		.amdhsa_kernarg_size 48
		.amdhsa_user_sgpr_count 2
		.amdhsa_user_sgpr_dispatch_ptr 0
		.amdhsa_user_sgpr_queue_ptr 0
		.amdhsa_user_sgpr_kernarg_segment_ptr 1
		.amdhsa_user_sgpr_dispatch_id 0
		.amdhsa_user_sgpr_kernarg_preload_length 0
		.amdhsa_user_sgpr_kernarg_preload_offset 0
		.amdhsa_user_sgpr_private_segment_size 0
		.amdhsa_wavefront_size32 1
		.amdhsa_uses_dynamic_stack 0
		.amdhsa_enable_private_segment 0
		.amdhsa_system_sgpr_workgroup_id_x 1
		.amdhsa_system_sgpr_workgroup_id_y 0
		.amdhsa_system_sgpr_workgroup_id_z 0
		.amdhsa_system_sgpr_workgroup_info 0
		.amdhsa_system_vgpr_workitem_id 0
		.amdhsa_next_free_vgpr 1
		.amdhsa_next_free_sgpr 1
		.amdhsa_named_barrier_count 0
		.amdhsa_reserve_vcc 0
		.amdhsa_float_round_mode_32 0
		.amdhsa_float_round_mode_16_64 0
		.amdhsa_float_denorm_mode_32 3
		.amdhsa_float_denorm_mode_16_64 3
		.amdhsa_fp16_overflow 0
		.amdhsa_memory_ordered 1
		.amdhsa_forward_progress 1
		.amdhsa_inst_pref_size 0
		.amdhsa_round_robin_scheduling 0
		.amdhsa_exception_fp_ieee_invalid_op 0
		.amdhsa_exception_fp_denorm_src 0
		.amdhsa_exception_fp_ieee_div_zero 0
		.amdhsa_exception_fp_ieee_overflow 0
		.amdhsa_exception_fp_ieee_underflow 0
		.amdhsa_exception_fp_ieee_inexact 0
		.amdhsa_exception_int_div_zero 0
	.end_amdhsa_kernel
	.section	.text._ZN7rocprim17ROCPRIM_400000_NS6detail17trampoline_kernelINS0_14default_configENS1_32segmented_reduce_config_selectorIN3c108BFloat16EEEZNS1_21segmented_reduce_implIS3_PKS6_PS6_PKiS6_N6hipcub16HIPCUB_304000_NS6detail27convert_result_type_wrapperISA_SB_N2at6native12_GLOBAL__N_110CustomProdEEEEE10hipError_tPvRmT0_T1_jT2_SS_T4_T3_P12ihipStream_tbEUlT_E_NS1_11comp_targetILNS1_3genE2ELNS1_11target_archE906ELNS1_3gpuE6ELNS1_3repE0EEENS1_30default_config_static_selectorELNS0_4arch9wavefront6targetE0EEEvSR_,"axG",@progbits,_ZN7rocprim17ROCPRIM_400000_NS6detail17trampoline_kernelINS0_14default_configENS1_32segmented_reduce_config_selectorIN3c108BFloat16EEEZNS1_21segmented_reduce_implIS3_PKS6_PS6_PKiS6_N6hipcub16HIPCUB_304000_NS6detail27convert_result_type_wrapperISA_SB_N2at6native12_GLOBAL__N_110CustomProdEEEEE10hipError_tPvRmT0_T1_jT2_SS_T4_T3_P12ihipStream_tbEUlT_E_NS1_11comp_targetILNS1_3genE2ELNS1_11target_archE906ELNS1_3gpuE6ELNS1_3repE0EEENS1_30default_config_static_selectorELNS0_4arch9wavefront6targetE0EEEvSR_,comdat
.Lfunc_end141:
	.size	_ZN7rocprim17ROCPRIM_400000_NS6detail17trampoline_kernelINS0_14default_configENS1_32segmented_reduce_config_selectorIN3c108BFloat16EEEZNS1_21segmented_reduce_implIS3_PKS6_PS6_PKiS6_N6hipcub16HIPCUB_304000_NS6detail27convert_result_type_wrapperISA_SB_N2at6native12_GLOBAL__N_110CustomProdEEEEE10hipError_tPvRmT0_T1_jT2_SS_T4_T3_P12ihipStream_tbEUlT_E_NS1_11comp_targetILNS1_3genE2ELNS1_11target_archE906ELNS1_3gpuE6ELNS1_3repE0EEENS1_30default_config_static_selectorELNS0_4arch9wavefront6targetE0EEEvSR_, .Lfunc_end141-_ZN7rocprim17ROCPRIM_400000_NS6detail17trampoline_kernelINS0_14default_configENS1_32segmented_reduce_config_selectorIN3c108BFloat16EEEZNS1_21segmented_reduce_implIS3_PKS6_PS6_PKiS6_N6hipcub16HIPCUB_304000_NS6detail27convert_result_type_wrapperISA_SB_N2at6native12_GLOBAL__N_110CustomProdEEEEE10hipError_tPvRmT0_T1_jT2_SS_T4_T3_P12ihipStream_tbEUlT_E_NS1_11comp_targetILNS1_3genE2ELNS1_11target_archE906ELNS1_3gpuE6ELNS1_3repE0EEENS1_30default_config_static_selectorELNS0_4arch9wavefront6targetE0EEEvSR_
                                        ; -- End function
	.set _ZN7rocprim17ROCPRIM_400000_NS6detail17trampoline_kernelINS0_14default_configENS1_32segmented_reduce_config_selectorIN3c108BFloat16EEEZNS1_21segmented_reduce_implIS3_PKS6_PS6_PKiS6_N6hipcub16HIPCUB_304000_NS6detail27convert_result_type_wrapperISA_SB_N2at6native12_GLOBAL__N_110CustomProdEEEEE10hipError_tPvRmT0_T1_jT2_SS_T4_T3_P12ihipStream_tbEUlT_E_NS1_11comp_targetILNS1_3genE2ELNS1_11target_archE906ELNS1_3gpuE6ELNS1_3repE0EEENS1_30default_config_static_selectorELNS0_4arch9wavefront6targetE0EEEvSR_.num_vgpr, 0
	.set _ZN7rocprim17ROCPRIM_400000_NS6detail17trampoline_kernelINS0_14default_configENS1_32segmented_reduce_config_selectorIN3c108BFloat16EEEZNS1_21segmented_reduce_implIS3_PKS6_PS6_PKiS6_N6hipcub16HIPCUB_304000_NS6detail27convert_result_type_wrapperISA_SB_N2at6native12_GLOBAL__N_110CustomProdEEEEE10hipError_tPvRmT0_T1_jT2_SS_T4_T3_P12ihipStream_tbEUlT_E_NS1_11comp_targetILNS1_3genE2ELNS1_11target_archE906ELNS1_3gpuE6ELNS1_3repE0EEENS1_30default_config_static_selectorELNS0_4arch9wavefront6targetE0EEEvSR_.num_agpr, 0
	.set _ZN7rocprim17ROCPRIM_400000_NS6detail17trampoline_kernelINS0_14default_configENS1_32segmented_reduce_config_selectorIN3c108BFloat16EEEZNS1_21segmented_reduce_implIS3_PKS6_PS6_PKiS6_N6hipcub16HIPCUB_304000_NS6detail27convert_result_type_wrapperISA_SB_N2at6native12_GLOBAL__N_110CustomProdEEEEE10hipError_tPvRmT0_T1_jT2_SS_T4_T3_P12ihipStream_tbEUlT_E_NS1_11comp_targetILNS1_3genE2ELNS1_11target_archE906ELNS1_3gpuE6ELNS1_3repE0EEENS1_30default_config_static_selectorELNS0_4arch9wavefront6targetE0EEEvSR_.numbered_sgpr, 0
	.set _ZN7rocprim17ROCPRIM_400000_NS6detail17trampoline_kernelINS0_14default_configENS1_32segmented_reduce_config_selectorIN3c108BFloat16EEEZNS1_21segmented_reduce_implIS3_PKS6_PS6_PKiS6_N6hipcub16HIPCUB_304000_NS6detail27convert_result_type_wrapperISA_SB_N2at6native12_GLOBAL__N_110CustomProdEEEEE10hipError_tPvRmT0_T1_jT2_SS_T4_T3_P12ihipStream_tbEUlT_E_NS1_11comp_targetILNS1_3genE2ELNS1_11target_archE906ELNS1_3gpuE6ELNS1_3repE0EEENS1_30default_config_static_selectorELNS0_4arch9wavefront6targetE0EEEvSR_.num_named_barrier, 0
	.set _ZN7rocprim17ROCPRIM_400000_NS6detail17trampoline_kernelINS0_14default_configENS1_32segmented_reduce_config_selectorIN3c108BFloat16EEEZNS1_21segmented_reduce_implIS3_PKS6_PS6_PKiS6_N6hipcub16HIPCUB_304000_NS6detail27convert_result_type_wrapperISA_SB_N2at6native12_GLOBAL__N_110CustomProdEEEEE10hipError_tPvRmT0_T1_jT2_SS_T4_T3_P12ihipStream_tbEUlT_E_NS1_11comp_targetILNS1_3genE2ELNS1_11target_archE906ELNS1_3gpuE6ELNS1_3repE0EEENS1_30default_config_static_selectorELNS0_4arch9wavefront6targetE0EEEvSR_.private_seg_size, 0
	.set _ZN7rocprim17ROCPRIM_400000_NS6detail17trampoline_kernelINS0_14default_configENS1_32segmented_reduce_config_selectorIN3c108BFloat16EEEZNS1_21segmented_reduce_implIS3_PKS6_PS6_PKiS6_N6hipcub16HIPCUB_304000_NS6detail27convert_result_type_wrapperISA_SB_N2at6native12_GLOBAL__N_110CustomProdEEEEE10hipError_tPvRmT0_T1_jT2_SS_T4_T3_P12ihipStream_tbEUlT_E_NS1_11comp_targetILNS1_3genE2ELNS1_11target_archE906ELNS1_3gpuE6ELNS1_3repE0EEENS1_30default_config_static_selectorELNS0_4arch9wavefront6targetE0EEEvSR_.uses_vcc, 0
	.set _ZN7rocprim17ROCPRIM_400000_NS6detail17trampoline_kernelINS0_14default_configENS1_32segmented_reduce_config_selectorIN3c108BFloat16EEEZNS1_21segmented_reduce_implIS3_PKS6_PS6_PKiS6_N6hipcub16HIPCUB_304000_NS6detail27convert_result_type_wrapperISA_SB_N2at6native12_GLOBAL__N_110CustomProdEEEEE10hipError_tPvRmT0_T1_jT2_SS_T4_T3_P12ihipStream_tbEUlT_E_NS1_11comp_targetILNS1_3genE2ELNS1_11target_archE906ELNS1_3gpuE6ELNS1_3repE0EEENS1_30default_config_static_selectorELNS0_4arch9wavefront6targetE0EEEvSR_.uses_flat_scratch, 0
	.set _ZN7rocprim17ROCPRIM_400000_NS6detail17trampoline_kernelINS0_14default_configENS1_32segmented_reduce_config_selectorIN3c108BFloat16EEEZNS1_21segmented_reduce_implIS3_PKS6_PS6_PKiS6_N6hipcub16HIPCUB_304000_NS6detail27convert_result_type_wrapperISA_SB_N2at6native12_GLOBAL__N_110CustomProdEEEEE10hipError_tPvRmT0_T1_jT2_SS_T4_T3_P12ihipStream_tbEUlT_E_NS1_11comp_targetILNS1_3genE2ELNS1_11target_archE906ELNS1_3gpuE6ELNS1_3repE0EEENS1_30default_config_static_selectorELNS0_4arch9wavefront6targetE0EEEvSR_.has_dyn_sized_stack, 0
	.set _ZN7rocprim17ROCPRIM_400000_NS6detail17trampoline_kernelINS0_14default_configENS1_32segmented_reduce_config_selectorIN3c108BFloat16EEEZNS1_21segmented_reduce_implIS3_PKS6_PS6_PKiS6_N6hipcub16HIPCUB_304000_NS6detail27convert_result_type_wrapperISA_SB_N2at6native12_GLOBAL__N_110CustomProdEEEEE10hipError_tPvRmT0_T1_jT2_SS_T4_T3_P12ihipStream_tbEUlT_E_NS1_11comp_targetILNS1_3genE2ELNS1_11target_archE906ELNS1_3gpuE6ELNS1_3repE0EEENS1_30default_config_static_selectorELNS0_4arch9wavefront6targetE0EEEvSR_.has_recursion, 0
	.set _ZN7rocprim17ROCPRIM_400000_NS6detail17trampoline_kernelINS0_14default_configENS1_32segmented_reduce_config_selectorIN3c108BFloat16EEEZNS1_21segmented_reduce_implIS3_PKS6_PS6_PKiS6_N6hipcub16HIPCUB_304000_NS6detail27convert_result_type_wrapperISA_SB_N2at6native12_GLOBAL__N_110CustomProdEEEEE10hipError_tPvRmT0_T1_jT2_SS_T4_T3_P12ihipStream_tbEUlT_E_NS1_11comp_targetILNS1_3genE2ELNS1_11target_archE906ELNS1_3gpuE6ELNS1_3repE0EEENS1_30default_config_static_selectorELNS0_4arch9wavefront6targetE0EEEvSR_.has_indirect_call, 0
	.section	.AMDGPU.csdata,"",@progbits
; Kernel info:
; codeLenInByte = 0
; TotalNumSgprs: 0
; NumVgprs: 0
; ScratchSize: 0
; MemoryBound: 0
; FloatMode: 240
; IeeeMode: 1
; LDSByteSize: 0 bytes/workgroup (compile time only)
; SGPRBlocks: 0
; VGPRBlocks: 0
; NumSGPRsForWavesPerEU: 1
; NumVGPRsForWavesPerEU: 1
; NamedBarCnt: 0
; Occupancy: 16
; WaveLimiterHint : 0
; COMPUTE_PGM_RSRC2:SCRATCH_EN: 0
; COMPUTE_PGM_RSRC2:USER_SGPR: 2
; COMPUTE_PGM_RSRC2:TRAP_HANDLER: 0
; COMPUTE_PGM_RSRC2:TGID_X_EN: 1
; COMPUTE_PGM_RSRC2:TGID_Y_EN: 0
; COMPUTE_PGM_RSRC2:TGID_Z_EN: 0
; COMPUTE_PGM_RSRC2:TIDIG_COMP_CNT: 0
	.section	.text._ZN7rocprim17ROCPRIM_400000_NS6detail17trampoline_kernelINS0_14default_configENS1_32segmented_reduce_config_selectorIN3c108BFloat16EEEZNS1_21segmented_reduce_implIS3_PKS6_PS6_PKiS6_N6hipcub16HIPCUB_304000_NS6detail27convert_result_type_wrapperISA_SB_N2at6native12_GLOBAL__N_110CustomProdEEEEE10hipError_tPvRmT0_T1_jT2_SS_T4_T3_P12ihipStream_tbEUlT_E_NS1_11comp_targetILNS1_3genE9ELNS1_11target_archE1100ELNS1_3gpuE3ELNS1_3repE0EEENS1_30default_config_static_selectorELNS0_4arch9wavefront6targetE0EEEvSR_,"axG",@progbits,_ZN7rocprim17ROCPRIM_400000_NS6detail17trampoline_kernelINS0_14default_configENS1_32segmented_reduce_config_selectorIN3c108BFloat16EEEZNS1_21segmented_reduce_implIS3_PKS6_PS6_PKiS6_N6hipcub16HIPCUB_304000_NS6detail27convert_result_type_wrapperISA_SB_N2at6native12_GLOBAL__N_110CustomProdEEEEE10hipError_tPvRmT0_T1_jT2_SS_T4_T3_P12ihipStream_tbEUlT_E_NS1_11comp_targetILNS1_3genE9ELNS1_11target_archE1100ELNS1_3gpuE3ELNS1_3repE0EEENS1_30default_config_static_selectorELNS0_4arch9wavefront6targetE0EEEvSR_,comdat
	.globl	_ZN7rocprim17ROCPRIM_400000_NS6detail17trampoline_kernelINS0_14default_configENS1_32segmented_reduce_config_selectorIN3c108BFloat16EEEZNS1_21segmented_reduce_implIS3_PKS6_PS6_PKiS6_N6hipcub16HIPCUB_304000_NS6detail27convert_result_type_wrapperISA_SB_N2at6native12_GLOBAL__N_110CustomProdEEEEE10hipError_tPvRmT0_T1_jT2_SS_T4_T3_P12ihipStream_tbEUlT_E_NS1_11comp_targetILNS1_3genE9ELNS1_11target_archE1100ELNS1_3gpuE3ELNS1_3repE0EEENS1_30default_config_static_selectorELNS0_4arch9wavefront6targetE0EEEvSR_ ; -- Begin function _ZN7rocprim17ROCPRIM_400000_NS6detail17trampoline_kernelINS0_14default_configENS1_32segmented_reduce_config_selectorIN3c108BFloat16EEEZNS1_21segmented_reduce_implIS3_PKS6_PS6_PKiS6_N6hipcub16HIPCUB_304000_NS6detail27convert_result_type_wrapperISA_SB_N2at6native12_GLOBAL__N_110CustomProdEEEEE10hipError_tPvRmT0_T1_jT2_SS_T4_T3_P12ihipStream_tbEUlT_E_NS1_11comp_targetILNS1_3genE9ELNS1_11target_archE1100ELNS1_3gpuE3ELNS1_3repE0EEENS1_30default_config_static_selectorELNS0_4arch9wavefront6targetE0EEEvSR_
	.p2align	8
	.type	_ZN7rocprim17ROCPRIM_400000_NS6detail17trampoline_kernelINS0_14default_configENS1_32segmented_reduce_config_selectorIN3c108BFloat16EEEZNS1_21segmented_reduce_implIS3_PKS6_PS6_PKiS6_N6hipcub16HIPCUB_304000_NS6detail27convert_result_type_wrapperISA_SB_N2at6native12_GLOBAL__N_110CustomProdEEEEE10hipError_tPvRmT0_T1_jT2_SS_T4_T3_P12ihipStream_tbEUlT_E_NS1_11comp_targetILNS1_3genE9ELNS1_11target_archE1100ELNS1_3gpuE3ELNS1_3repE0EEENS1_30default_config_static_selectorELNS0_4arch9wavefront6targetE0EEEvSR_,@function
_ZN7rocprim17ROCPRIM_400000_NS6detail17trampoline_kernelINS0_14default_configENS1_32segmented_reduce_config_selectorIN3c108BFloat16EEEZNS1_21segmented_reduce_implIS3_PKS6_PS6_PKiS6_N6hipcub16HIPCUB_304000_NS6detail27convert_result_type_wrapperISA_SB_N2at6native12_GLOBAL__N_110CustomProdEEEEE10hipError_tPvRmT0_T1_jT2_SS_T4_T3_P12ihipStream_tbEUlT_E_NS1_11comp_targetILNS1_3genE9ELNS1_11target_archE1100ELNS1_3gpuE3ELNS1_3repE0EEENS1_30default_config_static_selectorELNS0_4arch9wavefront6targetE0EEEvSR_: ; @_ZN7rocprim17ROCPRIM_400000_NS6detail17trampoline_kernelINS0_14default_configENS1_32segmented_reduce_config_selectorIN3c108BFloat16EEEZNS1_21segmented_reduce_implIS3_PKS6_PS6_PKiS6_N6hipcub16HIPCUB_304000_NS6detail27convert_result_type_wrapperISA_SB_N2at6native12_GLOBAL__N_110CustomProdEEEEE10hipError_tPvRmT0_T1_jT2_SS_T4_T3_P12ihipStream_tbEUlT_E_NS1_11comp_targetILNS1_3genE9ELNS1_11target_archE1100ELNS1_3gpuE3ELNS1_3repE0EEENS1_30default_config_static_selectorELNS0_4arch9wavefront6targetE0EEEvSR_
; %bb.0:
	.section	.rodata,"a",@progbits
	.p2align	6, 0x0
	.amdhsa_kernel _ZN7rocprim17ROCPRIM_400000_NS6detail17trampoline_kernelINS0_14default_configENS1_32segmented_reduce_config_selectorIN3c108BFloat16EEEZNS1_21segmented_reduce_implIS3_PKS6_PS6_PKiS6_N6hipcub16HIPCUB_304000_NS6detail27convert_result_type_wrapperISA_SB_N2at6native12_GLOBAL__N_110CustomProdEEEEE10hipError_tPvRmT0_T1_jT2_SS_T4_T3_P12ihipStream_tbEUlT_E_NS1_11comp_targetILNS1_3genE9ELNS1_11target_archE1100ELNS1_3gpuE3ELNS1_3repE0EEENS1_30default_config_static_selectorELNS0_4arch9wavefront6targetE0EEEvSR_
		.amdhsa_group_segment_fixed_size 0
		.amdhsa_private_segment_fixed_size 0
		.amdhsa_kernarg_size 48
		.amdhsa_user_sgpr_count 2
		.amdhsa_user_sgpr_dispatch_ptr 0
		.amdhsa_user_sgpr_queue_ptr 0
		.amdhsa_user_sgpr_kernarg_segment_ptr 1
		.amdhsa_user_sgpr_dispatch_id 0
		.amdhsa_user_sgpr_kernarg_preload_length 0
		.amdhsa_user_sgpr_kernarg_preload_offset 0
		.amdhsa_user_sgpr_private_segment_size 0
		.amdhsa_wavefront_size32 1
		.amdhsa_uses_dynamic_stack 0
		.amdhsa_enable_private_segment 0
		.amdhsa_system_sgpr_workgroup_id_x 1
		.amdhsa_system_sgpr_workgroup_id_y 0
		.amdhsa_system_sgpr_workgroup_id_z 0
		.amdhsa_system_sgpr_workgroup_info 0
		.amdhsa_system_vgpr_workitem_id 0
		.amdhsa_next_free_vgpr 1
		.amdhsa_next_free_sgpr 1
		.amdhsa_named_barrier_count 0
		.amdhsa_reserve_vcc 0
		.amdhsa_float_round_mode_32 0
		.amdhsa_float_round_mode_16_64 0
		.amdhsa_float_denorm_mode_32 3
		.amdhsa_float_denorm_mode_16_64 3
		.amdhsa_fp16_overflow 0
		.amdhsa_memory_ordered 1
		.amdhsa_forward_progress 1
		.amdhsa_inst_pref_size 0
		.amdhsa_round_robin_scheduling 0
		.amdhsa_exception_fp_ieee_invalid_op 0
		.amdhsa_exception_fp_denorm_src 0
		.amdhsa_exception_fp_ieee_div_zero 0
		.amdhsa_exception_fp_ieee_overflow 0
		.amdhsa_exception_fp_ieee_underflow 0
		.amdhsa_exception_fp_ieee_inexact 0
		.amdhsa_exception_int_div_zero 0
	.end_amdhsa_kernel
	.section	.text._ZN7rocprim17ROCPRIM_400000_NS6detail17trampoline_kernelINS0_14default_configENS1_32segmented_reduce_config_selectorIN3c108BFloat16EEEZNS1_21segmented_reduce_implIS3_PKS6_PS6_PKiS6_N6hipcub16HIPCUB_304000_NS6detail27convert_result_type_wrapperISA_SB_N2at6native12_GLOBAL__N_110CustomProdEEEEE10hipError_tPvRmT0_T1_jT2_SS_T4_T3_P12ihipStream_tbEUlT_E_NS1_11comp_targetILNS1_3genE9ELNS1_11target_archE1100ELNS1_3gpuE3ELNS1_3repE0EEENS1_30default_config_static_selectorELNS0_4arch9wavefront6targetE0EEEvSR_,"axG",@progbits,_ZN7rocprim17ROCPRIM_400000_NS6detail17trampoline_kernelINS0_14default_configENS1_32segmented_reduce_config_selectorIN3c108BFloat16EEEZNS1_21segmented_reduce_implIS3_PKS6_PS6_PKiS6_N6hipcub16HIPCUB_304000_NS6detail27convert_result_type_wrapperISA_SB_N2at6native12_GLOBAL__N_110CustomProdEEEEE10hipError_tPvRmT0_T1_jT2_SS_T4_T3_P12ihipStream_tbEUlT_E_NS1_11comp_targetILNS1_3genE9ELNS1_11target_archE1100ELNS1_3gpuE3ELNS1_3repE0EEENS1_30default_config_static_selectorELNS0_4arch9wavefront6targetE0EEEvSR_,comdat
.Lfunc_end142:
	.size	_ZN7rocprim17ROCPRIM_400000_NS6detail17trampoline_kernelINS0_14default_configENS1_32segmented_reduce_config_selectorIN3c108BFloat16EEEZNS1_21segmented_reduce_implIS3_PKS6_PS6_PKiS6_N6hipcub16HIPCUB_304000_NS6detail27convert_result_type_wrapperISA_SB_N2at6native12_GLOBAL__N_110CustomProdEEEEE10hipError_tPvRmT0_T1_jT2_SS_T4_T3_P12ihipStream_tbEUlT_E_NS1_11comp_targetILNS1_3genE9ELNS1_11target_archE1100ELNS1_3gpuE3ELNS1_3repE0EEENS1_30default_config_static_selectorELNS0_4arch9wavefront6targetE0EEEvSR_, .Lfunc_end142-_ZN7rocprim17ROCPRIM_400000_NS6detail17trampoline_kernelINS0_14default_configENS1_32segmented_reduce_config_selectorIN3c108BFloat16EEEZNS1_21segmented_reduce_implIS3_PKS6_PS6_PKiS6_N6hipcub16HIPCUB_304000_NS6detail27convert_result_type_wrapperISA_SB_N2at6native12_GLOBAL__N_110CustomProdEEEEE10hipError_tPvRmT0_T1_jT2_SS_T4_T3_P12ihipStream_tbEUlT_E_NS1_11comp_targetILNS1_3genE9ELNS1_11target_archE1100ELNS1_3gpuE3ELNS1_3repE0EEENS1_30default_config_static_selectorELNS0_4arch9wavefront6targetE0EEEvSR_
                                        ; -- End function
	.set _ZN7rocprim17ROCPRIM_400000_NS6detail17trampoline_kernelINS0_14default_configENS1_32segmented_reduce_config_selectorIN3c108BFloat16EEEZNS1_21segmented_reduce_implIS3_PKS6_PS6_PKiS6_N6hipcub16HIPCUB_304000_NS6detail27convert_result_type_wrapperISA_SB_N2at6native12_GLOBAL__N_110CustomProdEEEEE10hipError_tPvRmT0_T1_jT2_SS_T4_T3_P12ihipStream_tbEUlT_E_NS1_11comp_targetILNS1_3genE9ELNS1_11target_archE1100ELNS1_3gpuE3ELNS1_3repE0EEENS1_30default_config_static_selectorELNS0_4arch9wavefront6targetE0EEEvSR_.num_vgpr, 0
	.set _ZN7rocprim17ROCPRIM_400000_NS6detail17trampoline_kernelINS0_14default_configENS1_32segmented_reduce_config_selectorIN3c108BFloat16EEEZNS1_21segmented_reduce_implIS3_PKS6_PS6_PKiS6_N6hipcub16HIPCUB_304000_NS6detail27convert_result_type_wrapperISA_SB_N2at6native12_GLOBAL__N_110CustomProdEEEEE10hipError_tPvRmT0_T1_jT2_SS_T4_T3_P12ihipStream_tbEUlT_E_NS1_11comp_targetILNS1_3genE9ELNS1_11target_archE1100ELNS1_3gpuE3ELNS1_3repE0EEENS1_30default_config_static_selectorELNS0_4arch9wavefront6targetE0EEEvSR_.num_agpr, 0
	.set _ZN7rocprim17ROCPRIM_400000_NS6detail17trampoline_kernelINS0_14default_configENS1_32segmented_reduce_config_selectorIN3c108BFloat16EEEZNS1_21segmented_reduce_implIS3_PKS6_PS6_PKiS6_N6hipcub16HIPCUB_304000_NS6detail27convert_result_type_wrapperISA_SB_N2at6native12_GLOBAL__N_110CustomProdEEEEE10hipError_tPvRmT0_T1_jT2_SS_T4_T3_P12ihipStream_tbEUlT_E_NS1_11comp_targetILNS1_3genE9ELNS1_11target_archE1100ELNS1_3gpuE3ELNS1_3repE0EEENS1_30default_config_static_selectorELNS0_4arch9wavefront6targetE0EEEvSR_.numbered_sgpr, 0
	.set _ZN7rocprim17ROCPRIM_400000_NS6detail17trampoline_kernelINS0_14default_configENS1_32segmented_reduce_config_selectorIN3c108BFloat16EEEZNS1_21segmented_reduce_implIS3_PKS6_PS6_PKiS6_N6hipcub16HIPCUB_304000_NS6detail27convert_result_type_wrapperISA_SB_N2at6native12_GLOBAL__N_110CustomProdEEEEE10hipError_tPvRmT0_T1_jT2_SS_T4_T3_P12ihipStream_tbEUlT_E_NS1_11comp_targetILNS1_3genE9ELNS1_11target_archE1100ELNS1_3gpuE3ELNS1_3repE0EEENS1_30default_config_static_selectorELNS0_4arch9wavefront6targetE0EEEvSR_.num_named_barrier, 0
	.set _ZN7rocprim17ROCPRIM_400000_NS6detail17trampoline_kernelINS0_14default_configENS1_32segmented_reduce_config_selectorIN3c108BFloat16EEEZNS1_21segmented_reduce_implIS3_PKS6_PS6_PKiS6_N6hipcub16HIPCUB_304000_NS6detail27convert_result_type_wrapperISA_SB_N2at6native12_GLOBAL__N_110CustomProdEEEEE10hipError_tPvRmT0_T1_jT2_SS_T4_T3_P12ihipStream_tbEUlT_E_NS1_11comp_targetILNS1_3genE9ELNS1_11target_archE1100ELNS1_3gpuE3ELNS1_3repE0EEENS1_30default_config_static_selectorELNS0_4arch9wavefront6targetE0EEEvSR_.private_seg_size, 0
	.set _ZN7rocprim17ROCPRIM_400000_NS6detail17trampoline_kernelINS0_14default_configENS1_32segmented_reduce_config_selectorIN3c108BFloat16EEEZNS1_21segmented_reduce_implIS3_PKS6_PS6_PKiS6_N6hipcub16HIPCUB_304000_NS6detail27convert_result_type_wrapperISA_SB_N2at6native12_GLOBAL__N_110CustomProdEEEEE10hipError_tPvRmT0_T1_jT2_SS_T4_T3_P12ihipStream_tbEUlT_E_NS1_11comp_targetILNS1_3genE9ELNS1_11target_archE1100ELNS1_3gpuE3ELNS1_3repE0EEENS1_30default_config_static_selectorELNS0_4arch9wavefront6targetE0EEEvSR_.uses_vcc, 0
	.set _ZN7rocprim17ROCPRIM_400000_NS6detail17trampoline_kernelINS0_14default_configENS1_32segmented_reduce_config_selectorIN3c108BFloat16EEEZNS1_21segmented_reduce_implIS3_PKS6_PS6_PKiS6_N6hipcub16HIPCUB_304000_NS6detail27convert_result_type_wrapperISA_SB_N2at6native12_GLOBAL__N_110CustomProdEEEEE10hipError_tPvRmT0_T1_jT2_SS_T4_T3_P12ihipStream_tbEUlT_E_NS1_11comp_targetILNS1_3genE9ELNS1_11target_archE1100ELNS1_3gpuE3ELNS1_3repE0EEENS1_30default_config_static_selectorELNS0_4arch9wavefront6targetE0EEEvSR_.uses_flat_scratch, 0
	.set _ZN7rocprim17ROCPRIM_400000_NS6detail17trampoline_kernelINS0_14default_configENS1_32segmented_reduce_config_selectorIN3c108BFloat16EEEZNS1_21segmented_reduce_implIS3_PKS6_PS6_PKiS6_N6hipcub16HIPCUB_304000_NS6detail27convert_result_type_wrapperISA_SB_N2at6native12_GLOBAL__N_110CustomProdEEEEE10hipError_tPvRmT0_T1_jT2_SS_T4_T3_P12ihipStream_tbEUlT_E_NS1_11comp_targetILNS1_3genE9ELNS1_11target_archE1100ELNS1_3gpuE3ELNS1_3repE0EEENS1_30default_config_static_selectorELNS0_4arch9wavefront6targetE0EEEvSR_.has_dyn_sized_stack, 0
	.set _ZN7rocprim17ROCPRIM_400000_NS6detail17trampoline_kernelINS0_14default_configENS1_32segmented_reduce_config_selectorIN3c108BFloat16EEEZNS1_21segmented_reduce_implIS3_PKS6_PS6_PKiS6_N6hipcub16HIPCUB_304000_NS6detail27convert_result_type_wrapperISA_SB_N2at6native12_GLOBAL__N_110CustomProdEEEEE10hipError_tPvRmT0_T1_jT2_SS_T4_T3_P12ihipStream_tbEUlT_E_NS1_11comp_targetILNS1_3genE9ELNS1_11target_archE1100ELNS1_3gpuE3ELNS1_3repE0EEENS1_30default_config_static_selectorELNS0_4arch9wavefront6targetE0EEEvSR_.has_recursion, 0
	.set _ZN7rocprim17ROCPRIM_400000_NS6detail17trampoline_kernelINS0_14default_configENS1_32segmented_reduce_config_selectorIN3c108BFloat16EEEZNS1_21segmented_reduce_implIS3_PKS6_PS6_PKiS6_N6hipcub16HIPCUB_304000_NS6detail27convert_result_type_wrapperISA_SB_N2at6native12_GLOBAL__N_110CustomProdEEEEE10hipError_tPvRmT0_T1_jT2_SS_T4_T3_P12ihipStream_tbEUlT_E_NS1_11comp_targetILNS1_3genE9ELNS1_11target_archE1100ELNS1_3gpuE3ELNS1_3repE0EEENS1_30default_config_static_selectorELNS0_4arch9wavefront6targetE0EEEvSR_.has_indirect_call, 0
	.section	.AMDGPU.csdata,"",@progbits
; Kernel info:
; codeLenInByte = 0
; TotalNumSgprs: 0
; NumVgprs: 0
; ScratchSize: 0
; MemoryBound: 0
; FloatMode: 240
; IeeeMode: 1
; LDSByteSize: 0 bytes/workgroup (compile time only)
; SGPRBlocks: 0
; VGPRBlocks: 0
; NumSGPRsForWavesPerEU: 1
; NumVGPRsForWavesPerEU: 1
; NamedBarCnt: 0
; Occupancy: 16
; WaveLimiterHint : 0
; COMPUTE_PGM_RSRC2:SCRATCH_EN: 0
; COMPUTE_PGM_RSRC2:USER_SGPR: 2
; COMPUTE_PGM_RSRC2:TRAP_HANDLER: 0
; COMPUTE_PGM_RSRC2:TGID_X_EN: 1
; COMPUTE_PGM_RSRC2:TGID_Y_EN: 0
; COMPUTE_PGM_RSRC2:TGID_Z_EN: 0
; COMPUTE_PGM_RSRC2:TIDIG_COMP_CNT: 0
	.section	.text._ZN7rocprim17ROCPRIM_400000_NS6detail17trampoline_kernelINS0_14default_configENS1_32segmented_reduce_config_selectorIN3c108BFloat16EEEZNS1_21segmented_reduce_implIS3_PKS6_PS6_PKiS6_N6hipcub16HIPCUB_304000_NS6detail27convert_result_type_wrapperISA_SB_N2at6native12_GLOBAL__N_110CustomProdEEEEE10hipError_tPvRmT0_T1_jT2_SS_T4_T3_P12ihipStream_tbEUlT_E_NS1_11comp_targetILNS1_3genE8ELNS1_11target_archE1030ELNS1_3gpuE2ELNS1_3repE0EEENS1_30default_config_static_selectorELNS0_4arch9wavefront6targetE0EEEvSR_,"axG",@progbits,_ZN7rocprim17ROCPRIM_400000_NS6detail17trampoline_kernelINS0_14default_configENS1_32segmented_reduce_config_selectorIN3c108BFloat16EEEZNS1_21segmented_reduce_implIS3_PKS6_PS6_PKiS6_N6hipcub16HIPCUB_304000_NS6detail27convert_result_type_wrapperISA_SB_N2at6native12_GLOBAL__N_110CustomProdEEEEE10hipError_tPvRmT0_T1_jT2_SS_T4_T3_P12ihipStream_tbEUlT_E_NS1_11comp_targetILNS1_3genE8ELNS1_11target_archE1030ELNS1_3gpuE2ELNS1_3repE0EEENS1_30default_config_static_selectorELNS0_4arch9wavefront6targetE0EEEvSR_,comdat
	.globl	_ZN7rocprim17ROCPRIM_400000_NS6detail17trampoline_kernelINS0_14default_configENS1_32segmented_reduce_config_selectorIN3c108BFloat16EEEZNS1_21segmented_reduce_implIS3_PKS6_PS6_PKiS6_N6hipcub16HIPCUB_304000_NS6detail27convert_result_type_wrapperISA_SB_N2at6native12_GLOBAL__N_110CustomProdEEEEE10hipError_tPvRmT0_T1_jT2_SS_T4_T3_P12ihipStream_tbEUlT_E_NS1_11comp_targetILNS1_3genE8ELNS1_11target_archE1030ELNS1_3gpuE2ELNS1_3repE0EEENS1_30default_config_static_selectorELNS0_4arch9wavefront6targetE0EEEvSR_ ; -- Begin function _ZN7rocprim17ROCPRIM_400000_NS6detail17trampoline_kernelINS0_14default_configENS1_32segmented_reduce_config_selectorIN3c108BFloat16EEEZNS1_21segmented_reduce_implIS3_PKS6_PS6_PKiS6_N6hipcub16HIPCUB_304000_NS6detail27convert_result_type_wrapperISA_SB_N2at6native12_GLOBAL__N_110CustomProdEEEEE10hipError_tPvRmT0_T1_jT2_SS_T4_T3_P12ihipStream_tbEUlT_E_NS1_11comp_targetILNS1_3genE8ELNS1_11target_archE1030ELNS1_3gpuE2ELNS1_3repE0EEENS1_30default_config_static_selectorELNS0_4arch9wavefront6targetE0EEEvSR_
	.p2align	8
	.type	_ZN7rocprim17ROCPRIM_400000_NS6detail17trampoline_kernelINS0_14default_configENS1_32segmented_reduce_config_selectorIN3c108BFloat16EEEZNS1_21segmented_reduce_implIS3_PKS6_PS6_PKiS6_N6hipcub16HIPCUB_304000_NS6detail27convert_result_type_wrapperISA_SB_N2at6native12_GLOBAL__N_110CustomProdEEEEE10hipError_tPvRmT0_T1_jT2_SS_T4_T3_P12ihipStream_tbEUlT_E_NS1_11comp_targetILNS1_3genE8ELNS1_11target_archE1030ELNS1_3gpuE2ELNS1_3repE0EEENS1_30default_config_static_selectorELNS0_4arch9wavefront6targetE0EEEvSR_,@function
_ZN7rocprim17ROCPRIM_400000_NS6detail17trampoline_kernelINS0_14default_configENS1_32segmented_reduce_config_selectorIN3c108BFloat16EEEZNS1_21segmented_reduce_implIS3_PKS6_PS6_PKiS6_N6hipcub16HIPCUB_304000_NS6detail27convert_result_type_wrapperISA_SB_N2at6native12_GLOBAL__N_110CustomProdEEEEE10hipError_tPvRmT0_T1_jT2_SS_T4_T3_P12ihipStream_tbEUlT_E_NS1_11comp_targetILNS1_3genE8ELNS1_11target_archE1030ELNS1_3gpuE2ELNS1_3repE0EEENS1_30default_config_static_selectorELNS0_4arch9wavefront6targetE0EEEvSR_: ; @_ZN7rocprim17ROCPRIM_400000_NS6detail17trampoline_kernelINS0_14default_configENS1_32segmented_reduce_config_selectorIN3c108BFloat16EEEZNS1_21segmented_reduce_implIS3_PKS6_PS6_PKiS6_N6hipcub16HIPCUB_304000_NS6detail27convert_result_type_wrapperISA_SB_N2at6native12_GLOBAL__N_110CustomProdEEEEE10hipError_tPvRmT0_T1_jT2_SS_T4_T3_P12ihipStream_tbEUlT_E_NS1_11comp_targetILNS1_3genE8ELNS1_11target_archE1030ELNS1_3gpuE2ELNS1_3repE0EEENS1_30default_config_static_selectorELNS0_4arch9wavefront6targetE0EEEvSR_
; %bb.0:
	.section	.rodata,"a",@progbits
	.p2align	6, 0x0
	.amdhsa_kernel _ZN7rocprim17ROCPRIM_400000_NS6detail17trampoline_kernelINS0_14default_configENS1_32segmented_reduce_config_selectorIN3c108BFloat16EEEZNS1_21segmented_reduce_implIS3_PKS6_PS6_PKiS6_N6hipcub16HIPCUB_304000_NS6detail27convert_result_type_wrapperISA_SB_N2at6native12_GLOBAL__N_110CustomProdEEEEE10hipError_tPvRmT0_T1_jT2_SS_T4_T3_P12ihipStream_tbEUlT_E_NS1_11comp_targetILNS1_3genE8ELNS1_11target_archE1030ELNS1_3gpuE2ELNS1_3repE0EEENS1_30default_config_static_selectorELNS0_4arch9wavefront6targetE0EEEvSR_
		.amdhsa_group_segment_fixed_size 0
		.amdhsa_private_segment_fixed_size 0
		.amdhsa_kernarg_size 48
		.amdhsa_user_sgpr_count 2
		.amdhsa_user_sgpr_dispatch_ptr 0
		.amdhsa_user_sgpr_queue_ptr 0
		.amdhsa_user_sgpr_kernarg_segment_ptr 1
		.amdhsa_user_sgpr_dispatch_id 0
		.amdhsa_user_sgpr_kernarg_preload_length 0
		.amdhsa_user_sgpr_kernarg_preload_offset 0
		.amdhsa_user_sgpr_private_segment_size 0
		.amdhsa_wavefront_size32 1
		.amdhsa_uses_dynamic_stack 0
		.amdhsa_enable_private_segment 0
		.amdhsa_system_sgpr_workgroup_id_x 1
		.amdhsa_system_sgpr_workgroup_id_y 0
		.amdhsa_system_sgpr_workgroup_id_z 0
		.amdhsa_system_sgpr_workgroup_info 0
		.amdhsa_system_vgpr_workitem_id 0
		.amdhsa_next_free_vgpr 1
		.amdhsa_next_free_sgpr 1
		.amdhsa_named_barrier_count 0
		.amdhsa_reserve_vcc 0
		.amdhsa_float_round_mode_32 0
		.amdhsa_float_round_mode_16_64 0
		.amdhsa_float_denorm_mode_32 3
		.amdhsa_float_denorm_mode_16_64 3
		.amdhsa_fp16_overflow 0
		.amdhsa_memory_ordered 1
		.amdhsa_forward_progress 1
		.amdhsa_inst_pref_size 0
		.amdhsa_round_robin_scheduling 0
		.amdhsa_exception_fp_ieee_invalid_op 0
		.amdhsa_exception_fp_denorm_src 0
		.amdhsa_exception_fp_ieee_div_zero 0
		.amdhsa_exception_fp_ieee_overflow 0
		.amdhsa_exception_fp_ieee_underflow 0
		.amdhsa_exception_fp_ieee_inexact 0
		.amdhsa_exception_int_div_zero 0
	.end_amdhsa_kernel
	.section	.text._ZN7rocprim17ROCPRIM_400000_NS6detail17trampoline_kernelINS0_14default_configENS1_32segmented_reduce_config_selectorIN3c108BFloat16EEEZNS1_21segmented_reduce_implIS3_PKS6_PS6_PKiS6_N6hipcub16HIPCUB_304000_NS6detail27convert_result_type_wrapperISA_SB_N2at6native12_GLOBAL__N_110CustomProdEEEEE10hipError_tPvRmT0_T1_jT2_SS_T4_T3_P12ihipStream_tbEUlT_E_NS1_11comp_targetILNS1_3genE8ELNS1_11target_archE1030ELNS1_3gpuE2ELNS1_3repE0EEENS1_30default_config_static_selectorELNS0_4arch9wavefront6targetE0EEEvSR_,"axG",@progbits,_ZN7rocprim17ROCPRIM_400000_NS6detail17trampoline_kernelINS0_14default_configENS1_32segmented_reduce_config_selectorIN3c108BFloat16EEEZNS1_21segmented_reduce_implIS3_PKS6_PS6_PKiS6_N6hipcub16HIPCUB_304000_NS6detail27convert_result_type_wrapperISA_SB_N2at6native12_GLOBAL__N_110CustomProdEEEEE10hipError_tPvRmT0_T1_jT2_SS_T4_T3_P12ihipStream_tbEUlT_E_NS1_11comp_targetILNS1_3genE8ELNS1_11target_archE1030ELNS1_3gpuE2ELNS1_3repE0EEENS1_30default_config_static_selectorELNS0_4arch9wavefront6targetE0EEEvSR_,comdat
.Lfunc_end143:
	.size	_ZN7rocprim17ROCPRIM_400000_NS6detail17trampoline_kernelINS0_14default_configENS1_32segmented_reduce_config_selectorIN3c108BFloat16EEEZNS1_21segmented_reduce_implIS3_PKS6_PS6_PKiS6_N6hipcub16HIPCUB_304000_NS6detail27convert_result_type_wrapperISA_SB_N2at6native12_GLOBAL__N_110CustomProdEEEEE10hipError_tPvRmT0_T1_jT2_SS_T4_T3_P12ihipStream_tbEUlT_E_NS1_11comp_targetILNS1_3genE8ELNS1_11target_archE1030ELNS1_3gpuE2ELNS1_3repE0EEENS1_30default_config_static_selectorELNS0_4arch9wavefront6targetE0EEEvSR_, .Lfunc_end143-_ZN7rocprim17ROCPRIM_400000_NS6detail17trampoline_kernelINS0_14default_configENS1_32segmented_reduce_config_selectorIN3c108BFloat16EEEZNS1_21segmented_reduce_implIS3_PKS6_PS6_PKiS6_N6hipcub16HIPCUB_304000_NS6detail27convert_result_type_wrapperISA_SB_N2at6native12_GLOBAL__N_110CustomProdEEEEE10hipError_tPvRmT0_T1_jT2_SS_T4_T3_P12ihipStream_tbEUlT_E_NS1_11comp_targetILNS1_3genE8ELNS1_11target_archE1030ELNS1_3gpuE2ELNS1_3repE0EEENS1_30default_config_static_selectorELNS0_4arch9wavefront6targetE0EEEvSR_
                                        ; -- End function
	.set _ZN7rocprim17ROCPRIM_400000_NS6detail17trampoline_kernelINS0_14default_configENS1_32segmented_reduce_config_selectorIN3c108BFloat16EEEZNS1_21segmented_reduce_implIS3_PKS6_PS6_PKiS6_N6hipcub16HIPCUB_304000_NS6detail27convert_result_type_wrapperISA_SB_N2at6native12_GLOBAL__N_110CustomProdEEEEE10hipError_tPvRmT0_T1_jT2_SS_T4_T3_P12ihipStream_tbEUlT_E_NS1_11comp_targetILNS1_3genE8ELNS1_11target_archE1030ELNS1_3gpuE2ELNS1_3repE0EEENS1_30default_config_static_selectorELNS0_4arch9wavefront6targetE0EEEvSR_.num_vgpr, 0
	.set _ZN7rocprim17ROCPRIM_400000_NS6detail17trampoline_kernelINS0_14default_configENS1_32segmented_reduce_config_selectorIN3c108BFloat16EEEZNS1_21segmented_reduce_implIS3_PKS6_PS6_PKiS6_N6hipcub16HIPCUB_304000_NS6detail27convert_result_type_wrapperISA_SB_N2at6native12_GLOBAL__N_110CustomProdEEEEE10hipError_tPvRmT0_T1_jT2_SS_T4_T3_P12ihipStream_tbEUlT_E_NS1_11comp_targetILNS1_3genE8ELNS1_11target_archE1030ELNS1_3gpuE2ELNS1_3repE0EEENS1_30default_config_static_selectorELNS0_4arch9wavefront6targetE0EEEvSR_.num_agpr, 0
	.set _ZN7rocprim17ROCPRIM_400000_NS6detail17trampoline_kernelINS0_14default_configENS1_32segmented_reduce_config_selectorIN3c108BFloat16EEEZNS1_21segmented_reduce_implIS3_PKS6_PS6_PKiS6_N6hipcub16HIPCUB_304000_NS6detail27convert_result_type_wrapperISA_SB_N2at6native12_GLOBAL__N_110CustomProdEEEEE10hipError_tPvRmT0_T1_jT2_SS_T4_T3_P12ihipStream_tbEUlT_E_NS1_11comp_targetILNS1_3genE8ELNS1_11target_archE1030ELNS1_3gpuE2ELNS1_3repE0EEENS1_30default_config_static_selectorELNS0_4arch9wavefront6targetE0EEEvSR_.numbered_sgpr, 0
	.set _ZN7rocprim17ROCPRIM_400000_NS6detail17trampoline_kernelINS0_14default_configENS1_32segmented_reduce_config_selectorIN3c108BFloat16EEEZNS1_21segmented_reduce_implIS3_PKS6_PS6_PKiS6_N6hipcub16HIPCUB_304000_NS6detail27convert_result_type_wrapperISA_SB_N2at6native12_GLOBAL__N_110CustomProdEEEEE10hipError_tPvRmT0_T1_jT2_SS_T4_T3_P12ihipStream_tbEUlT_E_NS1_11comp_targetILNS1_3genE8ELNS1_11target_archE1030ELNS1_3gpuE2ELNS1_3repE0EEENS1_30default_config_static_selectorELNS0_4arch9wavefront6targetE0EEEvSR_.num_named_barrier, 0
	.set _ZN7rocprim17ROCPRIM_400000_NS6detail17trampoline_kernelINS0_14default_configENS1_32segmented_reduce_config_selectorIN3c108BFloat16EEEZNS1_21segmented_reduce_implIS3_PKS6_PS6_PKiS6_N6hipcub16HIPCUB_304000_NS6detail27convert_result_type_wrapperISA_SB_N2at6native12_GLOBAL__N_110CustomProdEEEEE10hipError_tPvRmT0_T1_jT2_SS_T4_T3_P12ihipStream_tbEUlT_E_NS1_11comp_targetILNS1_3genE8ELNS1_11target_archE1030ELNS1_3gpuE2ELNS1_3repE0EEENS1_30default_config_static_selectorELNS0_4arch9wavefront6targetE0EEEvSR_.private_seg_size, 0
	.set _ZN7rocprim17ROCPRIM_400000_NS6detail17trampoline_kernelINS0_14default_configENS1_32segmented_reduce_config_selectorIN3c108BFloat16EEEZNS1_21segmented_reduce_implIS3_PKS6_PS6_PKiS6_N6hipcub16HIPCUB_304000_NS6detail27convert_result_type_wrapperISA_SB_N2at6native12_GLOBAL__N_110CustomProdEEEEE10hipError_tPvRmT0_T1_jT2_SS_T4_T3_P12ihipStream_tbEUlT_E_NS1_11comp_targetILNS1_3genE8ELNS1_11target_archE1030ELNS1_3gpuE2ELNS1_3repE0EEENS1_30default_config_static_selectorELNS0_4arch9wavefront6targetE0EEEvSR_.uses_vcc, 0
	.set _ZN7rocprim17ROCPRIM_400000_NS6detail17trampoline_kernelINS0_14default_configENS1_32segmented_reduce_config_selectorIN3c108BFloat16EEEZNS1_21segmented_reduce_implIS3_PKS6_PS6_PKiS6_N6hipcub16HIPCUB_304000_NS6detail27convert_result_type_wrapperISA_SB_N2at6native12_GLOBAL__N_110CustomProdEEEEE10hipError_tPvRmT0_T1_jT2_SS_T4_T3_P12ihipStream_tbEUlT_E_NS1_11comp_targetILNS1_3genE8ELNS1_11target_archE1030ELNS1_3gpuE2ELNS1_3repE0EEENS1_30default_config_static_selectorELNS0_4arch9wavefront6targetE0EEEvSR_.uses_flat_scratch, 0
	.set _ZN7rocprim17ROCPRIM_400000_NS6detail17trampoline_kernelINS0_14default_configENS1_32segmented_reduce_config_selectorIN3c108BFloat16EEEZNS1_21segmented_reduce_implIS3_PKS6_PS6_PKiS6_N6hipcub16HIPCUB_304000_NS6detail27convert_result_type_wrapperISA_SB_N2at6native12_GLOBAL__N_110CustomProdEEEEE10hipError_tPvRmT0_T1_jT2_SS_T4_T3_P12ihipStream_tbEUlT_E_NS1_11comp_targetILNS1_3genE8ELNS1_11target_archE1030ELNS1_3gpuE2ELNS1_3repE0EEENS1_30default_config_static_selectorELNS0_4arch9wavefront6targetE0EEEvSR_.has_dyn_sized_stack, 0
	.set _ZN7rocprim17ROCPRIM_400000_NS6detail17trampoline_kernelINS0_14default_configENS1_32segmented_reduce_config_selectorIN3c108BFloat16EEEZNS1_21segmented_reduce_implIS3_PKS6_PS6_PKiS6_N6hipcub16HIPCUB_304000_NS6detail27convert_result_type_wrapperISA_SB_N2at6native12_GLOBAL__N_110CustomProdEEEEE10hipError_tPvRmT0_T1_jT2_SS_T4_T3_P12ihipStream_tbEUlT_E_NS1_11comp_targetILNS1_3genE8ELNS1_11target_archE1030ELNS1_3gpuE2ELNS1_3repE0EEENS1_30default_config_static_selectorELNS0_4arch9wavefront6targetE0EEEvSR_.has_recursion, 0
	.set _ZN7rocprim17ROCPRIM_400000_NS6detail17trampoline_kernelINS0_14default_configENS1_32segmented_reduce_config_selectorIN3c108BFloat16EEEZNS1_21segmented_reduce_implIS3_PKS6_PS6_PKiS6_N6hipcub16HIPCUB_304000_NS6detail27convert_result_type_wrapperISA_SB_N2at6native12_GLOBAL__N_110CustomProdEEEEE10hipError_tPvRmT0_T1_jT2_SS_T4_T3_P12ihipStream_tbEUlT_E_NS1_11comp_targetILNS1_3genE8ELNS1_11target_archE1030ELNS1_3gpuE2ELNS1_3repE0EEENS1_30default_config_static_selectorELNS0_4arch9wavefront6targetE0EEEvSR_.has_indirect_call, 0
	.section	.AMDGPU.csdata,"",@progbits
; Kernel info:
; codeLenInByte = 0
; TotalNumSgprs: 0
; NumVgprs: 0
; ScratchSize: 0
; MemoryBound: 0
; FloatMode: 240
; IeeeMode: 1
; LDSByteSize: 0 bytes/workgroup (compile time only)
; SGPRBlocks: 0
; VGPRBlocks: 0
; NumSGPRsForWavesPerEU: 1
; NumVGPRsForWavesPerEU: 1
; NamedBarCnt: 0
; Occupancy: 16
; WaveLimiterHint : 0
; COMPUTE_PGM_RSRC2:SCRATCH_EN: 0
; COMPUTE_PGM_RSRC2:USER_SGPR: 2
; COMPUTE_PGM_RSRC2:TRAP_HANDLER: 0
; COMPUTE_PGM_RSRC2:TGID_X_EN: 1
; COMPUTE_PGM_RSRC2:TGID_Y_EN: 0
; COMPUTE_PGM_RSRC2:TGID_Z_EN: 0
; COMPUTE_PGM_RSRC2:TIDIG_COMP_CNT: 0
	.section	.text._ZN2at6native12_GLOBAL__N_129segment_reduce_forward_kernelIdlEEvNS0_13ReductionTypeEPT_PKS4_PKT0_SA_llbS4_lllllll,"axG",@progbits,_ZN2at6native12_GLOBAL__N_129segment_reduce_forward_kernelIdlEEvNS0_13ReductionTypeEPT_PKS4_PKT0_SA_llbS4_lllllll,comdat
	.globl	_ZN2at6native12_GLOBAL__N_129segment_reduce_forward_kernelIdlEEvNS0_13ReductionTypeEPT_PKS4_PKT0_SA_llbS4_lllllll ; -- Begin function _ZN2at6native12_GLOBAL__N_129segment_reduce_forward_kernelIdlEEvNS0_13ReductionTypeEPT_PKS4_PKT0_SA_llbS4_lllllll
	.p2align	8
	.type	_ZN2at6native12_GLOBAL__N_129segment_reduce_forward_kernelIdlEEvNS0_13ReductionTypeEPT_PKS4_PKT0_SA_llbS4_lllllll,@function
_ZN2at6native12_GLOBAL__N_129segment_reduce_forward_kernelIdlEEvNS0_13ReductionTypeEPT_PKS4_PKT0_SA_llbS4_lllllll: ; @_ZN2at6native12_GLOBAL__N_129segment_reduce_forward_kernelIdlEEvNS0_13ReductionTypeEPT_PKS4_PKT0_SA_llbS4_lllllll
; %bb.0:
	s_clause 0x2
	s_load_b32 s2, s[0:1], 0x8c
	s_load_b128 s[28:31], s[0:1], 0x28
	s_load_b512 s[4:19], s[0:1], 0x40
	s_bfe_u32 s3, ttmp6, 0x4000c
	v_mov_b32_e32 v2, 0
	s_add_co_i32 s3, s3, 1
	s_and_b32 s20, ttmp6, 15
	s_mul_i32 s3, ttmp9, s3
	s_getreg_b32 s21, hwreg(HW_REG_IB_STS2, 6, 4)
	v_mov_b32_e32 v1, v2
	s_add_co_i32 s20, s20, s3
	s_wait_kmcnt 0x0
	s_and_b32 s2, s2, 0xffff
	s_cmp_eq_u32 s21, 0
	s_cselect_b32 s3, ttmp9, s20
	s_delay_alu instid0(SALU_CYCLE_1) | instskip(SKIP_1) | instid1(SALU_CYCLE_1)
	v_mad_nc_u64_u32 v[4:5], s2, s3, v[0:1]
	s_mul_u64 s[2:3], s[6:7], s[28:29]
	s_mul_u64 s[2:3], s[2:3], s[8:9]
	s_delay_alu instid0(VALU_DEP_1) | instid1(SALU_CYCLE_1)
	v_cmp_gt_i64_e32 vcc_lo, s[2:3], v[4:5]
	s_and_saveexec_b32 s2, vcc_lo
	s_cbranch_execz .LBB144_35
; %bb.1:
	v_or_b32_e32 v3, s9, v5
                                        ; implicit-def: $vgpr8_vgpr9
	s_mov_b32 s2, exec_lo
	s_delay_alu instid0(VALU_DEP_1)
	v_cmpx_ne_u64_e32 0, v[2:3]
	s_xor_b32 s3, exec_lo, s2
	s_cbranch_execz .LBB144_3
; %bb.2:
	s_ashr_i32 s6, s9, 31
	s_mov_b32 s35, 0
	s_mov_b32 s7, s6
	v_dual_mov_b32 v7, 0 :: v_dual_ashrrev_i32 v0, 31, v5
	s_add_nc_u64 s[20:21], s[8:9], s[6:7]
	s_delay_alu instid0(SALU_CYCLE_1) | instskip(NEXT) | instid1(VALU_DEP_1)
	s_xor_b64 s[20:21], s[20:21], s[6:7]
	v_mov_b32_e32 v1, v0
	s_cvt_f32_u32 s2, s20
	s_cvt_f32_u32 s7, s21
	s_sub_nc_u64 s[24:25], 0, s[20:21]
	v_dual_mov_b32 v9, v7 :: v_dual_mov_b32 v15, v7
	s_delay_alu instid0(SALU_CYCLE_1) | instskip(SKIP_1) | instid1(SALU_CYCLE_2)
	s_fmamk_f32 s2, s7, 0x4f800000, s2
	v_add_nc_u64_e32 v[2:3], v[4:5], v[0:1]
	v_s_rcp_f32 s2, s2
	s_delay_alu instid0(VALU_DEP_1) | instskip(NEXT) | instid1(VALU_DEP_2)
	v_xor_b32_e32 v6, v2, v0
	v_xor_b32_e32 v8, v3, v0
	;; [unrolled: 1-line block ×3, first 2 shown]
	s_delay_alu instid0(TRANS32_DEP_1) | instskip(NEXT) | instid1(SALU_CYCLE_3)
	s_mul_f32 s2, s2, 0x5f7ffffc
	s_mul_f32 s7, s2, 0x2f800000
	s_delay_alu instid0(SALU_CYCLE_3) | instskip(NEXT) | instid1(SALU_CYCLE_3)
	s_trunc_f32 s7, s7
	s_fmamk_f32 s2, s7, 0xcf800000, s2
	s_cvt_u32_f32 s23, s7
	s_delay_alu instid0(SALU_CYCLE_2) | instskip(NEXT) | instid1(SALU_CYCLE_3)
	s_cvt_u32_f32 s22, s2
	s_mul_u64 s[26:27], s[24:25], s[22:23]
	s_delay_alu instid0(SALU_CYCLE_1)
	s_mul_hi_u32 s37, s22, s27
	s_mul_i32 s36, s22, s27
	s_mul_hi_u32 s34, s22, s26
	s_mul_i32 s7, s23, s26
	s_add_nc_u64 s[36:37], s[34:35], s[36:37]
	s_mul_hi_u32 s2, s23, s26
	s_mul_hi_u32 s33, s23, s27
	s_add_co_u32 s7, s36, s7
	s_add_co_ci_u32 s34, s37, s2
	s_mul_i32 s26, s23, s27
	s_add_co_ci_u32 s27, s33, 0
	s_delay_alu instid0(SALU_CYCLE_1) | instskip(NEXT) | instid1(SALU_CYCLE_1)
	s_add_nc_u64 s[26:27], s[34:35], s[26:27]
	s_add_co_u32 s22, s22, s26
	s_cselect_b32 s2, -1, 0
	s_delay_alu instid0(SALU_CYCLE_1) | instskip(SKIP_1) | instid1(SALU_CYCLE_1)
	s_cmp_lg_u32 s2, 0
	s_add_co_ci_u32 s23, s23, s27
	s_mul_u64 s[24:25], s[24:25], s[22:23]
	s_delay_alu instid0(SALU_CYCLE_1)
	s_mul_hi_u32 s27, s22, s25
	s_mul_i32 s26, s22, s25
	s_mul_hi_u32 s34, s22, s24
	s_mul_i32 s7, s23, s24
	s_add_nc_u64 s[26:27], s[34:35], s[26:27]
	s_mul_hi_u32 s2, s23, s24
	s_mul_hi_u32 s33, s23, s25
	s_add_co_u32 s7, s26, s7
	s_add_co_ci_u32 s34, s27, s2
	s_mul_i32 s24, s23, s25
	s_add_co_ci_u32 s25, s33, 0
	s_delay_alu instid0(SALU_CYCLE_1) | instskip(NEXT) | instid1(SALU_CYCLE_1)
	s_add_nc_u64 s[24:25], s[34:35], s[24:25]
	s_add_co_u32 s2, s22, s24
	s_cselect_b32 s7, -1, 0
	v_mul_hi_u32 v14, v6, s2
	s_cmp_lg_u32 s7, 0
	s_add_co_ci_u32 s34, s23, s25
	s_mov_b64 s[22:23], 0xffffffff
	v_mul_u64_e32 v[10:11], s[34:35], v[6:7]
	s_and_b64 s[22:23], s[2:3], s[22:23]
	v_mul_u64_e32 v[12:13], s[34:35], v[8:9]
	v_mul_u64_e32 v[2:3], s[22:23], v[8:9]
	s_delay_alu instid0(VALU_DEP_3) | instskip(NEXT) | instid1(VALU_DEP_1)
	v_add_nc_u64_e32 v[10:11], v[14:15], v[10:11]
	v_add_co_u32 v1, vcc_lo, v10, v2
	s_delay_alu instid0(VALU_DEP_2) | instskip(SKIP_1) | instid1(VALU_DEP_1)
	v_add_co_ci_u32_e32 v14, vcc_lo, v11, v3, vcc_lo
	v_add_co_ci_u32_e32 v13, vcc_lo, 0, v13, vcc_lo
	v_add_nc_u64_e32 v[2:3], v[14:15], v[12:13]
	s_delay_alu instid0(VALU_DEP_1) | instskip(NEXT) | instid1(VALU_DEP_1)
	v_mul_u64_e32 v[10:11], s[20:21], v[2:3]
	v_sub_nc_u32_e32 v1, v8, v11
	s_delay_alu instid0(VALU_DEP_2) | instskip(NEXT) | instid1(VALU_DEP_1)
	v_sub_co_u32 v6, vcc_lo, v6, v10
	v_sub_co_ci_u32_e64 v10, null, v8, v11, vcc_lo
	s_delay_alu instid0(VALU_DEP_3) | instskip(NEXT) | instid1(VALU_DEP_3)
	v_subrev_co_ci_u32_e64 v1, null, s21, v1, vcc_lo
	v_sub_co_u32 v7, s2, v6, s20
	s_delay_alu instid0(VALU_DEP_1) | instskip(NEXT) | instid1(VALU_DEP_2)
	v_subrev_co_ci_u32_e64 v1, null, 0, v1, s2
	v_cmp_le_u32_e32 vcc_lo, s20, v7
	v_cndmask_b32_e64 v7, 0, -1, vcc_lo
	s_delay_alu instid0(VALU_DEP_3)
	v_cmp_le_u32_e32 vcc_lo, s21, v1
	v_cndmask_b32_e64 v8, 0, -1, vcc_lo
	v_cmp_le_u32_e32 vcc_lo, s20, v6
	v_cndmask_b32_e64 v11, 0, -1, vcc_lo
	;; [unrolled: 2-line block ×3, first 2 shown]
	v_cmp_eq_u32_e32 vcc_lo, s21, v1
	v_cndmask_b32_e32 v1, v8, v7, vcc_lo
	v_cmp_eq_u32_e32 vcc_lo, s21, v10
	v_add_nc_u64_e32 v[6:7], 2, v[2:3]
	v_add_nc_u64_e32 v[8:9], 1, v[2:3]
	v_cndmask_b32_e32 v10, v12, v11, vcc_lo
	v_cmp_ne_u32_e32 vcc_lo, 0, v1
	s_delay_alu instid0(VALU_DEP_2) | instskip(NEXT) | instid1(VALU_DEP_4)
	v_cmp_ne_u32_e64 s2, 0, v10
	v_dual_cndmask_b32 v6, v8, v6 :: v_dual_cndmask_b32 v1, v9, v7
	s_delay_alu instid0(VALU_DEP_1) | instskip(NEXT) | instid1(VALU_DEP_1)
	v_dual_cndmask_b32 v2, v2, v6, s2 :: v_dual_cndmask_b32 v3, v3, v1, s2
	v_dual_mov_b32 v1, v0 :: v_dual_bitop2_b32 v2, v2, v0 bitop3:0x14
	s_delay_alu instid0(VALU_DEP_2) | instskip(NEXT) | instid1(VALU_DEP_1)
	v_xor_b32_e32 v3, v3, v0
	v_sub_nc_u64_e32 v[8:9], v[2:3], v[0:1]
.LBB144_3:
	s_or_saveexec_b32 s2, s3
	s_load_b256 s[20:27], s[0:1], 0x8
	s_xor_b32 exec_lo, exec_lo, s2
	s_cbranch_execz .LBB144_5
; %bb.4:
	v_cvt_f32_u32_e32 v0, s8
	s_sub_co_i32 s3, 0, s8
	v_mov_b32_e32 v9, 0
	s_delay_alu instid0(VALU_DEP_2) | instskip(SKIP_1) | instid1(TRANS32_DEP_1)
	v_rcp_iflag_f32_e32 v0, v0
	v_nop
	v_mul_f32_e32 v0, 0x4f7ffffe, v0
	s_delay_alu instid0(VALU_DEP_1) | instskip(NEXT) | instid1(VALU_DEP_1)
	v_cvt_u32_f32_e32 v0, v0
	v_mul_lo_u32 v1, s3, v0
	s_delay_alu instid0(VALU_DEP_1) | instskip(NEXT) | instid1(VALU_DEP_1)
	v_mul_hi_u32 v1, v0, v1
	v_add_nc_u32_e32 v0, v0, v1
	s_delay_alu instid0(VALU_DEP_1) | instskip(NEXT) | instid1(VALU_DEP_1)
	v_mul_hi_u32 v0, v4, v0
	v_mul_lo_u32 v1, v0, s8
	s_delay_alu instid0(VALU_DEP_1) | instskip(NEXT) | instid1(VALU_DEP_1)
	v_dual_add_nc_u32 v2, 1, v0 :: v_dual_sub_nc_u32 v1, v4, v1
	v_subrev_nc_u32_e32 v3, s8, v1
	v_cmp_le_u32_e32 vcc_lo, s8, v1
	s_delay_alu instid0(VALU_DEP_2) | instskip(NEXT) | instid1(VALU_DEP_1)
	v_dual_cndmask_b32 v1, v1, v3 :: v_dual_cndmask_b32 v0, v0, v2
	v_cmp_le_u32_e32 vcc_lo, s8, v1
	s_delay_alu instid0(VALU_DEP_2) | instskip(NEXT) | instid1(VALU_DEP_1)
	v_add_nc_u32_e32 v2, 1, v0
	v_cndmask_b32_e32 v8, v0, v2, vcc_lo
.LBB144_5:
	s_or_b32 exec_lo, exec_lo, s2
	s_delay_alu instid0(VALU_DEP_1) | instskip(SKIP_1) | instid1(VALU_DEP_1)
	v_dual_mov_b32 v0, 0 :: v_dual_bitop2_b32 v1, s29, v9 bitop3:0x54
                                        ; implicit-def: $vgpr6_vgpr7
	s_mov_b32 s2, exec_lo
	v_cmpx_ne_u64_e32 0, v[0:1]
	s_xor_b32 s3, exec_lo, s2
	s_cbranch_execz .LBB144_7
; %bb.6:
	s_ashr_i32 s6, s29, 31
	s_mov_b32 s43, 0
	s_mov_b32 s7, s6
	v_dual_mov_b32 v11, v0 :: v_dual_ashrrev_i32 v2, 31, v9
	s_add_nc_u64 s[34:35], s[28:29], s[6:7]
	v_mov_b32_e32 v13, v0
	s_xor_b64 s[34:35], s[34:35], s[6:7]
	s_delay_alu instid0(VALU_DEP_2)
	v_mov_b32_e32 v3, v2
	s_cvt_f32_u32 s2, s34
	s_cvt_f32_u32 s7, s35
	s_sub_nc_u64 s[38:39], 0, s[34:35]
	v_mov_b32_e32 v19, v0
	v_add_nc_u64_e32 v[6:7], v[8:9], v[2:3]
	s_fmamk_f32 s2, s7, 0x4f800000, s2
	v_mov_b32_e32 v1, v0
	s_delay_alu instid0(SALU_CYCLE_2) | instskip(NEXT) | instid1(VALU_DEP_2)
	v_s_rcp_f32 s2, s2
	v_xor_b32_e32 v10, v6, v2
	s_delay_alu instid0(VALU_DEP_3) | instskip(SKIP_1) | instid1(TRANS32_DEP_1)
	v_xor_b32_e32 v12, v7, v2
	v_xor_b32_e32 v2, s6, v2
	s_mul_f32 s2, s2, 0x5f7ffffc
	s_delay_alu instid0(SALU_CYCLE_3) | instskip(NEXT) | instid1(SALU_CYCLE_3)
	s_mul_f32 s7, s2, 0x2f800000
	s_trunc_f32 s7, s7
	s_delay_alu instid0(SALU_CYCLE_3) | instskip(SKIP_1) | instid1(SALU_CYCLE_2)
	s_fmamk_f32 s2, s7, 0xcf800000, s2
	s_cvt_u32_f32 s37, s7
	s_cvt_u32_f32 s36, s2
	s_delay_alu instid0(SALU_CYCLE_3) | instskip(NEXT) | instid1(SALU_CYCLE_1)
	s_mul_u64 s[40:41], s[38:39], s[36:37]
	s_mul_hi_u32 s45, s36, s41
	s_mul_i32 s44, s36, s41
	s_mul_hi_u32 s42, s36, s40
	s_mul_i32 s7, s37, s40
	s_add_nc_u64 s[44:45], s[42:43], s[44:45]
	s_mul_hi_u32 s2, s37, s40
	s_mul_hi_u32 s33, s37, s41
	s_add_co_u32 s7, s44, s7
	s_add_co_ci_u32 s42, s45, s2
	s_mul_i32 s40, s37, s41
	s_add_co_ci_u32 s41, s33, 0
	s_delay_alu instid0(SALU_CYCLE_1) | instskip(NEXT) | instid1(SALU_CYCLE_1)
	s_add_nc_u64 s[40:41], s[42:43], s[40:41]
	s_add_co_u32 s36, s36, s40
	s_cselect_b32 s2, -1, 0
	s_delay_alu instid0(SALU_CYCLE_1) | instskip(SKIP_1) | instid1(SALU_CYCLE_1)
	s_cmp_lg_u32 s2, 0
	s_add_co_ci_u32 s37, s37, s41
	s_mul_u64 s[38:39], s[38:39], s[36:37]
	s_delay_alu instid0(SALU_CYCLE_1)
	s_mul_hi_u32 s41, s36, s39
	s_mul_i32 s40, s36, s39
	s_mul_hi_u32 s42, s36, s38
	s_mul_i32 s7, s37, s38
	s_add_nc_u64 s[40:41], s[42:43], s[40:41]
	s_mul_hi_u32 s2, s37, s38
	s_mul_hi_u32 s33, s37, s39
	s_add_co_u32 s7, s40, s7
	s_add_co_ci_u32 s42, s41, s2
	s_mul_i32 s38, s37, s39
	s_add_co_ci_u32 s39, s33, 0
	s_delay_alu instid0(SALU_CYCLE_1) | instskip(NEXT) | instid1(SALU_CYCLE_1)
	s_add_nc_u64 s[38:39], s[42:43], s[38:39]
	s_add_co_u32 s2, s36, s38
	s_cselect_b32 s7, -1, 0
	v_mul_hi_u32 v18, v10, s2
	s_cmp_lg_u32 s7, 0
	s_add_co_ci_u32 s42, s37, s39
	s_mov_b64 s[36:37], 0xffffffff
	v_mul_u64_e32 v[14:15], s[42:43], v[10:11]
	s_and_b64 s[36:37], s[2:3], s[36:37]
	v_mul_u64_e32 v[16:17], s[42:43], v[12:13]
	v_mul_u64_e32 v[6:7], s[36:37], v[12:13]
	s_delay_alu instid0(VALU_DEP_3) | instskip(NEXT) | instid1(VALU_DEP_1)
	v_add_nc_u64_e32 v[14:15], v[18:19], v[14:15]
	v_add_co_u32 v0, vcc_lo, v14, v6
	s_delay_alu instid0(VALU_DEP_2) | instskip(SKIP_1) | instid1(VALU_DEP_1)
	v_add_co_ci_u32_e32 v0, vcc_lo, v15, v7, vcc_lo
	v_add_co_ci_u32_e32 v17, vcc_lo, 0, v17, vcc_lo
	v_add_nc_u64_e32 v[0:1], v[0:1], v[16:17]
	s_delay_alu instid0(VALU_DEP_1) | instskip(NEXT) | instid1(VALU_DEP_1)
	v_mul_u64_e32 v[6:7], s[34:35], v[0:1]
	v_sub_nc_u32_e32 v3, v12, v7
	s_delay_alu instid0(VALU_DEP_2) | instskip(NEXT) | instid1(VALU_DEP_1)
	v_sub_co_u32 v6, vcc_lo, v10, v6
	v_sub_co_ci_u32_e64 v12, null, v12, v7, vcc_lo
	s_delay_alu instid0(VALU_DEP_3) | instskip(NEXT) | instid1(VALU_DEP_3)
	v_subrev_co_ci_u32_e64 v3, null, s35, v3, vcc_lo
	v_sub_co_u32 v10, s2, v6, s34
	s_delay_alu instid0(VALU_DEP_1) | instskip(NEXT) | instid1(VALU_DEP_2)
	v_subrev_co_ci_u32_e64 v3, null, 0, v3, s2
	v_cmp_le_u32_e32 vcc_lo, s34, v10
	v_cndmask_b32_e64 v7, 0, -1, vcc_lo
	s_delay_alu instid0(VALU_DEP_3)
	v_cmp_le_u32_e32 vcc_lo, s35, v3
	v_cndmask_b32_e64 v10, 0, -1, vcc_lo
	v_cmp_le_u32_e32 vcc_lo, s34, v6
	v_cndmask_b32_e64 v13, 0, -1, vcc_lo
	;; [unrolled: 2-line block ×3, first 2 shown]
	v_cmp_eq_u32_e32 vcc_lo, s35, v3
	v_cndmask_b32_e32 v3, v10, v7, vcc_lo
	v_cmp_eq_u32_e32 vcc_lo, s35, v12
	v_add_nc_u64_e32 v[6:7], 2, v[0:1]
	v_add_nc_u64_e32 v[10:11], 1, v[0:1]
	v_cndmask_b32_e32 v12, v14, v13, vcc_lo
	v_cmp_ne_u32_e32 vcc_lo, 0, v3
	s_delay_alu instid0(VALU_DEP_2) | instskip(NEXT) | instid1(VALU_DEP_4)
	v_cmp_ne_u32_e64 s2, 0, v12
	v_dual_cndmask_b32 v3, v11, v7 :: v_dual_cndmask_b32 v6, v10, v6
	s_delay_alu instid0(VALU_DEP_1) | instskip(NEXT) | instid1(VALU_DEP_1)
	v_dual_cndmask_b32 v1, v1, v3, s2 :: v_dual_cndmask_b32 v0, v0, v6, s2
	v_dual_mov_b32 v3, v2 :: v_dual_bitop2_b32 v1, v1, v2 bitop3:0x14
	s_delay_alu instid0(VALU_DEP_2) | instskip(NEXT) | instid1(VALU_DEP_1)
	v_xor_b32_e32 v0, v0, v2
	v_sub_nc_u64_e32 v[6:7], v[0:1], v[2:3]
.LBB144_7:
	s_and_not1_saveexec_b32 s2, s3
	s_cbranch_execz .LBB144_9
; %bb.8:
	v_cvt_f32_u32_e32 v0, s28
	s_sub_co_i32 s3, 0, s28
	v_mov_b32_e32 v7, 0
	s_delay_alu instid0(VALU_DEP_2) | instskip(SKIP_1) | instid1(TRANS32_DEP_1)
	v_rcp_iflag_f32_e32 v0, v0
	v_nop
	v_mul_f32_e32 v0, 0x4f7ffffe, v0
	s_delay_alu instid0(VALU_DEP_1) | instskip(NEXT) | instid1(VALU_DEP_1)
	v_cvt_u32_f32_e32 v0, v0
	v_mul_lo_u32 v1, s3, v0
	s_delay_alu instid0(VALU_DEP_1) | instskip(NEXT) | instid1(VALU_DEP_1)
	v_mul_hi_u32 v1, v0, v1
	v_add_nc_u32_e32 v0, v0, v1
	s_delay_alu instid0(VALU_DEP_1) | instskip(NEXT) | instid1(VALU_DEP_1)
	v_mul_hi_u32 v0, v8, v0
	v_mul_lo_u32 v1, v0, s28
	s_delay_alu instid0(VALU_DEP_1) | instskip(NEXT) | instid1(VALU_DEP_1)
	v_dual_add_nc_u32 v2, 1, v0 :: v_dual_sub_nc_u32 v1, v8, v1
	v_subrev_nc_u32_e32 v3, s28, v1
	v_cmp_le_u32_e32 vcc_lo, s28, v1
	s_delay_alu instid0(VALU_DEP_2) | instskip(NEXT) | instid1(VALU_DEP_1)
	v_dual_cndmask_b32 v1, v1, v3 :: v_dual_cndmask_b32 v0, v0, v2
	v_cmp_le_u32_e32 vcc_lo, s28, v1
	s_delay_alu instid0(VALU_DEP_2) | instskip(NEXT) | instid1(VALU_DEP_1)
	v_add_nc_u32_e32 v2, 1, v0
	v_cndmask_b32_e32 v6, v0, v2, vcc_lo
.LBB144_9:
	s_or_b32 exec_lo, exec_lo, s2
	s_add_nc_u64 s[2:3], s[28:29], 1
	s_delay_alu instid0(VALU_DEP_1)
	v_mul_u64_e32 v[12:13], s[28:29], v[6:7]
	s_mul_u64 s[2:3], s[18:19], s[2:3]
	v_mov_b64_e32 v[14:15], s[4:5]
	v_mul_u64_e32 v[0:1], s[2:3], v[6:7]
	s_load_b32 s3, s[0:1], 0x0
	s_mov_b32 s6, exec_lo
	s_delay_alu instid0(VALU_DEP_3) | instskip(SKIP_2) | instid1(VALU_DEP_3)
	v_sub_nc_u64_e32 v[10:11], v[8:9], v[12:13]
	v_mul_u64_e32 v[8:9], s[8:9], v[8:9]
	s_wait_kmcnt 0x0
	v_lshl_add_u64 v[0:1], v[0:1], 3, s[26:27]
	s_delay_alu instid0(VALU_DEP_1)
	v_lshl_add_u64 v[0:1], v[10:11], 3, v[0:1]
	global_load_b128 v[0:3], v[0:1], off
	s_wait_loadcnt 0x0
	v_cmpx_lt_i64_e64 v[0:1], v[2:3]
	s_cbranch_execz .LBB144_28
; %bb.10:
	v_mul_u64_e32 v[14:15], s[12:13], v[6:7]
	v_lshlrev_b64_e32 v[16:17], 3, v[0:1]
	v_lshlrev_b64_e32 v[18:19], 3, v[4:5]
	s_cmp_lg_u32 s3, 0
	s_mov_b32 s8, 0
	s_cselect_b32 s7, -1, 0
	s_and_b32 s2, s3, -3
	s_delay_alu instid0(SALU_CYCLE_1) | instskip(SKIP_1) | instid1(VALU_DEP_3)
	s_cmp_lg_u32 s2, 1
	s_cselect_b32 s9, -1, 0
	v_lshl_add_u64 v[14:15], v[14:15], 3, v[16:17]
	s_delay_alu instid0(VALU_DEP_1) | instskip(SKIP_2) | instid1(VALU_DEP_2)
	v_mad_nc_u64_u32 v[16:17], s10, v14, v[18:19]
	v_mov_b64_e32 v[18:19], s[4:5]
	s_lshl_b64 s[4:5], s[10:11], 3
	v_mad_u32 v14, s11, v14, v17
	s_delay_alu instid0(VALU_DEP_1) | instskip(SKIP_1) | instid1(VALU_DEP_1)
	v_mad_u32 v17, s10, v15, v14
	v_lshlrev_b64_e32 v[14:15], 3, v[8:9]
	v_sub_nc_u64_e32 v[14:15], v[16:17], v[14:15]
	s_delay_alu instid0(VALU_DEP_1)
	v_add_nc_u64_e32 v[16:17], s[22:23], v[14:15]
	s_branch .LBB144_12
.LBB144_11:                             ;   in Loop: Header=BB144_12 Depth=1
	v_add_nc_u64_e32 v[0:1], 1, v[0:1]
	s_wait_xcnt 0x0
	v_add_nc_u64_e32 v[16:17], s[4:5], v[16:17]
	s_delay_alu instid0(VALU_DEP_3) | instskip(NEXT) | instid1(VALU_DEP_3)
	v_mov_b64_e32 v[18:19], v[14:15]
	v_cmp_ge_i64_e32 vcc_lo, v[0:1], v[2:3]
	s_or_b32 s8, vcc_lo, s8
	s_delay_alu instid0(SALU_CYCLE_1)
	s_and_not1_b32 exec_lo, exec_lo, s8
	s_cbranch_execz .LBB144_27
.LBB144_12:                             ; =>This Inner Loop Header: Depth=1
	s_wait_loadcnt 0x0
	global_load_b64 v[20:21], v[16:17], off
	s_and_b32 vcc_lo, exec_lo, s7
	s_cbranch_vccz .LBB144_25
; %bb.13:                               ;   in Loop: Header=BB144_12 Depth=1
	s_and_b32 vcc_lo, exec_lo, s9
	s_mov_b32 s2, -1
                                        ; implicit-def: $vgpr14_vgpr15
	s_cbranch_vccz .LBB144_22
; %bb.14:                               ;   in Loop: Header=BB144_12 Depth=1
	s_cmp_lt_i32 s3, 4
                                        ; implicit-def: $vgpr14_vgpr15
	s_cbranch_scc1 .LBB144_18
; %bb.15:                               ;   in Loop: Header=BB144_12 Depth=1
	v_mov_b64_e32 v[14:15], v[18:19]
	s_cmp_eq_u32 s3, 4
	s_cbranch_scc0 .LBB144_17
; %bb.16:                               ;   in Loop: Header=BB144_12 Depth=1
	s_wait_loadcnt 0x0
	v_mul_f64_e32 v[14:15], v[20:21], v[18:19]
.LBB144_17:                             ;   in Loop: Header=BB144_12 Depth=1
	s_mov_b32 s2, 0
.LBB144_18:                             ;   in Loop: Header=BB144_12 Depth=1
	s_delay_alu instid0(SALU_CYCLE_1)
	s_and_not1_b32 vcc_lo, exec_lo, s2
	s_cbranch_vccnz .LBB144_21
; %bb.19:                               ;   in Loop: Header=BB144_12 Depth=1
	v_mov_b64_e32 v[14:15], v[18:19]
	s_cmp_lg_u32 s3, 2
	s_cbranch_scc1 .LBB144_21
; %bb.20:                               ;   in Loop: Header=BB144_12 Depth=1
	s_wait_loadcnt 0x0
	v_cmp_u_f64_e32 vcc_lo, v[20:21], v[20:21]
	v_cmp_lt_f64_e64 s2, v[20:21], v[18:19]
	s_or_b32 vcc_lo, vcc_lo, s2
	v_dual_cndmask_b32 v15, v19, v21 :: v_dual_cndmask_b32 v14, v18, v20
.LBB144_21:                             ;   in Loop: Header=BB144_12 Depth=1
	s_mov_b32 s2, 0
.LBB144_22:                             ;   in Loop: Header=BB144_12 Depth=1
	s_delay_alu instid0(SALU_CYCLE_1)
	s_and_b32 vcc_lo, exec_lo, s2
	s_cbranch_vccz .LBB144_24
; %bb.23:                               ;   in Loop: Header=BB144_12 Depth=1
	s_wait_loadcnt 0x0
	v_add_f64_e32 v[14:15], v[20:21], v[18:19]
.LBB144_24:                             ;   in Loop: Header=BB144_12 Depth=1
	s_cbranch_execnz .LBB144_11
	s_branch .LBB144_26
.LBB144_25:                             ;   in Loop: Header=BB144_12 Depth=1
                                        ; implicit-def: $vgpr14_vgpr15
.LBB144_26:                             ;   in Loop: Header=BB144_12 Depth=1
	s_wait_loadcnt 0x0
	v_cmp_u_f64_e32 vcc_lo, v[20:21], v[20:21]
	v_cmp_lt_f64_e64 s2, v[18:19], v[20:21]
	s_or_b32 vcc_lo, vcc_lo, s2
	v_dual_cndmask_b32 v15, v19, v21 :: v_dual_cndmask_b32 v14, v18, v20
	s_branch .LBB144_11
.LBB144_27:
	s_or_b32 exec_lo, exec_lo, s8
.LBB144_28:
	s_delay_alu instid0(SALU_CYCLE_1) | instskip(SKIP_2) | instid1(VALU_DEP_1)
	s_or_b32 exec_lo, exec_lo, s6
	v_mul_u64_e32 v[0:1], s[30:31], v[12:13]
	s_mov_b32 s2, exec_lo
	v_lshl_add_u64 v[0:1], v[0:1], 3, s[24:25]
	s_delay_alu instid0(VALU_DEP_1)
	v_lshl_add_u64 v[0:1], v[10:11], 3, v[0:1]
	global_load_b64 v[0:1], v[0:1], off
	s_wait_loadcnt 0x0
	v_cmpx_lt_i64_e32 -1, v[0:1]
	s_xor_b32 s2, exec_lo, s2
	s_cbranch_execz .LBB144_34
; %bb.29:
	s_load_b32 s0, s[0:1], 0x38
	v_cmp_ne_u64_e32 vcc_lo, 0, v[0:1]
	v_mov_b64_e32 v[2:3], 0x7ff8000000000000
	s_wait_kmcnt 0x0
	s_bitcmp1_b32 s0, 0
	s_cselect_b32 s0, -1, 0
	s_delay_alu instid0(SALU_CYCLE_1) | instskip(SKIP_2) | instid1(SALU_CYCLE_1)
	s_or_b32 s0, s0, vcc_lo
	s_cmp_lg_u32 s3, 1
	s_cselect_b32 s3, -1, 0
	s_or_b32 s0, s3, s0
	s_delay_alu instid0(SALU_CYCLE_1)
	s_and_saveexec_b32 s1, s0
	s_cbranch_execz .LBB144_33
; %bb.30:
	v_cmp_o_f64_e32 vcc_lo, v[14:15], v[14:15]
	v_cmp_ne_u64_e64 s0, 0, v[0:1]
	s_xor_b32 s3, s3, -1
	s_delay_alu instid0(SALU_CYCLE_1) | instskip(NEXT) | instid1(SALU_CYCLE_1)
	s_and_b32 s0, s3, s0
	s_and_b32 s3, s0, vcc_lo
	s_delay_alu instid0(SALU_CYCLE_1)
	s_and_saveexec_b32 s0, s3
	s_cbranch_execz .LBB144_32
; %bb.31:
	v_cvt_f64_u32_e32 v[2:3], v1
	v_cvt_f64_u32_e32 v[0:1], v0
	s_delay_alu instid0(VALU_DEP_2) | instskip(NEXT) | instid1(VALU_DEP_1)
	v_ldexp_f64 v[2:3], v[2:3], 32
	v_add_f64_e32 v[0:1], v[2:3], v[0:1]
	s_delay_alu instid0(VALU_DEP_1) | instskip(NEXT) | instid1(VALU_DEP_1)
	v_div_scale_f64 v[2:3], null, v[0:1], v[0:1], v[14:15]
	v_rcp_f64_e32 v[12:13], v[2:3]
	v_nop
	s_delay_alu instid0(TRANS32_DEP_1) | instskip(NEXT) | instid1(VALU_DEP_1)
	v_fma_f64 v[16:17], -v[2:3], v[12:13], 1.0
	v_fmac_f64_e32 v[12:13], v[12:13], v[16:17]
	s_delay_alu instid0(VALU_DEP_1) | instskip(NEXT) | instid1(VALU_DEP_1)
	v_fma_f64 v[16:17], -v[2:3], v[12:13], 1.0
	v_fmac_f64_e32 v[12:13], v[12:13], v[16:17]
	v_div_scale_f64 v[16:17], vcc_lo, v[14:15], v[0:1], v[14:15]
	s_delay_alu instid0(VALU_DEP_1) | instskip(NEXT) | instid1(VALU_DEP_1)
	v_mul_f64_e32 v[18:19], v[16:17], v[12:13]
	v_fma_f64 v[2:3], -v[2:3], v[18:19], v[16:17]
	s_delay_alu instid0(VALU_DEP_1) | instskip(NEXT) | instid1(VALU_DEP_1)
	v_div_fmas_f64 v[2:3], v[2:3], v[12:13], v[18:19]
	v_div_fixup_f64 v[14:15], v[2:3], v[0:1], v[14:15]
.LBB144_32:
	s_or_b32 exec_lo, exec_lo, s0
	s_delay_alu instid0(VALU_DEP_1)
	v_mov_b64_e32 v[2:3], v[14:15]
.LBB144_33:
	s_or_b32 exec_lo, exec_lo, s1
	s_mul_u64 s[0:1], s[16:17], s[14:15]
	v_sub_nc_u64_e32 v[4:5], v[4:5], v[8:9]
	v_mul_u64_e32 v[0:1], s[0:1], v[6:7]
	v_mul_u64_e32 v[6:7], s[14:15], v[10:11]
	s_delay_alu instid0(VALU_DEP_2) | instskip(NEXT) | instid1(VALU_DEP_1)
	v_lshl_add_u64 v[0:1], v[0:1], 3, s[20:21]
	v_lshl_add_u64 v[0:1], v[6:7], 3, v[0:1]
	s_delay_alu instid0(VALU_DEP_1)
	v_lshl_add_u64 v[0:1], v[4:5], 3, v[0:1]
	global_store_b64 v[0:1], v[2:3], off
.LBB144_34:
	s_wait_xcnt 0x0
	s_and_not1_saveexec_b32 s0, s2
	s_cbranch_execnz .LBB144_36
.LBB144_35:
	s_endpgm
.LBB144_36:
	s_trap 2
	; divergent unreachable
	s_endpgm
	.section	.rodata,"a",@progbits
	.p2align	6, 0x0
	.amdhsa_kernel _ZN2at6native12_GLOBAL__N_129segment_reduce_forward_kernelIdlEEvNS0_13ReductionTypeEPT_PKS4_PKT0_SA_llbS4_lllllll
		.amdhsa_group_segment_fixed_size 0
		.amdhsa_private_segment_fixed_size 0
		.amdhsa_kernarg_size 384
		.amdhsa_user_sgpr_count 2
		.amdhsa_user_sgpr_dispatch_ptr 0
		.amdhsa_user_sgpr_queue_ptr 0
		.amdhsa_user_sgpr_kernarg_segment_ptr 1
		.amdhsa_user_sgpr_dispatch_id 0
		.amdhsa_user_sgpr_kernarg_preload_length 0
		.amdhsa_user_sgpr_kernarg_preload_offset 0
		.amdhsa_user_sgpr_private_segment_size 0
		.amdhsa_wavefront_size32 1
		.amdhsa_uses_dynamic_stack 0
		.amdhsa_enable_private_segment 0
		.amdhsa_system_sgpr_workgroup_id_x 1
		.amdhsa_system_sgpr_workgroup_id_y 0
		.amdhsa_system_sgpr_workgroup_id_z 0
		.amdhsa_system_sgpr_workgroup_info 0
		.amdhsa_system_vgpr_workitem_id 0
		.amdhsa_next_free_vgpr 22
		.amdhsa_next_free_sgpr 46
		.amdhsa_named_barrier_count 0
		.amdhsa_reserve_vcc 1
		.amdhsa_float_round_mode_32 0
		.amdhsa_float_round_mode_16_64 0
		.amdhsa_float_denorm_mode_32 3
		.amdhsa_float_denorm_mode_16_64 3
		.amdhsa_fp16_overflow 0
		.amdhsa_memory_ordered 1
		.amdhsa_forward_progress 1
		.amdhsa_inst_pref_size 20
		.amdhsa_round_robin_scheduling 0
		.amdhsa_exception_fp_ieee_invalid_op 0
		.amdhsa_exception_fp_denorm_src 0
		.amdhsa_exception_fp_ieee_div_zero 0
		.amdhsa_exception_fp_ieee_overflow 0
		.amdhsa_exception_fp_ieee_underflow 0
		.amdhsa_exception_fp_ieee_inexact 0
		.amdhsa_exception_int_div_zero 0
	.end_amdhsa_kernel
	.section	.text._ZN2at6native12_GLOBAL__N_129segment_reduce_forward_kernelIdlEEvNS0_13ReductionTypeEPT_PKS4_PKT0_SA_llbS4_lllllll,"axG",@progbits,_ZN2at6native12_GLOBAL__N_129segment_reduce_forward_kernelIdlEEvNS0_13ReductionTypeEPT_PKS4_PKT0_SA_llbS4_lllllll,comdat
.Lfunc_end144:
	.size	_ZN2at6native12_GLOBAL__N_129segment_reduce_forward_kernelIdlEEvNS0_13ReductionTypeEPT_PKS4_PKT0_SA_llbS4_lllllll, .Lfunc_end144-_ZN2at6native12_GLOBAL__N_129segment_reduce_forward_kernelIdlEEvNS0_13ReductionTypeEPT_PKS4_PKT0_SA_llbS4_lllllll
                                        ; -- End function
	.set _ZN2at6native12_GLOBAL__N_129segment_reduce_forward_kernelIdlEEvNS0_13ReductionTypeEPT_PKS4_PKT0_SA_llbS4_lllllll.num_vgpr, 22
	.set _ZN2at6native12_GLOBAL__N_129segment_reduce_forward_kernelIdlEEvNS0_13ReductionTypeEPT_PKS4_PKT0_SA_llbS4_lllllll.num_agpr, 0
	.set _ZN2at6native12_GLOBAL__N_129segment_reduce_forward_kernelIdlEEvNS0_13ReductionTypeEPT_PKS4_PKT0_SA_llbS4_lllllll.numbered_sgpr, 46
	.set _ZN2at6native12_GLOBAL__N_129segment_reduce_forward_kernelIdlEEvNS0_13ReductionTypeEPT_PKS4_PKT0_SA_llbS4_lllllll.num_named_barrier, 0
	.set _ZN2at6native12_GLOBAL__N_129segment_reduce_forward_kernelIdlEEvNS0_13ReductionTypeEPT_PKS4_PKT0_SA_llbS4_lllllll.private_seg_size, 0
	.set _ZN2at6native12_GLOBAL__N_129segment_reduce_forward_kernelIdlEEvNS0_13ReductionTypeEPT_PKS4_PKT0_SA_llbS4_lllllll.uses_vcc, 1
	.set _ZN2at6native12_GLOBAL__N_129segment_reduce_forward_kernelIdlEEvNS0_13ReductionTypeEPT_PKS4_PKT0_SA_llbS4_lllllll.uses_flat_scratch, 0
	.set _ZN2at6native12_GLOBAL__N_129segment_reduce_forward_kernelIdlEEvNS0_13ReductionTypeEPT_PKS4_PKT0_SA_llbS4_lllllll.has_dyn_sized_stack, 0
	.set _ZN2at6native12_GLOBAL__N_129segment_reduce_forward_kernelIdlEEvNS0_13ReductionTypeEPT_PKS4_PKT0_SA_llbS4_lllllll.has_recursion, 0
	.set _ZN2at6native12_GLOBAL__N_129segment_reduce_forward_kernelIdlEEvNS0_13ReductionTypeEPT_PKS4_PKT0_SA_llbS4_lllllll.has_indirect_call, 0
	.section	.AMDGPU.csdata,"",@progbits
; Kernel info:
; codeLenInByte = 2452
; TotalNumSgprs: 48
; NumVgprs: 22
; ScratchSize: 0
; MemoryBound: 0
; FloatMode: 240
; IeeeMode: 1
; LDSByteSize: 0 bytes/workgroup (compile time only)
; SGPRBlocks: 0
; VGPRBlocks: 1
; NumSGPRsForWavesPerEU: 48
; NumVGPRsForWavesPerEU: 22
; NamedBarCnt: 0
; Occupancy: 16
; WaveLimiterHint : 0
; COMPUTE_PGM_RSRC2:SCRATCH_EN: 0
; COMPUTE_PGM_RSRC2:USER_SGPR: 2
; COMPUTE_PGM_RSRC2:TRAP_HANDLER: 0
; COMPUTE_PGM_RSRC2:TGID_X_EN: 1
; COMPUTE_PGM_RSRC2:TGID_Y_EN: 0
; COMPUTE_PGM_RSRC2:TGID_Z_EN: 0
; COMPUTE_PGM_RSRC2:TIDIG_COMP_CNT: 0
	.section	.text._ZN7rocprim17ROCPRIM_400000_NS6detail17trampoline_kernelINS0_14default_configENS1_32segmented_reduce_config_selectorIdEEZNS1_21segmented_reduce_implIS3_PKdPdPKldN6hipcub16HIPCUB_304000_NS6detail27convert_result_type_wrapperIS8_S9_N2at6native12_GLOBAL__N_19CustomMaxEEEEE10hipError_tPvRmT0_T1_jT2_SQ_T4_T3_P12ihipStream_tbEUlT_E_NS1_11comp_targetILNS1_3genE0ELNS1_11target_archE4294967295ELNS1_3gpuE0ELNS1_3repE0EEENS1_30default_config_static_selectorELNS0_4arch9wavefront6targetE0EEEvSP_,"axG",@progbits,_ZN7rocprim17ROCPRIM_400000_NS6detail17trampoline_kernelINS0_14default_configENS1_32segmented_reduce_config_selectorIdEEZNS1_21segmented_reduce_implIS3_PKdPdPKldN6hipcub16HIPCUB_304000_NS6detail27convert_result_type_wrapperIS8_S9_N2at6native12_GLOBAL__N_19CustomMaxEEEEE10hipError_tPvRmT0_T1_jT2_SQ_T4_T3_P12ihipStream_tbEUlT_E_NS1_11comp_targetILNS1_3genE0ELNS1_11target_archE4294967295ELNS1_3gpuE0ELNS1_3repE0EEENS1_30default_config_static_selectorELNS0_4arch9wavefront6targetE0EEEvSP_,comdat
	.globl	_ZN7rocprim17ROCPRIM_400000_NS6detail17trampoline_kernelINS0_14default_configENS1_32segmented_reduce_config_selectorIdEEZNS1_21segmented_reduce_implIS3_PKdPdPKldN6hipcub16HIPCUB_304000_NS6detail27convert_result_type_wrapperIS8_S9_N2at6native12_GLOBAL__N_19CustomMaxEEEEE10hipError_tPvRmT0_T1_jT2_SQ_T4_T3_P12ihipStream_tbEUlT_E_NS1_11comp_targetILNS1_3genE0ELNS1_11target_archE4294967295ELNS1_3gpuE0ELNS1_3repE0EEENS1_30default_config_static_selectorELNS0_4arch9wavefront6targetE0EEEvSP_ ; -- Begin function _ZN7rocprim17ROCPRIM_400000_NS6detail17trampoline_kernelINS0_14default_configENS1_32segmented_reduce_config_selectorIdEEZNS1_21segmented_reduce_implIS3_PKdPdPKldN6hipcub16HIPCUB_304000_NS6detail27convert_result_type_wrapperIS8_S9_N2at6native12_GLOBAL__N_19CustomMaxEEEEE10hipError_tPvRmT0_T1_jT2_SQ_T4_T3_P12ihipStream_tbEUlT_E_NS1_11comp_targetILNS1_3genE0ELNS1_11target_archE4294967295ELNS1_3gpuE0ELNS1_3repE0EEENS1_30default_config_static_selectorELNS0_4arch9wavefront6targetE0EEEvSP_
	.p2align	8
	.type	_ZN7rocprim17ROCPRIM_400000_NS6detail17trampoline_kernelINS0_14default_configENS1_32segmented_reduce_config_selectorIdEEZNS1_21segmented_reduce_implIS3_PKdPdPKldN6hipcub16HIPCUB_304000_NS6detail27convert_result_type_wrapperIS8_S9_N2at6native12_GLOBAL__N_19CustomMaxEEEEE10hipError_tPvRmT0_T1_jT2_SQ_T4_T3_P12ihipStream_tbEUlT_E_NS1_11comp_targetILNS1_3genE0ELNS1_11target_archE4294967295ELNS1_3gpuE0ELNS1_3repE0EEENS1_30default_config_static_selectorELNS0_4arch9wavefront6targetE0EEEvSP_,@function
_ZN7rocprim17ROCPRIM_400000_NS6detail17trampoline_kernelINS0_14default_configENS1_32segmented_reduce_config_selectorIdEEZNS1_21segmented_reduce_implIS3_PKdPdPKldN6hipcub16HIPCUB_304000_NS6detail27convert_result_type_wrapperIS8_S9_N2at6native12_GLOBAL__N_19CustomMaxEEEEE10hipError_tPvRmT0_T1_jT2_SQ_T4_T3_P12ihipStream_tbEUlT_E_NS1_11comp_targetILNS1_3genE0ELNS1_11target_archE4294967295ELNS1_3gpuE0ELNS1_3repE0EEENS1_30default_config_static_selectorELNS0_4arch9wavefront6targetE0EEEvSP_: ; @_ZN7rocprim17ROCPRIM_400000_NS6detail17trampoline_kernelINS0_14default_configENS1_32segmented_reduce_config_selectorIdEEZNS1_21segmented_reduce_implIS3_PKdPdPKldN6hipcub16HIPCUB_304000_NS6detail27convert_result_type_wrapperIS8_S9_N2at6native12_GLOBAL__N_19CustomMaxEEEEE10hipError_tPvRmT0_T1_jT2_SQ_T4_T3_P12ihipStream_tbEUlT_E_NS1_11comp_targetILNS1_3genE0ELNS1_11target_archE4294967295ELNS1_3gpuE0ELNS1_3repE0EEENS1_30default_config_static_selectorELNS0_4arch9wavefront6targetE0EEEvSP_
; %bb.0:
	s_clause 0x1
	s_load_b256 s[4:11], s[0:1], 0x0
	s_load_b64 s[14:15], s[0:1], 0x20
	s_bfe_u32 s2, ttmp6, 0x4000c
	s_and_b32 s3, ttmp6, 15
	s_add_co_i32 s2, s2, 1
	s_getreg_b32 s16, hwreg(HW_REG_IB_STS2, 6, 4)
	s_mul_i32 s2, ttmp9, s2
	s_load_b64 s[12:13], s[0:1], 0x30
	s_add_co_i32 s3, s3, s2
	s_mov_b32 s18, 0
	s_wait_kmcnt 0x0
	s_lshl_b64 s[8:9], s[8:9], 3
	s_cmp_eq_u32 s16, 0
	s_add_nc_u64 s[0:1], s[10:11], s[8:9]
	s_cselect_b32 s2, ttmp9, s3
	s_add_nc_u64 s[16:17], s[14:15], s[8:9]
	s_load_b64 s[14:15], s[0:1], s2 offset:0x0 scale_offset
	s_load_b64 s[10:11], s[16:17], s2 offset:0x0 scale_offset
	s_mov_b32 s3, 0
	s_wait_xcnt 0x0
	s_mov_b32 s1, -1
	s_wait_kmcnt 0x0
	v_cmp_gt_i64_e64 s0, s[10:11], s[14:15]
	s_and_b32 vcc_lo, exec_lo, s0
	v_cmp_eq_u32_e64 s0, 0, v0
	s_cbranch_vccnz .LBB145_2
; %bb.1:
	s_mov_b32 s1, 0
	s_and_b32 s18, s0, exec_lo
.LBB145_2:
	s_and_not1_b32 vcc_lo, exec_lo, s1
	s_cbranch_vccnz .LBB145_67
; %bb.3:
	s_add_nc_u64 s[0:1], s[14:15], 0x800
	s_delay_alu instid0(SALU_CYCLE_1)
	v_cmp_le_i64_e64 s16, s[0:1], s[10:11]
	s_and_b32 vcc_lo, exec_lo, s16
	s_cbranch_vccz .LBB145_68
; %bb.4:
	s_lshl_b64 s[16:17], s[14:15], 3
	s_mov_b32 s19, exec_lo
	s_add_nc_u64 s[16:17], s[4:5], s[16:17]
	s_clause 0x7
	global_load_b64 v[18:19], v0, s[16:17] scale_offset
	global_load_b64 v[16:17], v0, s[16:17] offset:2048 scale_offset
	global_load_b64 v[14:15], v0, s[16:17] offset:4096 scale_offset
	;; [unrolled: 1-line block ×7, first 2 shown]
	s_wait_loadcnt 0x7
	v_mov_b64_e32 v[10:11], v[18:19]
	s_wait_xcnt 0x0
	v_cmpx_o_f64_e32 v[18:19], v[18:19]
	s_cbranch_execz .LBB145_8
; %bb.5:
	s_wait_loadcnt 0x6
	v_mov_b64_e32 v[10:11], v[16:17]
	s_mov_b32 s20, exec_lo
	v_cmpx_o_f64_e32 v[16:17], v[16:17]
	s_cbranch_execz .LBB145_7
; %bb.6:
	v_cmp_lt_f64_e32 vcc_lo, v[18:19], v[16:17]
	v_dual_cndmask_b32 v11, v19, v17 :: v_dual_cndmask_b32 v10, v18, v16
.LBB145_7:
	s_or_b32 exec_lo, exec_lo, s20
.LBB145_8:
	s_delay_alu instid0(SALU_CYCLE_1) | instskip(NEXT) | instid1(SALU_CYCLE_1)
	s_or_b32 exec_lo, exec_lo, s19
	s_mov_b32 s19, exec_lo
	s_delay_alu instid0(VALU_DEP_1)
	v_cmpx_o_f64_e32 v[10:11], v[10:11]
	s_cbranch_execz .LBB145_12
; %bb.9:
	s_wait_loadcnt 0x5
	v_mov_b64_e32 v[20:21], v[14:15]
	s_mov_b32 s20, exec_lo
	v_cmpx_o_f64_e32 v[14:15], v[14:15]
	s_cbranch_execz .LBB145_11
; %bb.10:
	v_cmp_lt_f64_e32 vcc_lo, v[10:11], v[14:15]
	v_dual_cndmask_b32 v21, v11, v15 :: v_dual_cndmask_b32 v20, v10, v14
.LBB145_11:
	s_or_b32 exec_lo, exec_lo, s20
	s_delay_alu instid0(VALU_DEP_1)
	v_mov_b64_e32 v[10:11], v[20:21]
.LBB145_12:
	s_or_b32 exec_lo, exec_lo, s19
	s_delay_alu instid0(SALU_CYCLE_1) | instskip(NEXT) | instid1(VALU_DEP_1)
	s_mov_b32 s19, exec_lo
	v_cmpx_o_f64_e32 v[10:11], v[10:11]
	s_cbranch_execz .LBB145_16
; %bb.13:
	s_wait_loadcnt 0x4
	v_mov_b64_e32 v[20:21], v[12:13]
	s_mov_b32 s20, exec_lo
	v_cmpx_o_f64_e32 v[12:13], v[12:13]
	s_cbranch_execz .LBB145_15
; %bb.14:
	v_cmp_lt_f64_e32 vcc_lo, v[10:11], v[12:13]
	v_dual_cndmask_b32 v21, v11, v13 :: v_dual_cndmask_b32 v20, v10, v12
.LBB145_15:
	s_or_b32 exec_lo, exec_lo, s20
	s_delay_alu instid0(VALU_DEP_1)
	v_mov_b64_e32 v[10:11], v[20:21]
.LBB145_16:
	s_or_b32 exec_lo, exec_lo, s19
	s_delay_alu instid0(SALU_CYCLE_1) | instskip(NEXT) | instid1(VALU_DEP_1)
	s_mov_b32 s19, exec_lo
	;; [unrolled: 19-line block ×5, first 2 shown]
	v_cmpx_o_f64_e32 v[10:11], v[10:11]
	s_cbranch_execz .LBB145_32
; %bb.29:
	s_wait_loadcnt 0x0
	v_mov_b64_e32 v[20:21], v[2:3]
	s_mov_b32 s20, exec_lo
	v_cmpx_o_f64_e32 v[2:3], v[2:3]
	s_cbranch_execz .LBB145_31
; %bb.30:
	v_cmp_lt_f64_e32 vcc_lo, v[10:11], v[2:3]
	v_dual_cndmask_b32 v21, v11, v3 :: v_dual_cndmask_b32 v20, v10, v2
.LBB145_31:
	s_or_b32 exec_lo, exec_lo, s20
	s_delay_alu instid0(VALU_DEP_1)
	v_mov_b64_e32 v[10:11], v[20:21]
.LBB145_32:
	s_or_b32 exec_lo, exec_lo, s19
	s_add_nc_u64 s[20:21], s[14:15], 0x1000
	s_delay_alu instid0(SALU_CYCLE_1)
	v_cmp_ge_i64_e64 s19, s[20:21], s[10:11]
	s_and_b32 vcc_lo, exec_lo, s19
	s_cbranch_vccnz .LBB145_69
; %bb.33:
	s_wait_loadcnt 0x0
	v_dual_mov_b32 v3, 0 :: v_dual_lshlrev_b32 v2, 3, v0
	s_delay_alu instid0(VALU_DEP_1) | instskip(NEXT) | instid1(VALU_DEP_1)
	v_add_nc_u64_e32 v[2:3], s[16:17], v[2:3]
	v_add_nc_u64_e32 v[20:21], 0x4000, v[2:3]
	s_branch .LBB145_36
.LBB145_34:                             ;   in Loop: Header=BB145_36 Depth=1
	s_or_b32 exec_lo, exec_lo, s17
	s_delay_alu instid0(VALU_DEP_1)
	v_mov_b64_e32 v[10:11], v[22:23]
.LBB145_35:                             ;   in Loop: Header=BB145_36 Depth=1
	s_or_b32 exec_lo, exec_lo, s16
	s_add_nc_u64 s[16:17], s[0:1], 0x1000
	v_add_nc_u64_e32 v[20:21], 0x4000, v[20:21]
	v_cmp_lt_i64_e64 s16, s[16:17], s[10:11]
	s_add_nc_u64 s[0:1], s[0:1], 0x800
	s_and_b32 vcc_lo, exec_lo, s16
	s_cbranch_vccz .LBB145_69
.LBB145_36:                             ; =>This Inner Loop Header: Depth=1
	s_wait_loadcnt 0x7
	global_load_b64 v[18:19], v[20:21], off
	s_wait_loadcnt 0x7
	global_load_b64 v[16:17], v[20:21], off offset:2048
	s_wait_loadcnt 0x7
	global_load_b64 v[14:15], v[20:21], off offset:4096
	;; [unrolled: 2-line block ×7, first 2 shown]
	s_mov_b32 s16, exec_lo
	s_wait_xcnt 0x0
	v_cmpx_o_f64_e32 v[10:11], v[10:11]
	s_cbranch_execz .LBB145_40
; %bb.37:                               ;   in Loop: Header=BB145_36 Depth=1
	s_wait_loadcnt 0x7
	v_mov_b64_e32 v[22:23], v[18:19]
	s_mov_b32 s17, exec_lo
	v_cmpx_o_f64_e32 v[18:19], v[18:19]
	s_cbranch_execz .LBB145_39
; %bb.38:                               ;   in Loop: Header=BB145_36 Depth=1
	v_cmp_lt_f64_e32 vcc_lo, v[10:11], v[18:19]
	v_dual_cndmask_b32 v23, v11, v19 :: v_dual_cndmask_b32 v22, v10, v18
.LBB145_39:                             ;   in Loop: Header=BB145_36 Depth=1
	s_or_b32 exec_lo, exec_lo, s17
	s_delay_alu instid0(VALU_DEP_1)
	v_mov_b64_e32 v[10:11], v[22:23]
.LBB145_40:                             ;   in Loop: Header=BB145_36 Depth=1
	s_or_b32 exec_lo, exec_lo, s16
	s_delay_alu instid0(SALU_CYCLE_1) | instskip(NEXT) | instid1(VALU_DEP_1)
	s_mov_b32 s16, exec_lo
	v_cmpx_o_f64_e32 v[10:11], v[10:11]
	s_cbranch_execz .LBB145_44
; %bb.41:                               ;   in Loop: Header=BB145_36 Depth=1
	s_wait_loadcnt 0x6
	v_mov_b64_e32 v[22:23], v[16:17]
	s_mov_b32 s17, exec_lo
	v_cmpx_o_f64_e32 v[16:17], v[16:17]
	s_cbranch_execz .LBB145_43
; %bb.42:                               ;   in Loop: Header=BB145_36 Depth=1
	v_cmp_lt_f64_e32 vcc_lo, v[10:11], v[16:17]
	v_dual_cndmask_b32 v23, v11, v17 :: v_dual_cndmask_b32 v22, v10, v16
.LBB145_43:                             ;   in Loop: Header=BB145_36 Depth=1
	s_or_b32 exec_lo, exec_lo, s17
	s_delay_alu instid0(VALU_DEP_1)
	v_mov_b64_e32 v[10:11], v[22:23]
.LBB145_44:                             ;   in Loop: Header=BB145_36 Depth=1
	s_or_b32 exec_lo, exec_lo, s16
	s_delay_alu instid0(SALU_CYCLE_1) | instskip(NEXT) | instid1(VALU_DEP_1)
	s_mov_b32 s16, exec_lo
	;; [unrolled: 19-line block ×7, first 2 shown]
	v_cmpx_o_f64_e32 v[10:11], v[10:11]
	s_cbranch_execz .LBB145_35
; %bb.65:                               ;   in Loop: Header=BB145_36 Depth=1
	s_wait_loadcnt 0x0
	v_mov_b64_e32 v[22:23], v[2:3]
	s_mov_b32 s17, exec_lo
	v_cmpx_o_f64_e32 v[2:3], v[2:3]
	s_cbranch_execz .LBB145_34
; %bb.66:                               ;   in Loop: Header=BB145_36 Depth=1
	v_cmp_lt_f64_e32 vcc_lo, v[10:11], v[2:3]
	v_dual_cndmask_b32 v23, v11, v3 :: v_dual_cndmask_b32 v22, v10, v2
	s_branch .LBB145_34
.LBB145_67:
	v_mov_b64_e32 v[4:5], s[12:13]
	s_and_saveexec_b32 s0, s18
	s_cbranch_execnz .LBB145_259
	s_branch .LBB145_260
.LBB145_68:
                                        ; implicit-def: $vgpr2_vgpr3
	s_cbranch_execnz .LBB145_154
	s_branch .LBB145_252
.LBB145_69:
	s_sub_co_i32 s16, s10, s0
	s_lshl_b64 s[0:1], s[0:1], 3
	s_mov_b32 s17, exec_lo
	s_add_nc_u64 s[0:1], s[4:5], s[0:1]
	v_cmpx_gt_u32_e64 s16, v0
	s_cbranch_execz .LBB145_71
; %bb.70:
	s_wait_loadcnt 0x7
	global_load_b64 v[18:19], v0, s[0:1] scale_offset
.LBB145_71:
	s_wait_xcnt 0x0
	s_or_b32 exec_lo, exec_lo, s17
	v_or_b32_e32 v25, 0x100, v0
	s_mov_b32 s17, exec_lo
	s_delay_alu instid0(VALU_DEP_1)
	v_cmpx_gt_u32_e64 s16, v25
	s_cbranch_execz .LBB145_73
; %bb.72:
	s_wait_loadcnt 0x6
	global_load_b64 v[16:17], v0, s[0:1] offset:2048 scale_offset
.LBB145_73:
	s_wait_xcnt 0x0
	s_or_b32 exec_lo, exec_lo, s17
	v_or_b32_e32 v24, 0x200, v0
	s_mov_b32 s17, exec_lo
	s_delay_alu instid0(VALU_DEP_1)
	v_cmpx_gt_u32_e64 s16, v24
	s_cbranch_execz .LBB145_75
; %bb.74:
	s_wait_loadcnt 0x5
	global_load_b64 v[14:15], v0, s[0:1] offset:4096 scale_offset
.LBB145_75:
	;; [unrolled: 11-line block ×7, first 2 shown]
	s_wait_xcnt 0x0
	s_or_b32 exec_lo, exec_lo, s17
	v_cmp_o_f64_e32 vcc_lo, v[10:11], v[10:11]
	v_cmp_gt_u32_e64 s0, s16, v0
	s_and_b32 s1, s0, vcc_lo
	s_delay_alu instid0(SALU_CYCLE_1)
	s_and_saveexec_b32 s0, s1
	s_cbranch_execz .LBB145_89
; %bb.86:
	s_mov_b32 s1, exec_lo
	s_wait_loadcnt 0x0
	v_cmpx_o_f64_e32 v[18:19], v[18:19]
	s_cbranch_execz .LBB145_88
; %bb.87:
	v_cmp_lt_f64_e32 vcc_lo, v[10:11], v[18:19]
	v_dual_cndmask_b32 v19, v11, v19 :: v_dual_cndmask_b32 v18, v10, v18
.LBB145_88:
	s_or_b32 exec_lo, exec_lo, s1
	s_delay_alu instid0(VALU_DEP_1)
	v_mov_b64_e32 v[10:11], v[18:19]
.LBB145_89:
	s_or_b32 exec_lo, exec_lo, s0
	s_delay_alu instid0(VALU_DEP_1) | instskip(SKIP_2) | instid1(SALU_CYCLE_1)
	v_cmp_o_f64_e32 vcc_lo, v[10:11], v[10:11]
	v_cmp_gt_u32_e64 s0, s16, v25
	s_and_b32 s1, s0, vcc_lo
	s_and_saveexec_b32 s0, s1
	s_cbranch_execz .LBB145_93
; %bb.90:
	s_mov_b32 s1, exec_lo
	s_wait_loadcnt 0x0
	v_cmpx_o_f64_e32 v[16:17], v[16:17]
	s_cbranch_execz .LBB145_92
; %bb.91:
	v_cmp_lt_f64_e32 vcc_lo, v[10:11], v[16:17]
	v_dual_cndmask_b32 v17, v11, v17 :: v_dual_cndmask_b32 v16, v10, v16
.LBB145_92:
	s_or_b32 exec_lo, exec_lo, s1
	s_delay_alu instid0(VALU_DEP_1)
	v_mov_b64_e32 v[10:11], v[16:17]
.LBB145_93:
	s_or_b32 exec_lo, exec_lo, s0
	s_delay_alu instid0(VALU_DEP_1) | instskip(SKIP_2) | instid1(SALU_CYCLE_1)
	v_cmp_o_f64_e32 vcc_lo, v[10:11], v[10:11]
	v_cmp_gt_u32_e64 s0, s16, v24
	s_and_b32 s1, s0, vcc_lo
	;; [unrolled: 20-line block ×7, first 2 shown]
	s_and_saveexec_b32 s0, s1
	s_cbranch_execz .LBB145_117
; %bb.114:
	s_mov_b32 s1, exec_lo
	s_wait_loadcnt 0x0
	v_cmpx_o_f64_e32 v[2:3], v[2:3]
	s_cbranch_execz .LBB145_116
; %bb.115:
	v_cmp_lt_f64_e32 vcc_lo, v[10:11], v[2:3]
	v_dual_cndmask_b32 v3, v11, v3 :: v_dual_cndmask_b32 v2, v10, v2
.LBB145_116:
	s_or_b32 exec_lo, exec_lo, s1
	s_delay_alu instid0(VALU_DEP_1)
	v_mov_b64_e32 v[10:11], v[2:3]
.LBB145_117:
	s_or_b32 exec_lo, exec_lo, s0
	s_wait_loadcnt 0x0
	s_delay_alu instid0(VALU_DEP_1) | instskip(NEXT) | instid1(VALU_DEP_2)
	v_mov_b32_dpp v2, v10 quad_perm:[1,0,3,2] row_mask:0xf bank_mask:0xf
	v_mov_b32_dpp v3, v11 quad_perm:[1,0,3,2] row_mask:0xf bank_mask:0xf
	s_mov_b32 s0, exec_lo
	s_delay_alu instid0(VALU_DEP_1)
	v_cmpx_o_f64_e32 v[2:3], v[2:3]
	s_xor_b32 s0, exec_lo, s0
	s_cbranch_execz .LBB145_121
; %bb.118:
	s_mov_b32 s1, exec_lo
	v_cmpx_o_f64_e32 v[10:11], v[10:11]
	s_cbranch_execz .LBB145_120
; %bb.119:
	v_cmp_gt_f64_e32 vcc_lo, v[10:11], v[2:3]
	v_dual_cndmask_b32 v11, v3, v11 :: v_dual_cndmask_b32 v10, v2, v10
.LBB145_120:
	s_or_b32 exec_lo, exec_lo, s1
	s_delay_alu instid0(VALU_DEP_1)
	v_mov_b64_e32 v[2:3], v[10:11]
.LBB145_121:
	s_or_b32 exec_lo, exec_lo, s0
	s_delay_alu instid0(VALU_DEP_1) | instskip(NEXT) | instid1(VALU_DEP_2)
	v_mov_b32_dpp v4, v2 quad_perm:[2,3,0,1] row_mask:0xf bank_mask:0xf
	v_mov_b32_dpp v5, v3 quad_perm:[2,3,0,1] row_mask:0xf bank_mask:0xf
	s_mov_b32 s0, exec_lo
	s_delay_alu instid0(VALU_DEP_1)
	v_cmpx_o_f64_e32 v[4:5], v[4:5]
	s_cbranch_execz .LBB145_125
; %bb.122:
	s_mov_b32 s1, exec_lo
	v_cmpx_o_f64_e32 v[2:3], v[2:3]
	s_cbranch_execz .LBB145_124
; %bb.123:
	v_cmp_gt_f64_e32 vcc_lo, v[2:3], v[4:5]
	v_dual_cndmask_b32 v3, v5, v3 :: v_dual_cndmask_b32 v2, v4, v2
.LBB145_124:
	s_or_b32 exec_lo, exec_lo, s1
	s_delay_alu instid0(VALU_DEP_1)
	v_mov_b64_e32 v[4:5], v[2:3]
.LBB145_125:
	s_or_b32 exec_lo, exec_lo, s0
	s_delay_alu instid0(VALU_DEP_1) | instskip(NEXT) | instid1(VALU_DEP_2)
	v_mov_b32_dpp v2, v4 row_ror:4 row_mask:0xf bank_mask:0xf
	v_mov_b32_dpp v3, v5 row_ror:4 row_mask:0xf bank_mask:0xf
	s_mov_b32 s0, exec_lo
	s_delay_alu instid0(VALU_DEP_1)
	v_cmpx_o_f64_e32 v[2:3], v[2:3]
	s_cbranch_execz .LBB145_129
; %bb.126:
	s_mov_b32 s1, exec_lo
	v_cmpx_o_f64_e32 v[4:5], v[4:5]
	s_cbranch_execz .LBB145_128
; %bb.127:
	v_cmp_gt_f64_e32 vcc_lo, v[4:5], v[2:3]
	v_dual_cndmask_b32 v5, v3, v5 :: v_dual_cndmask_b32 v4, v2, v4
.LBB145_128:
	s_or_b32 exec_lo, exec_lo, s1
	s_delay_alu instid0(VALU_DEP_1)
	v_mov_b64_e32 v[2:3], v[4:5]
.LBB145_129:
	s_or_b32 exec_lo, exec_lo, s0
	s_delay_alu instid0(VALU_DEP_1) | instskip(NEXT) | instid1(VALU_DEP_2)
	v_mov_b32_dpp v4, v2 row_ror:8 row_mask:0xf bank_mask:0xf
	v_mov_b32_dpp v5, v3 row_ror:8 row_mask:0xf bank_mask:0xf
	s_mov_b32 s0, exec_lo
	s_delay_alu instid0(VALU_DEP_1)
	v_cmpx_o_f64_e32 v[4:5], v[4:5]
	s_cbranch_execz .LBB145_133
; %bb.130:
	s_mov_b32 s1, exec_lo
	v_cmpx_o_f64_e32 v[2:3], v[2:3]
	s_cbranch_execz .LBB145_132
; %bb.131:
	v_cmp_gt_f64_e32 vcc_lo, v[2:3], v[4:5]
	v_dual_cndmask_b32 v3, v5, v3 :: v_dual_cndmask_b32 v2, v4, v2
.LBB145_132:
	s_or_b32 exec_lo, exec_lo, s1
	s_delay_alu instid0(VALU_DEP_1)
	v_mov_b64_e32 v[4:5], v[2:3]
.LBB145_133:
	s_or_b32 exec_lo, exec_lo, s0
	ds_swizzle_b32 v2, v4 offset:swizzle(BROADCAST,32,15)
	ds_swizzle_b32 v3, v5 offset:swizzle(BROADCAST,32,15)
	s_mov_b32 s0, exec_lo
	s_wait_dscnt 0x0
	v_cmpx_o_f64_e32 v[2:3], v[2:3]
	s_cbranch_execz .LBB145_137
; %bb.134:
	s_mov_b32 s1, exec_lo
	v_cmpx_o_f64_e32 v[4:5], v[4:5]
	s_cbranch_execz .LBB145_136
; %bb.135:
	v_cmp_gt_f64_e32 vcc_lo, v[4:5], v[2:3]
	v_dual_cndmask_b32 v5, v3, v5 :: v_dual_cndmask_b32 v4, v2, v4
.LBB145_136:
	s_or_b32 exec_lo, exec_lo, s1
	s_delay_alu instid0(VALU_DEP_1)
	v_mov_b64_e32 v[2:3], v[4:5]
.LBB145_137:
	s_or_b32 exec_lo, exec_lo, s0
	v_mov_b32_e32 v1, 0
	s_mov_b32 s0, exec_lo
	ds_bpermute_b32 v2, v1, v2 offset:124
	ds_bpermute_b32 v3, v1, v3 offset:124
	v_mbcnt_lo_u32_b32 v1, -1, 0
	s_delay_alu instid0(VALU_DEP_1)
	v_cmpx_eq_u32_e32 0, v1
	s_cbranch_execz .LBB145_139
; %bb.138:
	v_lshrrev_b32_e32 v4, 2, v0
	s_delay_alu instid0(VALU_DEP_1)
	v_and_b32_e32 v4, 56, v4
	s_wait_dscnt 0x0
	ds_store_b64 v4, v[2:3]
.LBB145_139:
	s_or_b32 exec_lo, exec_lo, s0
	s_delay_alu instid0(SALU_CYCLE_1)
	s_mov_b32 s1, exec_lo
	s_wait_dscnt 0x0
	s_barrier_signal -1
	s_barrier_wait -1
	v_cmpx_gt_u32_e32 32, v0
	s_cbranch_execz .LBB145_153
; %bb.140:
	v_and_b32_e32 v6, 7, v1
	s_delay_alu instid0(VALU_DEP_1) | instskip(NEXT) | instid1(VALU_DEP_1)
	v_cmp_ne_u32_e64 s0, 7, v6
	v_add_co_ci_u32_e64 v4, null, 0, v1, s0
	s_mov_b32 s0, exec_lo
	v_dual_lshlrev_b32 v5, 2, v4 :: v_dual_lshlrev_b32 v2, 3, v6
	ds_load_b64 v[2:3], v2
	s_wait_dscnt 0x0
	ds_bpermute_b32 v4, v5, v2
	ds_bpermute_b32 v5, v5, v3
	v_cmpx_o_f64_e32 v[2:3], v[2:3]
	s_cbranch_execz .LBB145_144
; %bb.141:
	s_mov_b32 s16, exec_lo
	s_wait_dscnt 0x0
	v_cmpx_o_f64_e32 v[4:5], v[4:5]
	s_cbranch_execz .LBB145_143
; %bb.142:
	v_cmp_lt_f64_e32 vcc_lo, v[2:3], v[4:5]
	v_dual_cndmask_b32 v5, v3, v5 :: v_dual_cndmask_b32 v4, v2, v4
.LBB145_143:
	s_or_b32 exec_lo, exec_lo, s16
	s_delay_alu instid0(VALU_DEP_1)
	v_mov_b64_e32 v[2:3], v[4:5]
.LBB145_144:
	s_or_b32 exec_lo, exec_lo, s0
	v_cmp_gt_u32_e64 s0, 6, v6
	s_wait_dscnt 0x1
	s_delay_alu instid0(VALU_DEP_1) | instskip(SKIP_2) | instid1(VALU_DEP_1)
	v_cndmask_b32_e64 v4, 0, 2, s0
	s_mov_b32 s0, exec_lo
	s_wait_dscnt 0x0
	v_add_lshl_u32 v5, v4, v1, 2
	v_lshlrev_b32_e32 v1, 2, v1
	ds_bpermute_b32 v4, v5, v2
	ds_bpermute_b32 v5, v5, v3
	v_cmpx_o_f64_e32 v[2:3], v[2:3]
	s_cbranch_execz .LBB145_148
; %bb.145:
	s_mov_b32 s16, exec_lo
	s_wait_dscnt 0x0
	v_cmpx_o_f64_e32 v[4:5], v[4:5]
	s_cbranch_execz .LBB145_147
; %bb.146:
	v_cmp_lt_f64_e32 vcc_lo, v[2:3], v[4:5]
	v_dual_cndmask_b32 v5, v3, v5 :: v_dual_cndmask_b32 v4, v2, v4
.LBB145_147:
	s_or_b32 exec_lo, exec_lo, s16
	s_delay_alu instid0(VALU_DEP_1)
	v_mov_b64_e32 v[2:3], v[4:5]
.LBB145_148:
	s_or_b32 exec_lo, exec_lo, s0
	v_or_b32_e32 v1, 16, v1
	s_mov_b32 s0, exec_lo
	s_wait_dscnt 0x1
	ds_bpermute_b32 v4, v1, v2
	s_wait_dscnt 0x1
	ds_bpermute_b32 v5, v1, v3
	v_cmpx_o_f64_e32 v[2:3], v[2:3]
	s_cbranch_execz .LBB145_152
; %bb.149:
	s_mov_b32 s16, exec_lo
	s_wait_dscnt 0x0
	v_cmpx_o_f64_e32 v[4:5], v[4:5]
	s_cbranch_execz .LBB145_151
; %bb.150:
	v_cmp_lt_f64_e32 vcc_lo, v[2:3], v[4:5]
	v_dual_cndmask_b32 v5, v3, v5 :: v_dual_cndmask_b32 v4, v2, v4
.LBB145_151:
	s_or_b32 exec_lo, exec_lo, s16
	s_delay_alu instid0(VALU_DEP_1)
	v_mov_b64_e32 v[2:3], v[4:5]
.LBB145_152:
	s_or_b32 exec_lo, exec_lo, s0
.LBB145_153:
	s_delay_alu instid0(SALU_CYCLE_1)
	s_or_b32 exec_lo, exec_lo, s1
	s_branch .LBB145_252
.LBB145_154:
	s_sub_co_i32 s1, s10, s14
	s_mov_b32 s0, exec_lo
                                        ; implicit-def: $vgpr4_vgpr5
	v_cmpx_gt_u32_e64 s1, v0
	s_cbranch_execz .LBB145_164
; %bb.155:
	v_mov_b32_e32 v1, 0
	s_delay_alu instid0(VALU_DEP_1) | instskip(NEXT) | instid1(VALU_DEP_1)
	v_add_nc_u64_e32 v[2:3], s[14:15], v[0:1]
	v_lshl_add_u64 v[6:7], v[2:3], 3, s[4:5]
	v_add_nc_u64_e32 v[2:3], 0x100, v[2:3]
	s_mov_b32 s4, exec_lo
	s_wait_dscnt 0x0
	global_load_b64 v[4:5], v[6:7], off
	s_wait_xcnt 0x0
	v_cmpx_gt_i64_e64 s[10:11], v[2:3]
	s_cbranch_execz .LBB145_163
; %bb.156:
	v_add_nc_u64_e32 v[6:7], 0x800, v[6:7]
	s_mov_b32 s5, 0
	s_branch .LBB145_159
.LBB145_157:                            ;   in Loop: Header=BB145_159 Depth=1
	s_or_b32 exec_lo, exec_lo, s15
	s_delay_alu instid0(VALU_DEP_1)
	v_mov_b64_e32 v[4:5], v[8:9]
.LBB145_158:                            ;   in Loop: Header=BB145_159 Depth=1
	s_or_b32 exec_lo, exec_lo, s14
	v_add_nc_u64_e32 v[2:3], 0x100, v[2:3]
	v_add_nc_u64_e32 v[6:7], 0x800, v[6:7]
	s_delay_alu instid0(VALU_DEP_2) | instskip(SKIP_1) | instid1(SALU_CYCLE_1)
	v_cmp_le_i64_e32 vcc_lo, s[10:11], v[2:3]
	s_or_b32 s5, vcc_lo, s5
	s_and_not1_b32 exec_lo, exec_lo, s5
	s_cbranch_execz .LBB145_162
.LBB145_159:                            ; =>This Inner Loop Header: Depth=1
	s_mov_b32 s14, exec_lo
	s_wait_loadcnt 0x0
	v_cmpx_o_f64_e32 v[4:5], v[4:5]
	s_cbranch_execz .LBB145_158
; %bb.160:                              ;   in Loop: Header=BB145_159 Depth=1
	global_load_b64 v[8:9], v[6:7], off
	s_mov_b32 s15, exec_lo
	s_wait_loadcnt 0x0
	v_cmpx_o_f64_e32 v[8:9], v[8:9]
	s_cbranch_execz .LBB145_157
; %bb.161:                              ;   in Loop: Header=BB145_159 Depth=1
	v_cmp_lt_f64_e32 vcc_lo, v[4:5], v[8:9]
	v_dual_cndmask_b32 v9, v5, v9 :: v_dual_cndmask_b32 v8, v4, v8
	s_branch .LBB145_157
.LBB145_162:
	s_or_b32 exec_lo, exec_lo, s5
.LBB145_163:
	s_delay_alu instid0(SALU_CYCLE_1)
	s_or_b32 exec_lo, exec_lo, s4
.LBB145_164:
	s_delay_alu instid0(SALU_CYCLE_1)
	s_or_b32 exec_lo, exec_lo, s0
	v_lshrrev_b32_e32 v10, 5, v0
	v_mbcnt_lo_u32_b32 v1, -1, 0
	s_cmp_lt_u32 s1, 0x100
	s_mov_b32 s0, -1
                                        ; implicit-def: $vgpr2_vgpr3
	s_cbranch_scc0 .LBB145_214
; %bb.165:
	s_delay_alu instid0(VALU_DEP_1) | instskip(SKIP_3) | instid1(VALU_DEP_1)
	v_cmp_ne_u32_e32 vcc_lo, 31, v1
	s_wait_loadcnt_dscnt 0x0
	v_dual_mov_b32 v6, v4 :: v_dual_mov_b32 v7, v5
	v_add_co_ci_u32_e64 v2, null, 0, v1, vcc_lo
	v_lshlrev_b32_e32 v2, 2, v2
	ds_bpermute_b32 v8, v2, v4
	ds_bpermute_b32 v9, v2, v5
	v_and_b32_e32 v2, 0xe0, v0
	s_delay_alu instid0(VALU_DEP_1) | instskip(SKIP_1) | instid1(VALU_DEP_1)
	v_sub_nc_u32_e64 v11, s1, v2 clamp
	v_add_nc_u32_e32 v2, 1, v1
	v_cmp_lt_u32_e32 vcc_lo, v2, v11
	v_mov_b64_e32 v[2:3], v[4:5]
	s_and_saveexec_b32 s0, vcc_lo
	s_cbranch_execz .LBB145_171
; %bb.166:
	v_mov_b64_e32 v[6:7], v[4:5]
	s_mov_b32 s4, exec_lo
	v_cmpx_o_f64_e32 v[4:5], v[4:5]
	s_cbranch_execz .LBB145_170
; %bb.167:
	s_mov_b32 s5, exec_lo
	s_wait_dscnt 0x0
	v_cmpx_o_f64_e32 v[8:9], v[8:9]
	s_cbranch_execz .LBB145_169
; %bb.168:
	v_cmp_lt_f64_e32 vcc_lo, v[4:5], v[8:9]
	v_dual_cndmask_b32 v9, v5, v9 :: v_dual_cndmask_b32 v8, v4, v8
.LBB145_169:
	s_or_b32 exec_lo, exec_lo, s5
	s_delay_alu instid0(VALU_DEP_1)
	v_mov_b64_e32 v[6:7], v[8:9]
.LBB145_170:
	s_or_b32 exec_lo, exec_lo, s4
	s_delay_alu instid0(VALU_DEP_1)
	v_mov_b64_e32 v[2:3], v[6:7]
.LBB145_171:
	s_or_b32 exec_lo, exec_lo, s0
	v_cmp_gt_u32_e32 vcc_lo, 30, v1
	v_add_nc_u32_e32 v12, 2, v1
	s_mov_b32 s0, exec_lo
	s_wait_dscnt 0x1
	v_cndmask_b32_e64 v8, 0, 2, vcc_lo
	s_wait_dscnt 0x0
	s_delay_alu instid0(VALU_DEP_1)
	v_add_lshl_u32 v9, v8, v1, 2
	ds_bpermute_b32 v8, v9, v6
	ds_bpermute_b32 v9, v9, v7
	v_cmpx_lt_u32_e64 v12, v11
	s_cbranch_execz .LBB145_177
; %bb.172:
	s_mov_b32 s4, exec_lo
	v_cmpx_o_f64_e32 v[2:3], v[2:3]
	s_cbranch_execz .LBB145_176
; %bb.173:
	s_mov_b32 s5, exec_lo
	s_wait_dscnt 0x0
	v_cmpx_o_f64_e32 v[8:9], v[8:9]
	s_cbranch_execz .LBB145_175
; %bb.174:
	v_cmp_lt_f64_e32 vcc_lo, v[2:3], v[8:9]
	v_dual_cndmask_b32 v9, v3, v9 :: v_dual_cndmask_b32 v8, v2, v8
.LBB145_175:
	s_or_b32 exec_lo, exec_lo, s5
	s_delay_alu instid0(VALU_DEP_1)
	v_mov_b64_e32 v[2:3], v[8:9]
.LBB145_176:
	s_or_b32 exec_lo, exec_lo, s4
	s_delay_alu instid0(VALU_DEP_1)
	v_dual_mov_b32 v6, v2 :: v_dual_mov_b32 v7, v3
.LBB145_177:
	s_or_b32 exec_lo, exec_lo, s0
	v_cmp_gt_u32_e32 vcc_lo, 28, v1
	v_add_nc_u32_e32 v12, 4, v1
	s_mov_b32 s0, exec_lo
	s_wait_dscnt 0x1
	v_cndmask_b32_e64 v8, 0, 4, vcc_lo
	s_wait_dscnt 0x0
	s_delay_alu instid0(VALU_DEP_1)
	v_add_lshl_u32 v9, v8, v1, 2
	ds_bpermute_b32 v8, v9, v6
	ds_bpermute_b32 v9, v9, v7
	v_cmpx_lt_u32_e64 v12, v11
	s_cbranch_execz .LBB145_183
; %bb.178:
	s_mov_b32 s4, exec_lo
	v_cmpx_o_f64_e32 v[2:3], v[2:3]
	s_cbranch_execz .LBB145_182
; %bb.179:
	s_mov_b32 s5, exec_lo
	s_wait_dscnt 0x0
	v_cmpx_o_f64_e32 v[8:9], v[8:9]
	s_cbranch_execz .LBB145_181
; %bb.180:
	v_cmp_lt_f64_e32 vcc_lo, v[2:3], v[8:9]
	v_dual_cndmask_b32 v9, v3, v9 :: v_dual_cndmask_b32 v8, v2, v8
.LBB145_181:
	s_or_b32 exec_lo, exec_lo, s5
	s_delay_alu instid0(VALU_DEP_1)
	v_mov_b64_e32 v[2:3], v[8:9]
.LBB145_182:
	s_or_b32 exec_lo, exec_lo, s4
	s_delay_alu instid0(VALU_DEP_1)
	v_dual_mov_b32 v6, v2 :: v_dual_mov_b32 v7, v3
.LBB145_183:
	;; [unrolled: 34-line block ×3, first 2 shown]
	s_or_b32 exec_lo, exec_lo, s0
	v_cmp_o_f64_e32 vcc_lo, v[2:3], v[2:3]
	s_wait_dscnt 0x1
	v_lshlrev_b32_e32 v8, 2, v1
	s_wait_dscnt 0x0
	s_delay_alu instid0(VALU_DEP_1) | instskip(SKIP_3) | instid1(VALU_DEP_1)
	v_or_b32_e32 v9, 64, v8
	ds_bpermute_b32 v6, v9, v6
	ds_bpermute_b32 v7, v9, v7
	v_add_nc_u32_e32 v9, 16, v1
	v_cmp_lt_u32_e64 s0, v9, v11
	s_and_b32 s4, s0, vcc_lo
	s_delay_alu instid0(SALU_CYCLE_1)
	s_and_saveexec_b32 s0, s4
	s_cbranch_execz .LBB145_193
; %bb.190:
	s_mov_b32 s4, exec_lo
	s_wait_dscnt 0x0
	v_cmpx_o_f64_e32 v[6:7], v[6:7]
	s_cbranch_execz .LBB145_192
; %bb.191:
	v_cmp_lt_f64_e32 vcc_lo, v[2:3], v[6:7]
	v_dual_cndmask_b32 v7, v3, v7 :: v_dual_cndmask_b32 v6, v2, v6
.LBB145_192:
	s_or_b32 exec_lo, exec_lo, s4
	s_delay_alu instid0(VALU_DEP_1)
	v_mov_b64_e32 v[2:3], v[6:7]
.LBB145_193:
	s_or_b32 exec_lo, exec_lo, s0
	s_delay_alu instid0(SALU_CYCLE_1)
	s_mov_b32 s0, exec_lo
	v_cmpx_eq_u32_e32 0, v1
	s_cbranch_execz .LBB145_195
; %bb.194:
	s_wait_dscnt 0x1
	v_lshlrev_b32_e32 v6, 3, v10
	ds_store_b64 v6, v[2:3]
.LBB145_195:
	s_or_b32 exec_lo, exec_lo, s0
	s_delay_alu instid0(SALU_CYCLE_1)
	s_mov_b32 s4, exec_lo
	s_wait_dscnt 0x0
	s_barrier_signal -1
	s_barrier_wait -1
	v_cmpx_gt_u32_e32 8, v0
	s_cbranch_execz .LBB145_213
; %bb.196:
	v_dual_lshlrev_b32 v2, 3, v1 :: v_dual_bitop2_b32 v9, 7, v1 bitop3:0x40
	s_add_co_i32 s1, s1, 31
	s_delay_alu instid0(SALU_CYCLE_1)
	s_lshr_b32 s0, s1, 5
	ds_load_b64 v[2:3], v2
	v_cmp_ne_u32_e32 vcc_lo, 7, v9
	s_mov_b32 s1, exec_lo
	v_add_nc_u32_e32 v11, 1, v9
	v_add_co_ci_u32_e64 v6, null, 0, v1, vcc_lo
	s_delay_alu instid0(VALU_DEP_1)
	v_lshlrev_b32_e32 v7, 2, v6
	s_wait_dscnt 0x0
	ds_bpermute_b32 v6, v7, v2
	ds_bpermute_b32 v7, v7, v3
	v_cmpx_gt_u32_e64 s0, v11
	s_cbranch_execz .LBB145_202
; %bb.197:
	s_mov_b32 s5, exec_lo
	v_cmpx_o_f64_e32 v[2:3], v[2:3]
	s_cbranch_execz .LBB145_201
; %bb.198:
	s_mov_b32 s10, exec_lo
	s_wait_dscnt 0x0
	v_cmpx_o_f64_e32 v[6:7], v[6:7]
	s_cbranch_execz .LBB145_200
; %bb.199:
	v_cmp_lt_f64_e32 vcc_lo, v[2:3], v[6:7]
	v_dual_cndmask_b32 v7, v3, v7 :: v_dual_cndmask_b32 v6, v2, v6
.LBB145_200:
	s_or_b32 exec_lo, exec_lo, s10
	s_delay_alu instid0(VALU_DEP_1)
	v_mov_b64_e32 v[2:3], v[6:7]
.LBB145_201:
	s_or_b32 exec_lo, exec_lo, s5
.LBB145_202:
	s_delay_alu instid0(SALU_CYCLE_1)
	s_or_b32 exec_lo, exec_lo, s1
	v_cmp_gt_u32_e32 vcc_lo, 6, v9
	v_add_nc_u32_e32 v11, 2, v9
	s_mov_b32 s1, exec_lo
	s_wait_dscnt 0x1
	v_cndmask_b32_e64 v6, 0, 2, vcc_lo
	s_wait_dscnt 0x0
	s_delay_alu instid0(VALU_DEP_1)
	v_add_lshl_u32 v7, v6, v1, 2
	ds_bpermute_b32 v6, v7, v2
	ds_bpermute_b32 v7, v7, v3
	v_cmpx_gt_u32_e64 s0, v11
	s_cbranch_execz .LBB145_208
; %bb.203:
	s_mov_b32 s5, exec_lo
	v_cmpx_o_f64_e32 v[2:3], v[2:3]
	s_cbranch_execz .LBB145_207
; %bb.204:
	s_mov_b32 s10, exec_lo
	s_wait_dscnt 0x0
	v_cmpx_o_f64_e32 v[6:7], v[6:7]
	s_cbranch_execz .LBB145_206
; %bb.205:
	v_cmp_lt_f64_e32 vcc_lo, v[2:3], v[6:7]
	v_dual_cndmask_b32 v7, v3, v7 :: v_dual_cndmask_b32 v6, v2, v6
.LBB145_206:
	s_or_b32 exec_lo, exec_lo, s10
	s_delay_alu instid0(VALU_DEP_1)
	v_mov_b64_e32 v[2:3], v[6:7]
.LBB145_207:
	s_or_b32 exec_lo, exec_lo, s5
.LBB145_208:
	s_delay_alu instid0(SALU_CYCLE_1) | instskip(NEXT) | instid1(VALU_DEP_1)
	s_or_b32 exec_lo, exec_lo, s1
	v_cmp_o_f64_e32 vcc_lo, v[2:3], v[2:3]
	s_wait_dscnt 0x0
	v_dual_add_nc_u32 v8, 4, v9 :: v_dual_bitop2_b32 v7, 16, v8 bitop3:0x54
	ds_bpermute_b32 v6, v7, v2
	ds_bpermute_b32 v7, v7, v3
	v_cmp_gt_u32_e64 s0, s0, v8
	s_and_b32 s1, s0, vcc_lo
	s_delay_alu instid0(SALU_CYCLE_1)
	s_and_saveexec_b32 s0, s1
	s_cbranch_execz .LBB145_212
; %bb.209:
	s_mov_b32 s1, exec_lo
	s_wait_dscnt 0x0
	v_cmpx_o_f64_e32 v[6:7], v[6:7]
	s_cbranch_execz .LBB145_211
; %bb.210:
	v_cmp_lt_f64_e32 vcc_lo, v[2:3], v[6:7]
	v_dual_cndmask_b32 v7, v3, v7 :: v_dual_cndmask_b32 v6, v2, v6
.LBB145_211:
	s_or_b32 exec_lo, exec_lo, s1
	s_delay_alu instid0(VALU_DEP_1)
	v_mov_b64_e32 v[2:3], v[6:7]
.LBB145_212:
	s_or_b32 exec_lo, exec_lo, s0
.LBB145_213:
	s_delay_alu instid0(SALU_CYCLE_1)
	s_or_b32 exec_lo, exec_lo, s4
	s_mov_b32 s0, 0
.LBB145_214:
	s_delay_alu instid0(SALU_CYCLE_1)
	s_and_b32 vcc_lo, exec_lo, s0
	s_cbranch_vccz .LBB145_252
; %bb.215:
	s_wait_loadcnt_dscnt 0x1
	v_mov_b32_dpp v2, v4 quad_perm:[1,0,3,2] row_mask:0xf bank_mask:0xf
	s_wait_dscnt 0x0
	v_mov_b32_dpp v3, v5 quad_perm:[1,0,3,2] row_mask:0xf bank_mask:0xf
	s_mov_b32 s0, exec_lo
	s_delay_alu instid0(VALU_DEP_1)
	v_cmpx_o_f64_e32 v[2:3], v[2:3]
	s_cbranch_execz .LBB145_219
; %bb.216:
	s_mov_b32 s1, exec_lo
	v_cmpx_o_f64_e32 v[4:5], v[4:5]
	s_cbranch_execz .LBB145_218
; %bb.217:
	v_cmp_gt_f64_e32 vcc_lo, v[4:5], v[2:3]
	v_dual_cndmask_b32 v5, v3, v5 :: v_dual_cndmask_b32 v4, v2, v4
.LBB145_218:
	s_or_b32 exec_lo, exec_lo, s1
	s_delay_alu instid0(VALU_DEP_1)
	v_mov_b64_e32 v[2:3], v[4:5]
.LBB145_219:
	s_or_b32 exec_lo, exec_lo, s0
	s_delay_alu instid0(VALU_DEP_1) | instskip(NEXT) | instid1(VALU_DEP_2)
	v_mov_b32_dpp v4, v2 quad_perm:[2,3,0,1] row_mask:0xf bank_mask:0xf
	v_mov_b32_dpp v5, v3 quad_perm:[2,3,0,1] row_mask:0xf bank_mask:0xf
	s_mov_b32 s0, exec_lo
	s_delay_alu instid0(VALU_DEP_1)
	v_cmpx_o_f64_e32 v[4:5], v[4:5]
	s_cbranch_execz .LBB145_223
; %bb.220:
	s_mov_b32 s1, exec_lo
	v_cmpx_o_f64_e32 v[2:3], v[2:3]
	s_cbranch_execz .LBB145_222
; %bb.221:
	v_cmp_gt_f64_e32 vcc_lo, v[2:3], v[4:5]
	v_dual_cndmask_b32 v3, v5, v3 :: v_dual_cndmask_b32 v2, v4, v2
.LBB145_222:
	s_or_b32 exec_lo, exec_lo, s1
	s_delay_alu instid0(VALU_DEP_1)
	v_mov_b64_e32 v[4:5], v[2:3]
.LBB145_223:
	s_or_b32 exec_lo, exec_lo, s0
	s_delay_alu instid0(VALU_DEP_1) | instskip(NEXT) | instid1(VALU_DEP_2)
	v_mov_b32_dpp v2, v4 row_ror:4 row_mask:0xf bank_mask:0xf
	v_mov_b32_dpp v3, v5 row_ror:4 row_mask:0xf bank_mask:0xf
	s_mov_b32 s0, exec_lo
	s_delay_alu instid0(VALU_DEP_1)
	v_cmpx_o_f64_e32 v[2:3], v[2:3]
	s_cbranch_execz .LBB145_227
; %bb.224:
	s_mov_b32 s1, exec_lo
	v_cmpx_o_f64_e32 v[4:5], v[4:5]
	s_cbranch_execz .LBB145_226
; %bb.225:
	v_cmp_gt_f64_e32 vcc_lo, v[4:5], v[2:3]
	v_dual_cndmask_b32 v5, v3, v5 :: v_dual_cndmask_b32 v4, v2, v4
.LBB145_226:
	s_or_b32 exec_lo, exec_lo, s1
	s_delay_alu instid0(VALU_DEP_1)
	v_mov_b64_e32 v[2:3], v[4:5]
.LBB145_227:
	s_or_b32 exec_lo, exec_lo, s0
	s_delay_alu instid0(VALU_DEP_1) | instskip(NEXT) | instid1(VALU_DEP_2)
	v_mov_b32_dpp v4, v2 row_ror:8 row_mask:0xf bank_mask:0xf
	v_mov_b32_dpp v5, v3 row_ror:8 row_mask:0xf bank_mask:0xf
	s_mov_b32 s0, exec_lo
	s_delay_alu instid0(VALU_DEP_1)
	v_cmpx_o_f64_e32 v[4:5], v[4:5]
	s_cbranch_execz .LBB145_231
; %bb.228:
	s_mov_b32 s1, exec_lo
	v_cmpx_o_f64_e32 v[2:3], v[2:3]
	s_cbranch_execz .LBB145_230
; %bb.229:
	v_cmp_gt_f64_e32 vcc_lo, v[2:3], v[4:5]
	v_dual_cndmask_b32 v3, v5, v3 :: v_dual_cndmask_b32 v2, v4, v2
.LBB145_230:
	s_or_b32 exec_lo, exec_lo, s1
	s_delay_alu instid0(VALU_DEP_1)
	v_mov_b64_e32 v[4:5], v[2:3]
.LBB145_231:
	s_or_b32 exec_lo, exec_lo, s0
	ds_swizzle_b32 v2, v4 offset:swizzle(BROADCAST,32,15)
	ds_swizzle_b32 v3, v5 offset:swizzle(BROADCAST,32,15)
	s_mov_b32 s0, exec_lo
	s_wait_dscnt 0x0
	v_cmpx_o_f64_e32 v[2:3], v[2:3]
	s_cbranch_execz .LBB145_235
; %bb.232:
	s_mov_b32 s1, exec_lo
	v_cmpx_o_f64_e32 v[4:5], v[4:5]
	s_cbranch_execz .LBB145_234
; %bb.233:
	v_cmp_gt_f64_e32 vcc_lo, v[4:5], v[2:3]
	v_dual_cndmask_b32 v5, v3, v5 :: v_dual_cndmask_b32 v4, v2, v4
.LBB145_234:
	s_or_b32 exec_lo, exec_lo, s1
	s_delay_alu instid0(VALU_DEP_1)
	v_mov_b64_e32 v[2:3], v[4:5]
.LBB145_235:
	s_or_b32 exec_lo, exec_lo, s0
	v_mov_b32_e32 v4, 0
	s_mov_b32 s0, exec_lo
	ds_bpermute_b32 v2, v4, v2 offset:124
	ds_bpermute_b32 v3, v4, v3 offset:124
	v_cmpx_eq_u32_e32 0, v1
	s_cbranch_execz .LBB145_237
; %bb.236:
	v_lshlrev_b32_e32 v4, 3, v10
	s_wait_dscnt 0x0
	ds_store_b64 v4, v[2:3]
.LBB145_237:
	s_or_b32 exec_lo, exec_lo, s0
	s_delay_alu instid0(SALU_CYCLE_1)
	s_mov_b32 s1, exec_lo
	s_wait_dscnt 0x0
	s_barrier_signal -1
	s_barrier_wait -1
	v_cmpx_gt_u32_e32 32, v0
	s_cbranch_execz .LBB145_251
; %bb.238:
	v_and_b32_e32 v6, 7, v1
	s_delay_alu instid0(VALU_DEP_1) | instskip(NEXT) | instid1(VALU_DEP_1)
	v_cmp_ne_u32_e64 s0, 7, v6
	v_add_co_ci_u32_e64 v4, null, 0, v1, s0
	s_mov_b32 s0, exec_lo
	v_dual_lshlrev_b32 v5, 2, v4 :: v_dual_lshlrev_b32 v2, 3, v6
	ds_load_b64 v[2:3], v2
	s_wait_dscnt 0x0
	ds_bpermute_b32 v4, v5, v2
	ds_bpermute_b32 v5, v5, v3
	v_cmpx_o_f64_e32 v[2:3], v[2:3]
	s_cbranch_execz .LBB145_242
; %bb.239:
	s_mov_b32 s4, exec_lo
	s_wait_dscnt 0x0
	v_cmpx_o_f64_e32 v[4:5], v[4:5]
	s_cbranch_execz .LBB145_241
; %bb.240:
	v_cmp_lt_f64_e32 vcc_lo, v[2:3], v[4:5]
	v_dual_cndmask_b32 v5, v3, v5 :: v_dual_cndmask_b32 v4, v2, v4
.LBB145_241:
	s_or_b32 exec_lo, exec_lo, s4
	s_delay_alu instid0(VALU_DEP_1)
	v_mov_b64_e32 v[2:3], v[4:5]
.LBB145_242:
	s_or_b32 exec_lo, exec_lo, s0
	v_cmp_gt_u32_e64 s0, 6, v6
	s_wait_dscnt 0x1
	s_delay_alu instid0(VALU_DEP_1) | instskip(SKIP_2) | instid1(VALU_DEP_1)
	v_cndmask_b32_e64 v4, 0, 2, s0
	s_mov_b32 s0, exec_lo
	s_wait_dscnt 0x0
	v_add_lshl_u32 v5, v4, v1, 2
	v_lshlrev_b32_e32 v1, 2, v1
	ds_bpermute_b32 v4, v5, v2
	ds_bpermute_b32 v5, v5, v3
	v_cmpx_o_f64_e32 v[2:3], v[2:3]
	s_cbranch_execz .LBB145_246
; %bb.243:
	s_mov_b32 s4, exec_lo
	s_wait_dscnt 0x0
	v_cmpx_o_f64_e32 v[4:5], v[4:5]
	s_cbranch_execz .LBB145_245
; %bb.244:
	v_cmp_lt_f64_e32 vcc_lo, v[2:3], v[4:5]
	v_dual_cndmask_b32 v5, v3, v5 :: v_dual_cndmask_b32 v4, v2, v4
.LBB145_245:
	s_or_b32 exec_lo, exec_lo, s4
	s_delay_alu instid0(VALU_DEP_1)
	v_mov_b64_e32 v[2:3], v[4:5]
.LBB145_246:
	s_or_b32 exec_lo, exec_lo, s0
	v_or_b32_e32 v1, 16, v1
	s_mov_b32 s0, exec_lo
	s_wait_dscnt 0x1
	ds_bpermute_b32 v4, v1, v2
	s_wait_dscnt 0x1
	ds_bpermute_b32 v5, v1, v3
	v_cmpx_o_f64_e32 v[2:3], v[2:3]
	s_cbranch_execz .LBB145_250
; %bb.247:
	s_mov_b32 s4, exec_lo
	s_wait_dscnt 0x0
	v_cmpx_o_f64_e32 v[4:5], v[4:5]
	s_cbranch_execz .LBB145_249
; %bb.248:
	v_cmp_lt_f64_e32 vcc_lo, v[2:3], v[4:5]
	v_dual_cndmask_b32 v5, v3, v5 :: v_dual_cndmask_b32 v4, v2, v4
.LBB145_249:
	s_or_b32 exec_lo, exec_lo, s4
	s_delay_alu instid0(VALU_DEP_1)
	v_mov_b64_e32 v[2:3], v[4:5]
.LBB145_250:
	s_or_b32 exec_lo, exec_lo, s0
.LBB145_251:
	s_delay_alu instid0(SALU_CYCLE_1)
	s_or_b32 exec_lo, exec_lo, s1
.LBB145_252:
	s_delay_alu instid0(SALU_CYCLE_1)
	s_mov_b32 s0, exec_lo
                                        ; implicit-def: $vgpr4_vgpr5
	v_cmpx_eq_u32_e32 0, v0
	s_cbranch_execz .LBB145_258
; %bb.253:
	v_cmp_u_f64_e64 s1, s[12:13], s[12:13]
	s_wait_loadcnt_dscnt 0x0
	v_mov_b64_e32 v[4:5], s[12:13]
	s_and_b32 vcc_lo, exec_lo, s1
	s_cbranch_vccnz .LBB145_257
; %bb.254:
	s_mov_b32 s1, exec_lo
	v_cmpx_o_f64_e32 v[2:3], v[2:3]
	s_cbranch_execz .LBB145_256
; %bb.255:
	v_cmp_lt_f64_e32 vcc_lo, s[12:13], v[2:3]
	v_cndmask_b32_e32 v3, s13, v3, vcc_lo
	v_cndmask_b32_e32 v2, s12, v2, vcc_lo
.LBB145_256:
	s_or_b32 exec_lo, exec_lo, s1
	s_delay_alu instid0(VALU_DEP_1)
	v_mov_b64_e32 v[4:5], v[2:3]
.LBB145_257:
	s_or_b32 s18, s18, exec_lo
.LBB145_258:
	s_or_b32 exec_lo, exec_lo, s0
	s_and_saveexec_b32 s0, s18
	s_cbranch_execz .LBB145_260
.LBB145_259:
	v_mov_b32_e32 v0, 0
	s_add_nc_u64 s[0:1], s[6:7], s[8:9]
	s_lshl_b64 s[2:3], s[2:3], 3
	s_delay_alu instid0(SALU_CYCLE_1)
	s_add_nc_u64 s[0:1], s[0:1], s[2:3]
	s_wait_loadcnt_dscnt 0x0
	global_store_b64 v0, v[4:5], s[0:1]
.LBB145_260:
	s_endpgm
	.section	.rodata,"a",@progbits
	.p2align	6, 0x0
	.amdhsa_kernel _ZN7rocprim17ROCPRIM_400000_NS6detail17trampoline_kernelINS0_14default_configENS1_32segmented_reduce_config_selectorIdEEZNS1_21segmented_reduce_implIS3_PKdPdPKldN6hipcub16HIPCUB_304000_NS6detail27convert_result_type_wrapperIS8_S9_N2at6native12_GLOBAL__N_19CustomMaxEEEEE10hipError_tPvRmT0_T1_jT2_SQ_T4_T3_P12ihipStream_tbEUlT_E_NS1_11comp_targetILNS1_3genE0ELNS1_11target_archE4294967295ELNS1_3gpuE0ELNS1_3repE0EEENS1_30default_config_static_selectorELNS0_4arch9wavefront6targetE0EEEvSP_
		.amdhsa_group_segment_fixed_size 64
		.amdhsa_private_segment_fixed_size 0
		.amdhsa_kernarg_size 56
		.amdhsa_user_sgpr_count 2
		.amdhsa_user_sgpr_dispatch_ptr 0
		.amdhsa_user_sgpr_queue_ptr 0
		.amdhsa_user_sgpr_kernarg_segment_ptr 1
		.amdhsa_user_sgpr_dispatch_id 0
		.amdhsa_user_sgpr_kernarg_preload_length 0
		.amdhsa_user_sgpr_kernarg_preload_offset 0
		.amdhsa_user_sgpr_private_segment_size 0
		.amdhsa_wavefront_size32 1
		.amdhsa_uses_dynamic_stack 0
		.amdhsa_enable_private_segment 0
		.amdhsa_system_sgpr_workgroup_id_x 1
		.amdhsa_system_sgpr_workgroup_id_y 0
		.amdhsa_system_sgpr_workgroup_id_z 0
		.amdhsa_system_sgpr_workgroup_info 0
		.amdhsa_system_vgpr_workitem_id 0
		.amdhsa_next_free_vgpr 26
		.amdhsa_next_free_sgpr 22
		.amdhsa_named_barrier_count 0
		.amdhsa_reserve_vcc 1
		.amdhsa_float_round_mode_32 0
		.amdhsa_float_round_mode_16_64 0
		.amdhsa_float_denorm_mode_32 3
		.amdhsa_float_denorm_mode_16_64 3
		.amdhsa_fp16_overflow 0
		.amdhsa_memory_ordered 1
		.amdhsa_forward_progress 1
		.amdhsa_inst_pref_size 45
		.amdhsa_round_robin_scheduling 0
		.amdhsa_exception_fp_ieee_invalid_op 0
		.amdhsa_exception_fp_denorm_src 0
		.amdhsa_exception_fp_ieee_div_zero 0
		.amdhsa_exception_fp_ieee_overflow 0
		.amdhsa_exception_fp_ieee_underflow 0
		.amdhsa_exception_fp_ieee_inexact 0
		.amdhsa_exception_int_div_zero 0
	.end_amdhsa_kernel
	.section	.text._ZN7rocprim17ROCPRIM_400000_NS6detail17trampoline_kernelINS0_14default_configENS1_32segmented_reduce_config_selectorIdEEZNS1_21segmented_reduce_implIS3_PKdPdPKldN6hipcub16HIPCUB_304000_NS6detail27convert_result_type_wrapperIS8_S9_N2at6native12_GLOBAL__N_19CustomMaxEEEEE10hipError_tPvRmT0_T1_jT2_SQ_T4_T3_P12ihipStream_tbEUlT_E_NS1_11comp_targetILNS1_3genE0ELNS1_11target_archE4294967295ELNS1_3gpuE0ELNS1_3repE0EEENS1_30default_config_static_selectorELNS0_4arch9wavefront6targetE0EEEvSP_,"axG",@progbits,_ZN7rocprim17ROCPRIM_400000_NS6detail17trampoline_kernelINS0_14default_configENS1_32segmented_reduce_config_selectorIdEEZNS1_21segmented_reduce_implIS3_PKdPdPKldN6hipcub16HIPCUB_304000_NS6detail27convert_result_type_wrapperIS8_S9_N2at6native12_GLOBAL__N_19CustomMaxEEEEE10hipError_tPvRmT0_T1_jT2_SQ_T4_T3_P12ihipStream_tbEUlT_E_NS1_11comp_targetILNS1_3genE0ELNS1_11target_archE4294967295ELNS1_3gpuE0ELNS1_3repE0EEENS1_30default_config_static_selectorELNS0_4arch9wavefront6targetE0EEEvSP_,comdat
.Lfunc_end145:
	.size	_ZN7rocprim17ROCPRIM_400000_NS6detail17trampoline_kernelINS0_14default_configENS1_32segmented_reduce_config_selectorIdEEZNS1_21segmented_reduce_implIS3_PKdPdPKldN6hipcub16HIPCUB_304000_NS6detail27convert_result_type_wrapperIS8_S9_N2at6native12_GLOBAL__N_19CustomMaxEEEEE10hipError_tPvRmT0_T1_jT2_SQ_T4_T3_P12ihipStream_tbEUlT_E_NS1_11comp_targetILNS1_3genE0ELNS1_11target_archE4294967295ELNS1_3gpuE0ELNS1_3repE0EEENS1_30default_config_static_selectorELNS0_4arch9wavefront6targetE0EEEvSP_, .Lfunc_end145-_ZN7rocprim17ROCPRIM_400000_NS6detail17trampoline_kernelINS0_14default_configENS1_32segmented_reduce_config_selectorIdEEZNS1_21segmented_reduce_implIS3_PKdPdPKldN6hipcub16HIPCUB_304000_NS6detail27convert_result_type_wrapperIS8_S9_N2at6native12_GLOBAL__N_19CustomMaxEEEEE10hipError_tPvRmT0_T1_jT2_SQ_T4_T3_P12ihipStream_tbEUlT_E_NS1_11comp_targetILNS1_3genE0ELNS1_11target_archE4294967295ELNS1_3gpuE0ELNS1_3repE0EEENS1_30default_config_static_selectorELNS0_4arch9wavefront6targetE0EEEvSP_
                                        ; -- End function
	.set _ZN7rocprim17ROCPRIM_400000_NS6detail17trampoline_kernelINS0_14default_configENS1_32segmented_reduce_config_selectorIdEEZNS1_21segmented_reduce_implIS3_PKdPdPKldN6hipcub16HIPCUB_304000_NS6detail27convert_result_type_wrapperIS8_S9_N2at6native12_GLOBAL__N_19CustomMaxEEEEE10hipError_tPvRmT0_T1_jT2_SQ_T4_T3_P12ihipStream_tbEUlT_E_NS1_11comp_targetILNS1_3genE0ELNS1_11target_archE4294967295ELNS1_3gpuE0ELNS1_3repE0EEENS1_30default_config_static_selectorELNS0_4arch9wavefront6targetE0EEEvSP_.num_vgpr, 26
	.set _ZN7rocprim17ROCPRIM_400000_NS6detail17trampoline_kernelINS0_14default_configENS1_32segmented_reduce_config_selectorIdEEZNS1_21segmented_reduce_implIS3_PKdPdPKldN6hipcub16HIPCUB_304000_NS6detail27convert_result_type_wrapperIS8_S9_N2at6native12_GLOBAL__N_19CustomMaxEEEEE10hipError_tPvRmT0_T1_jT2_SQ_T4_T3_P12ihipStream_tbEUlT_E_NS1_11comp_targetILNS1_3genE0ELNS1_11target_archE4294967295ELNS1_3gpuE0ELNS1_3repE0EEENS1_30default_config_static_selectorELNS0_4arch9wavefront6targetE0EEEvSP_.num_agpr, 0
	.set _ZN7rocprim17ROCPRIM_400000_NS6detail17trampoline_kernelINS0_14default_configENS1_32segmented_reduce_config_selectorIdEEZNS1_21segmented_reduce_implIS3_PKdPdPKldN6hipcub16HIPCUB_304000_NS6detail27convert_result_type_wrapperIS8_S9_N2at6native12_GLOBAL__N_19CustomMaxEEEEE10hipError_tPvRmT0_T1_jT2_SQ_T4_T3_P12ihipStream_tbEUlT_E_NS1_11comp_targetILNS1_3genE0ELNS1_11target_archE4294967295ELNS1_3gpuE0ELNS1_3repE0EEENS1_30default_config_static_selectorELNS0_4arch9wavefront6targetE0EEEvSP_.numbered_sgpr, 22
	.set _ZN7rocprim17ROCPRIM_400000_NS6detail17trampoline_kernelINS0_14default_configENS1_32segmented_reduce_config_selectorIdEEZNS1_21segmented_reduce_implIS3_PKdPdPKldN6hipcub16HIPCUB_304000_NS6detail27convert_result_type_wrapperIS8_S9_N2at6native12_GLOBAL__N_19CustomMaxEEEEE10hipError_tPvRmT0_T1_jT2_SQ_T4_T3_P12ihipStream_tbEUlT_E_NS1_11comp_targetILNS1_3genE0ELNS1_11target_archE4294967295ELNS1_3gpuE0ELNS1_3repE0EEENS1_30default_config_static_selectorELNS0_4arch9wavefront6targetE0EEEvSP_.num_named_barrier, 0
	.set _ZN7rocprim17ROCPRIM_400000_NS6detail17trampoline_kernelINS0_14default_configENS1_32segmented_reduce_config_selectorIdEEZNS1_21segmented_reduce_implIS3_PKdPdPKldN6hipcub16HIPCUB_304000_NS6detail27convert_result_type_wrapperIS8_S9_N2at6native12_GLOBAL__N_19CustomMaxEEEEE10hipError_tPvRmT0_T1_jT2_SQ_T4_T3_P12ihipStream_tbEUlT_E_NS1_11comp_targetILNS1_3genE0ELNS1_11target_archE4294967295ELNS1_3gpuE0ELNS1_3repE0EEENS1_30default_config_static_selectorELNS0_4arch9wavefront6targetE0EEEvSP_.private_seg_size, 0
	.set _ZN7rocprim17ROCPRIM_400000_NS6detail17trampoline_kernelINS0_14default_configENS1_32segmented_reduce_config_selectorIdEEZNS1_21segmented_reduce_implIS3_PKdPdPKldN6hipcub16HIPCUB_304000_NS6detail27convert_result_type_wrapperIS8_S9_N2at6native12_GLOBAL__N_19CustomMaxEEEEE10hipError_tPvRmT0_T1_jT2_SQ_T4_T3_P12ihipStream_tbEUlT_E_NS1_11comp_targetILNS1_3genE0ELNS1_11target_archE4294967295ELNS1_3gpuE0ELNS1_3repE0EEENS1_30default_config_static_selectorELNS0_4arch9wavefront6targetE0EEEvSP_.uses_vcc, 1
	.set _ZN7rocprim17ROCPRIM_400000_NS6detail17trampoline_kernelINS0_14default_configENS1_32segmented_reduce_config_selectorIdEEZNS1_21segmented_reduce_implIS3_PKdPdPKldN6hipcub16HIPCUB_304000_NS6detail27convert_result_type_wrapperIS8_S9_N2at6native12_GLOBAL__N_19CustomMaxEEEEE10hipError_tPvRmT0_T1_jT2_SQ_T4_T3_P12ihipStream_tbEUlT_E_NS1_11comp_targetILNS1_3genE0ELNS1_11target_archE4294967295ELNS1_3gpuE0ELNS1_3repE0EEENS1_30default_config_static_selectorELNS0_4arch9wavefront6targetE0EEEvSP_.uses_flat_scratch, 0
	.set _ZN7rocprim17ROCPRIM_400000_NS6detail17trampoline_kernelINS0_14default_configENS1_32segmented_reduce_config_selectorIdEEZNS1_21segmented_reduce_implIS3_PKdPdPKldN6hipcub16HIPCUB_304000_NS6detail27convert_result_type_wrapperIS8_S9_N2at6native12_GLOBAL__N_19CustomMaxEEEEE10hipError_tPvRmT0_T1_jT2_SQ_T4_T3_P12ihipStream_tbEUlT_E_NS1_11comp_targetILNS1_3genE0ELNS1_11target_archE4294967295ELNS1_3gpuE0ELNS1_3repE0EEENS1_30default_config_static_selectorELNS0_4arch9wavefront6targetE0EEEvSP_.has_dyn_sized_stack, 0
	.set _ZN7rocprim17ROCPRIM_400000_NS6detail17trampoline_kernelINS0_14default_configENS1_32segmented_reduce_config_selectorIdEEZNS1_21segmented_reduce_implIS3_PKdPdPKldN6hipcub16HIPCUB_304000_NS6detail27convert_result_type_wrapperIS8_S9_N2at6native12_GLOBAL__N_19CustomMaxEEEEE10hipError_tPvRmT0_T1_jT2_SQ_T4_T3_P12ihipStream_tbEUlT_E_NS1_11comp_targetILNS1_3genE0ELNS1_11target_archE4294967295ELNS1_3gpuE0ELNS1_3repE0EEENS1_30default_config_static_selectorELNS0_4arch9wavefront6targetE0EEEvSP_.has_recursion, 0
	.set _ZN7rocprim17ROCPRIM_400000_NS6detail17trampoline_kernelINS0_14default_configENS1_32segmented_reduce_config_selectorIdEEZNS1_21segmented_reduce_implIS3_PKdPdPKldN6hipcub16HIPCUB_304000_NS6detail27convert_result_type_wrapperIS8_S9_N2at6native12_GLOBAL__N_19CustomMaxEEEEE10hipError_tPvRmT0_T1_jT2_SQ_T4_T3_P12ihipStream_tbEUlT_E_NS1_11comp_targetILNS1_3genE0ELNS1_11target_archE4294967295ELNS1_3gpuE0ELNS1_3repE0EEENS1_30default_config_static_selectorELNS0_4arch9wavefront6targetE0EEEvSP_.has_indirect_call, 0
	.section	.AMDGPU.csdata,"",@progbits
; Kernel info:
; codeLenInByte = 5664
; TotalNumSgprs: 24
; NumVgprs: 26
; ScratchSize: 0
; MemoryBound: 0
; FloatMode: 240
; IeeeMode: 1
; LDSByteSize: 64 bytes/workgroup (compile time only)
; SGPRBlocks: 0
; VGPRBlocks: 1
; NumSGPRsForWavesPerEU: 24
; NumVGPRsForWavesPerEU: 26
; NamedBarCnt: 0
; Occupancy: 16
; WaveLimiterHint : 1
; COMPUTE_PGM_RSRC2:SCRATCH_EN: 0
; COMPUTE_PGM_RSRC2:USER_SGPR: 2
; COMPUTE_PGM_RSRC2:TRAP_HANDLER: 0
; COMPUTE_PGM_RSRC2:TGID_X_EN: 1
; COMPUTE_PGM_RSRC2:TGID_Y_EN: 0
; COMPUTE_PGM_RSRC2:TGID_Z_EN: 0
; COMPUTE_PGM_RSRC2:TIDIG_COMP_CNT: 0
	.section	.text._ZN7rocprim17ROCPRIM_400000_NS6detail17trampoline_kernelINS0_14default_configENS1_32segmented_reduce_config_selectorIdEEZNS1_21segmented_reduce_implIS3_PKdPdPKldN6hipcub16HIPCUB_304000_NS6detail27convert_result_type_wrapperIS8_S9_N2at6native12_GLOBAL__N_19CustomMaxEEEEE10hipError_tPvRmT0_T1_jT2_SQ_T4_T3_P12ihipStream_tbEUlT_E_NS1_11comp_targetILNS1_3genE5ELNS1_11target_archE942ELNS1_3gpuE9ELNS1_3repE0EEENS1_30default_config_static_selectorELNS0_4arch9wavefront6targetE0EEEvSP_,"axG",@progbits,_ZN7rocprim17ROCPRIM_400000_NS6detail17trampoline_kernelINS0_14default_configENS1_32segmented_reduce_config_selectorIdEEZNS1_21segmented_reduce_implIS3_PKdPdPKldN6hipcub16HIPCUB_304000_NS6detail27convert_result_type_wrapperIS8_S9_N2at6native12_GLOBAL__N_19CustomMaxEEEEE10hipError_tPvRmT0_T1_jT2_SQ_T4_T3_P12ihipStream_tbEUlT_E_NS1_11comp_targetILNS1_3genE5ELNS1_11target_archE942ELNS1_3gpuE9ELNS1_3repE0EEENS1_30default_config_static_selectorELNS0_4arch9wavefront6targetE0EEEvSP_,comdat
	.globl	_ZN7rocprim17ROCPRIM_400000_NS6detail17trampoline_kernelINS0_14default_configENS1_32segmented_reduce_config_selectorIdEEZNS1_21segmented_reduce_implIS3_PKdPdPKldN6hipcub16HIPCUB_304000_NS6detail27convert_result_type_wrapperIS8_S9_N2at6native12_GLOBAL__N_19CustomMaxEEEEE10hipError_tPvRmT0_T1_jT2_SQ_T4_T3_P12ihipStream_tbEUlT_E_NS1_11comp_targetILNS1_3genE5ELNS1_11target_archE942ELNS1_3gpuE9ELNS1_3repE0EEENS1_30default_config_static_selectorELNS0_4arch9wavefront6targetE0EEEvSP_ ; -- Begin function _ZN7rocprim17ROCPRIM_400000_NS6detail17trampoline_kernelINS0_14default_configENS1_32segmented_reduce_config_selectorIdEEZNS1_21segmented_reduce_implIS3_PKdPdPKldN6hipcub16HIPCUB_304000_NS6detail27convert_result_type_wrapperIS8_S9_N2at6native12_GLOBAL__N_19CustomMaxEEEEE10hipError_tPvRmT0_T1_jT2_SQ_T4_T3_P12ihipStream_tbEUlT_E_NS1_11comp_targetILNS1_3genE5ELNS1_11target_archE942ELNS1_3gpuE9ELNS1_3repE0EEENS1_30default_config_static_selectorELNS0_4arch9wavefront6targetE0EEEvSP_
	.p2align	8
	.type	_ZN7rocprim17ROCPRIM_400000_NS6detail17trampoline_kernelINS0_14default_configENS1_32segmented_reduce_config_selectorIdEEZNS1_21segmented_reduce_implIS3_PKdPdPKldN6hipcub16HIPCUB_304000_NS6detail27convert_result_type_wrapperIS8_S9_N2at6native12_GLOBAL__N_19CustomMaxEEEEE10hipError_tPvRmT0_T1_jT2_SQ_T4_T3_P12ihipStream_tbEUlT_E_NS1_11comp_targetILNS1_3genE5ELNS1_11target_archE942ELNS1_3gpuE9ELNS1_3repE0EEENS1_30default_config_static_selectorELNS0_4arch9wavefront6targetE0EEEvSP_,@function
_ZN7rocprim17ROCPRIM_400000_NS6detail17trampoline_kernelINS0_14default_configENS1_32segmented_reduce_config_selectorIdEEZNS1_21segmented_reduce_implIS3_PKdPdPKldN6hipcub16HIPCUB_304000_NS6detail27convert_result_type_wrapperIS8_S9_N2at6native12_GLOBAL__N_19CustomMaxEEEEE10hipError_tPvRmT0_T1_jT2_SQ_T4_T3_P12ihipStream_tbEUlT_E_NS1_11comp_targetILNS1_3genE5ELNS1_11target_archE942ELNS1_3gpuE9ELNS1_3repE0EEENS1_30default_config_static_selectorELNS0_4arch9wavefront6targetE0EEEvSP_: ; @_ZN7rocprim17ROCPRIM_400000_NS6detail17trampoline_kernelINS0_14default_configENS1_32segmented_reduce_config_selectorIdEEZNS1_21segmented_reduce_implIS3_PKdPdPKldN6hipcub16HIPCUB_304000_NS6detail27convert_result_type_wrapperIS8_S9_N2at6native12_GLOBAL__N_19CustomMaxEEEEE10hipError_tPvRmT0_T1_jT2_SQ_T4_T3_P12ihipStream_tbEUlT_E_NS1_11comp_targetILNS1_3genE5ELNS1_11target_archE942ELNS1_3gpuE9ELNS1_3repE0EEENS1_30default_config_static_selectorELNS0_4arch9wavefront6targetE0EEEvSP_
; %bb.0:
	.section	.rodata,"a",@progbits
	.p2align	6, 0x0
	.amdhsa_kernel _ZN7rocprim17ROCPRIM_400000_NS6detail17trampoline_kernelINS0_14default_configENS1_32segmented_reduce_config_selectorIdEEZNS1_21segmented_reduce_implIS3_PKdPdPKldN6hipcub16HIPCUB_304000_NS6detail27convert_result_type_wrapperIS8_S9_N2at6native12_GLOBAL__N_19CustomMaxEEEEE10hipError_tPvRmT0_T1_jT2_SQ_T4_T3_P12ihipStream_tbEUlT_E_NS1_11comp_targetILNS1_3genE5ELNS1_11target_archE942ELNS1_3gpuE9ELNS1_3repE0EEENS1_30default_config_static_selectorELNS0_4arch9wavefront6targetE0EEEvSP_
		.amdhsa_group_segment_fixed_size 0
		.amdhsa_private_segment_fixed_size 0
		.amdhsa_kernarg_size 56
		.amdhsa_user_sgpr_count 2
		.amdhsa_user_sgpr_dispatch_ptr 0
		.amdhsa_user_sgpr_queue_ptr 0
		.amdhsa_user_sgpr_kernarg_segment_ptr 1
		.amdhsa_user_sgpr_dispatch_id 0
		.amdhsa_user_sgpr_kernarg_preload_length 0
		.amdhsa_user_sgpr_kernarg_preload_offset 0
		.amdhsa_user_sgpr_private_segment_size 0
		.amdhsa_wavefront_size32 1
		.amdhsa_uses_dynamic_stack 0
		.amdhsa_enable_private_segment 0
		.amdhsa_system_sgpr_workgroup_id_x 1
		.amdhsa_system_sgpr_workgroup_id_y 0
		.amdhsa_system_sgpr_workgroup_id_z 0
		.amdhsa_system_sgpr_workgroup_info 0
		.amdhsa_system_vgpr_workitem_id 0
		.amdhsa_next_free_vgpr 1
		.amdhsa_next_free_sgpr 1
		.amdhsa_named_barrier_count 0
		.amdhsa_reserve_vcc 0
		.amdhsa_float_round_mode_32 0
		.amdhsa_float_round_mode_16_64 0
		.amdhsa_float_denorm_mode_32 3
		.amdhsa_float_denorm_mode_16_64 3
		.amdhsa_fp16_overflow 0
		.amdhsa_memory_ordered 1
		.amdhsa_forward_progress 1
		.amdhsa_inst_pref_size 0
		.amdhsa_round_robin_scheduling 0
		.amdhsa_exception_fp_ieee_invalid_op 0
		.amdhsa_exception_fp_denorm_src 0
		.amdhsa_exception_fp_ieee_div_zero 0
		.amdhsa_exception_fp_ieee_overflow 0
		.amdhsa_exception_fp_ieee_underflow 0
		.amdhsa_exception_fp_ieee_inexact 0
		.amdhsa_exception_int_div_zero 0
	.end_amdhsa_kernel
	.section	.text._ZN7rocprim17ROCPRIM_400000_NS6detail17trampoline_kernelINS0_14default_configENS1_32segmented_reduce_config_selectorIdEEZNS1_21segmented_reduce_implIS3_PKdPdPKldN6hipcub16HIPCUB_304000_NS6detail27convert_result_type_wrapperIS8_S9_N2at6native12_GLOBAL__N_19CustomMaxEEEEE10hipError_tPvRmT0_T1_jT2_SQ_T4_T3_P12ihipStream_tbEUlT_E_NS1_11comp_targetILNS1_3genE5ELNS1_11target_archE942ELNS1_3gpuE9ELNS1_3repE0EEENS1_30default_config_static_selectorELNS0_4arch9wavefront6targetE0EEEvSP_,"axG",@progbits,_ZN7rocprim17ROCPRIM_400000_NS6detail17trampoline_kernelINS0_14default_configENS1_32segmented_reduce_config_selectorIdEEZNS1_21segmented_reduce_implIS3_PKdPdPKldN6hipcub16HIPCUB_304000_NS6detail27convert_result_type_wrapperIS8_S9_N2at6native12_GLOBAL__N_19CustomMaxEEEEE10hipError_tPvRmT0_T1_jT2_SQ_T4_T3_P12ihipStream_tbEUlT_E_NS1_11comp_targetILNS1_3genE5ELNS1_11target_archE942ELNS1_3gpuE9ELNS1_3repE0EEENS1_30default_config_static_selectorELNS0_4arch9wavefront6targetE0EEEvSP_,comdat
.Lfunc_end146:
	.size	_ZN7rocprim17ROCPRIM_400000_NS6detail17trampoline_kernelINS0_14default_configENS1_32segmented_reduce_config_selectorIdEEZNS1_21segmented_reduce_implIS3_PKdPdPKldN6hipcub16HIPCUB_304000_NS6detail27convert_result_type_wrapperIS8_S9_N2at6native12_GLOBAL__N_19CustomMaxEEEEE10hipError_tPvRmT0_T1_jT2_SQ_T4_T3_P12ihipStream_tbEUlT_E_NS1_11comp_targetILNS1_3genE5ELNS1_11target_archE942ELNS1_3gpuE9ELNS1_3repE0EEENS1_30default_config_static_selectorELNS0_4arch9wavefront6targetE0EEEvSP_, .Lfunc_end146-_ZN7rocprim17ROCPRIM_400000_NS6detail17trampoline_kernelINS0_14default_configENS1_32segmented_reduce_config_selectorIdEEZNS1_21segmented_reduce_implIS3_PKdPdPKldN6hipcub16HIPCUB_304000_NS6detail27convert_result_type_wrapperIS8_S9_N2at6native12_GLOBAL__N_19CustomMaxEEEEE10hipError_tPvRmT0_T1_jT2_SQ_T4_T3_P12ihipStream_tbEUlT_E_NS1_11comp_targetILNS1_3genE5ELNS1_11target_archE942ELNS1_3gpuE9ELNS1_3repE0EEENS1_30default_config_static_selectorELNS0_4arch9wavefront6targetE0EEEvSP_
                                        ; -- End function
	.set _ZN7rocprim17ROCPRIM_400000_NS6detail17trampoline_kernelINS0_14default_configENS1_32segmented_reduce_config_selectorIdEEZNS1_21segmented_reduce_implIS3_PKdPdPKldN6hipcub16HIPCUB_304000_NS6detail27convert_result_type_wrapperIS8_S9_N2at6native12_GLOBAL__N_19CustomMaxEEEEE10hipError_tPvRmT0_T1_jT2_SQ_T4_T3_P12ihipStream_tbEUlT_E_NS1_11comp_targetILNS1_3genE5ELNS1_11target_archE942ELNS1_3gpuE9ELNS1_3repE0EEENS1_30default_config_static_selectorELNS0_4arch9wavefront6targetE0EEEvSP_.num_vgpr, 0
	.set _ZN7rocprim17ROCPRIM_400000_NS6detail17trampoline_kernelINS0_14default_configENS1_32segmented_reduce_config_selectorIdEEZNS1_21segmented_reduce_implIS3_PKdPdPKldN6hipcub16HIPCUB_304000_NS6detail27convert_result_type_wrapperIS8_S9_N2at6native12_GLOBAL__N_19CustomMaxEEEEE10hipError_tPvRmT0_T1_jT2_SQ_T4_T3_P12ihipStream_tbEUlT_E_NS1_11comp_targetILNS1_3genE5ELNS1_11target_archE942ELNS1_3gpuE9ELNS1_3repE0EEENS1_30default_config_static_selectorELNS0_4arch9wavefront6targetE0EEEvSP_.num_agpr, 0
	.set _ZN7rocprim17ROCPRIM_400000_NS6detail17trampoline_kernelINS0_14default_configENS1_32segmented_reduce_config_selectorIdEEZNS1_21segmented_reduce_implIS3_PKdPdPKldN6hipcub16HIPCUB_304000_NS6detail27convert_result_type_wrapperIS8_S9_N2at6native12_GLOBAL__N_19CustomMaxEEEEE10hipError_tPvRmT0_T1_jT2_SQ_T4_T3_P12ihipStream_tbEUlT_E_NS1_11comp_targetILNS1_3genE5ELNS1_11target_archE942ELNS1_3gpuE9ELNS1_3repE0EEENS1_30default_config_static_selectorELNS0_4arch9wavefront6targetE0EEEvSP_.numbered_sgpr, 0
	.set _ZN7rocprim17ROCPRIM_400000_NS6detail17trampoline_kernelINS0_14default_configENS1_32segmented_reduce_config_selectorIdEEZNS1_21segmented_reduce_implIS3_PKdPdPKldN6hipcub16HIPCUB_304000_NS6detail27convert_result_type_wrapperIS8_S9_N2at6native12_GLOBAL__N_19CustomMaxEEEEE10hipError_tPvRmT0_T1_jT2_SQ_T4_T3_P12ihipStream_tbEUlT_E_NS1_11comp_targetILNS1_3genE5ELNS1_11target_archE942ELNS1_3gpuE9ELNS1_3repE0EEENS1_30default_config_static_selectorELNS0_4arch9wavefront6targetE0EEEvSP_.num_named_barrier, 0
	.set _ZN7rocprim17ROCPRIM_400000_NS6detail17trampoline_kernelINS0_14default_configENS1_32segmented_reduce_config_selectorIdEEZNS1_21segmented_reduce_implIS3_PKdPdPKldN6hipcub16HIPCUB_304000_NS6detail27convert_result_type_wrapperIS8_S9_N2at6native12_GLOBAL__N_19CustomMaxEEEEE10hipError_tPvRmT0_T1_jT2_SQ_T4_T3_P12ihipStream_tbEUlT_E_NS1_11comp_targetILNS1_3genE5ELNS1_11target_archE942ELNS1_3gpuE9ELNS1_3repE0EEENS1_30default_config_static_selectorELNS0_4arch9wavefront6targetE0EEEvSP_.private_seg_size, 0
	.set _ZN7rocprim17ROCPRIM_400000_NS6detail17trampoline_kernelINS0_14default_configENS1_32segmented_reduce_config_selectorIdEEZNS1_21segmented_reduce_implIS3_PKdPdPKldN6hipcub16HIPCUB_304000_NS6detail27convert_result_type_wrapperIS8_S9_N2at6native12_GLOBAL__N_19CustomMaxEEEEE10hipError_tPvRmT0_T1_jT2_SQ_T4_T3_P12ihipStream_tbEUlT_E_NS1_11comp_targetILNS1_3genE5ELNS1_11target_archE942ELNS1_3gpuE9ELNS1_3repE0EEENS1_30default_config_static_selectorELNS0_4arch9wavefront6targetE0EEEvSP_.uses_vcc, 0
	.set _ZN7rocprim17ROCPRIM_400000_NS6detail17trampoline_kernelINS0_14default_configENS1_32segmented_reduce_config_selectorIdEEZNS1_21segmented_reduce_implIS3_PKdPdPKldN6hipcub16HIPCUB_304000_NS6detail27convert_result_type_wrapperIS8_S9_N2at6native12_GLOBAL__N_19CustomMaxEEEEE10hipError_tPvRmT0_T1_jT2_SQ_T4_T3_P12ihipStream_tbEUlT_E_NS1_11comp_targetILNS1_3genE5ELNS1_11target_archE942ELNS1_3gpuE9ELNS1_3repE0EEENS1_30default_config_static_selectorELNS0_4arch9wavefront6targetE0EEEvSP_.uses_flat_scratch, 0
	.set _ZN7rocprim17ROCPRIM_400000_NS6detail17trampoline_kernelINS0_14default_configENS1_32segmented_reduce_config_selectorIdEEZNS1_21segmented_reduce_implIS3_PKdPdPKldN6hipcub16HIPCUB_304000_NS6detail27convert_result_type_wrapperIS8_S9_N2at6native12_GLOBAL__N_19CustomMaxEEEEE10hipError_tPvRmT0_T1_jT2_SQ_T4_T3_P12ihipStream_tbEUlT_E_NS1_11comp_targetILNS1_3genE5ELNS1_11target_archE942ELNS1_3gpuE9ELNS1_3repE0EEENS1_30default_config_static_selectorELNS0_4arch9wavefront6targetE0EEEvSP_.has_dyn_sized_stack, 0
	.set _ZN7rocprim17ROCPRIM_400000_NS6detail17trampoline_kernelINS0_14default_configENS1_32segmented_reduce_config_selectorIdEEZNS1_21segmented_reduce_implIS3_PKdPdPKldN6hipcub16HIPCUB_304000_NS6detail27convert_result_type_wrapperIS8_S9_N2at6native12_GLOBAL__N_19CustomMaxEEEEE10hipError_tPvRmT0_T1_jT2_SQ_T4_T3_P12ihipStream_tbEUlT_E_NS1_11comp_targetILNS1_3genE5ELNS1_11target_archE942ELNS1_3gpuE9ELNS1_3repE0EEENS1_30default_config_static_selectorELNS0_4arch9wavefront6targetE0EEEvSP_.has_recursion, 0
	.set _ZN7rocprim17ROCPRIM_400000_NS6detail17trampoline_kernelINS0_14default_configENS1_32segmented_reduce_config_selectorIdEEZNS1_21segmented_reduce_implIS3_PKdPdPKldN6hipcub16HIPCUB_304000_NS6detail27convert_result_type_wrapperIS8_S9_N2at6native12_GLOBAL__N_19CustomMaxEEEEE10hipError_tPvRmT0_T1_jT2_SQ_T4_T3_P12ihipStream_tbEUlT_E_NS1_11comp_targetILNS1_3genE5ELNS1_11target_archE942ELNS1_3gpuE9ELNS1_3repE0EEENS1_30default_config_static_selectorELNS0_4arch9wavefront6targetE0EEEvSP_.has_indirect_call, 0
	.section	.AMDGPU.csdata,"",@progbits
; Kernel info:
; codeLenInByte = 0
; TotalNumSgprs: 0
; NumVgprs: 0
; ScratchSize: 0
; MemoryBound: 0
; FloatMode: 240
; IeeeMode: 1
; LDSByteSize: 0 bytes/workgroup (compile time only)
; SGPRBlocks: 0
; VGPRBlocks: 0
; NumSGPRsForWavesPerEU: 1
; NumVGPRsForWavesPerEU: 1
; NamedBarCnt: 0
; Occupancy: 16
; WaveLimiterHint : 0
; COMPUTE_PGM_RSRC2:SCRATCH_EN: 0
; COMPUTE_PGM_RSRC2:USER_SGPR: 2
; COMPUTE_PGM_RSRC2:TRAP_HANDLER: 0
; COMPUTE_PGM_RSRC2:TGID_X_EN: 1
; COMPUTE_PGM_RSRC2:TGID_Y_EN: 0
; COMPUTE_PGM_RSRC2:TGID_Z_EN: 0
; COMPUTE_PGM_RSRC2:TIDIG_COMP_CNT: 0
	.section	.text._ZN7rocprim17ROCPRIM_400000_NS6detail17trampoline_kernelINS0_14default_configENS1_32segmented_reduce_config_selectorIdEEZNS1_21segmented_reduce_implIS3_PKdPdPKldN6hipcub16HIPCUB_304000_NS6detail27convert_result_type_wrapperIS8_S9_N2at6native12_GLOBAL__N_19CustomMaxEEEEE10hipError_tPvRmT0_T1_jT2_SQ_T4_T3_P12ihipStream_tbEUlT_E_NS1_11comp_targetILNS1_3genE10ELNS1_11target_archE1201ELNS1_3gpuE5ELNS1_3repE0EEENS1_30default_config_static_selectorELNS0_4arch9wavefront6targetE0EEEvSP_,"axG",@progbits,_ZN7rocprim17ROCPRIM_400000_NS6detail17trampoline_kernelINS0_14default_configENS1_32segmented_reduce_config_selectorIdEEZNS1_21segmented_reduce_implIS3_PKdPdPKldN6hipcub16HIPCUB_304000_NS6detail27convert_result_type_wrapperIS8_S9_N2at6native12_GLOBAL__N_19CustomMaxEEEEE10hipError_tPvRmT0_T1_jT2_SQ_T4_T3_P12ihipStream_tbEUlT_E_NS1_11comp_targetILNS1_3genE10ELNS1_11target_archE1201ELNS1_3gpuE5ELNS1_3repE0EEENS1_30default_config_static_selectorELNS0_4arch9wavefront6targetE0EEEvSP_,comdat
	.globl	_ZN7rocprim17ROCPRIM_400000_NS6detail17trampoline_kernelINS0_14default_configENS1_32segmented_reduce_config_selectorIdEEZNS1_21segmented_reduce_implIS3_PKdPdPKldN6hipcub16HIPCUB_304000_NS6detail27convert_result_type_wrapperIS8_S9_N2at6native12_GLOBAL__N_19CustomMaxEEEEE10hipError_tPvRmT0_T1_jT2_SQ_T4_T3_P12ihipStream_tbEUlT_E_NS1_11comp_targetILNS1_3genE10ELNS1_11target_archE1201ELNS1_3gpuE5ELNS1_3repE0EEENS1_30default_config_static_selectorELNS0_4arch9wavefront6targetE0EEEvSP_ ; -- Begin function _ZN7rocprim17ROCPRIM_400000_NS6detail17trampoline_kernelINS0_14default_configENS1_32segmented_reduce_config_selectorIdEEZNS1_21segmented_reduce_implIS3_PKdPdPKldN6hipcub16HIPCUB_304000_NS6detail27convert_result_type_wrapperIS8_S9_N2at6native12_GLOBAL__N_19CustomMaxEEEEE10hipError_tPvRmT0_T1_jT2_SQ_T4_T3_P12ihipStream_tbEUlT_E_NS1_11comp_targetILNS1_3genE10ELNS1_11target_archE1201ELNS1_3gpuE5ELNS1_3repE0EEENS1_30default_config_static_selectorELNS0_4arch9wavefront6targetE0EEEvSP_
	.p2align	8
	.type	_ZN7rocprim17ROCPRIM_400000_NS6detail17trampoline_kernelINS0_14default_configENS1_32segmented_reduce_config_selectorIdEEZNS1_21segmented_reduce_implIS3_PKdPdPKldN6hipcub16HIPCUB_304000_NS6detail27convert_result_type_wrapperIS8_S9_N2at6native12_GLOBAL__N_19CustomMaxEEEEE10hipError_tPvRmT0_T1_jT2_SQ_T4_T3_P12ihipStream_tbEUlT_E_NS1_11comp_targetILNS1_3genE10ELNS1_11target_archE1201ELNS1_3gpuE5ELNS1_3repE0EEENS1_30default_config_static_selectorELNS0_4arch9wavefront6targetE0EEEvSP_,@function
_ZN7rocprim17ROCPRIM_400000_NS6detail17trampoline_kernelINS0_14default_configENS1_32segmented_reduce_config_selectorIdEEZNS1_21segmented_reduce_implIS3_PKdPdPKldN6hipcub16HIPCUB_304000_NS6detail27convert_result_type_wrapperIS8_S9_N2at6native12_GLOBAL__N_19CustomMaxEEEEE10hipError_tPvRmT0_T1_jT2_SQ_T4_T3_P12ihipStream_tbEUlT_E_NS1_11comp_targetILNS1_3genE10ELNS1_11target_archE1201ELNS1_3gpuE5ELNS1_3repE0EEENS1_30default_config_static_selectorELNS0_4arch9wavefront6targetE0EEEvSP_: ; @_ZN7rocprim17ROCPRIM_400000_NS6detail17trampoline_kernelINS0_14default_configENS1_32segmented_reduce_config_selectorIdEEZNS1_21segmented_reduce_implIS3_PKdPdPKldN6hipcub16HIPCUB_304000_NS6detail27convert_result_type_wrapperIS8_S9_N2at6native12_GLOBAL__N_19CustomMaxEEEEE10hipError_tPvRmT0_T1_jT2_SQ_T4_T3_P12ihipStream_tbEUlT_E_NS1_11comp_targetILNS1_3genE10ELNS1_11target_archE1201ELNS1_3gpuE5ELNS1_3repE0EEENS1_30default_config_static_selectorELNS0_4arch9wavefront6targetE0EEEvSP_
; %bb.0:
	.section	.rodata,"a",@progbits
	.p2align	6, 0x0
	.amdhsa_kernel _ZN7rocprim17ROCPRIM_400000_NS6detail17trampoline_kernelINS0_14default_configENS1_32segmented_reduce_config_selectorIdEEZNS1_21segmented_reduce_implIS3_PKdPdPKldN6hipcub16HIPCUB_304000_NS6detail27convert_result_type_wrapperIS8_S9_N2at6native12_GLOBAL__N_19CustomMaxEEEEE10hipError_tPvRmT0_T1_jT2_SQ_T4_T3_P12ihipStream_tbEUlT_E_NS1_11comp_targetILNS1_3genE10ELNS1_11target_archE1201ELNS1_3gpuE5ELNS1_3repE0EEENS1_30default_config_static_selectorELNS0_4arch9wavefront6targetE0EEEvSP_
		.amdhsa_group_segment_fixed_size 0
		.amdhsa_private_segment_fixed_size 0
		.amdhsa_kernarg_size 56
		.amdhsa_user_sgpr_count 2
		.amdhsa_user_sgpr_dispatch_ptr 0
		.amdhsa_user_sgpr_queue_ptr 0
		.amdhsa_user_sgpr_kernarg_segment_ptr 1
		.amdhsa_user_sgpr_dispatch_id 0
		.amdhsa_user_sgpr_kernarg_preload_length 0
		.amdhsa_user_sgpr_kernarg_preload_offset 0
		.amdhsa_user_sgpr_private_segment_size 0
		.amdhsa_wavefront_size32 1
		.amdhsa_uses_dynamic_stack 0
		.amdhsa_enable_private_segment 0
		.amdhsa_system_sgpr_workgroup_id_x 1
		.amdhsa_system_sgpr_workgroup_id_y 0
		.amdhsa_system_sgpr_workgroup_id_z 0
		.amdhsa_system_sgpr_workgroup_info 0
		.amdhsa_system_vgpr_workitem_id 0
		.amdhsa_next_free_vgpr 1
		.amdhsa_next_free_sgpr 1
		.amdhsa_named_barrier_count 0
		.amdhsa_reserve_vcc 0
		.amdhsa_float_round_mode_32 0
		.amdhsa_float_round_mode_16_64 0
		.amdhsa_float_denorm_mode_32 3
		.amdhsa_float_denorm_mode_16_64 3
		.amdhsa_fp16_overflow 0
		.amdhsa_memory_ordered 1
		.amdhsa_forward_progress 1
		.amdhsa_inst_pref_size 0
		.amdhsa_round_robin_scheduling 0
		.amdhsa_exception_fp_ieee_invalid_op 0
		.amdhsa_exception_fp_denorm_src 0
		.amdhsa_exception_fp_ieee_div_zero 0
		.amdhsa_exception_fp_ieee_overflow 0
		.amdhsa_exception_fp_ieee_underflow 0
		.amdhsa_exception_fp_ieee_inexact 0
		.amdhsa_exception_int_div_zero 0
	.end_amdhsa_kernel
	.section	.text._ZN7rocprim17ROCPRIM_400000_NS6detail17trampoline_kernelINS0_14default_configENS1_32segmented_reduce_config_selectorIdEEZNS1_21segmented_reduce_implIS3_PKdPdPKldN6hipcub16HIPCUB_304000_NS6detail27convert_result_type_wrapperIS8_S9_N2at6native12_GLOBAL__N_19CustomMaxEEEEE10hipError_tPvRmT0_T1_jT2_SQ_T4_T3_P12ihipStream_tbEUlT_E_NS1_11comp_targetILNS1_3genE10ELNS1_11target_archE1201ELNS1_3gpuE5ELNS1_3repE0EEENS1_30default_config_static_selectorELNS0_4arch9wavefront6targetE0EEEvSP_,"axG",@progbits,_ZN7rocprim17ROCPRIM_400000_NS6detail17trampoline_kernelINS0_14default_configENS1_32segmented_reduce_config_selectorIdEEZNS1_21segmented_reduce_implIS3_PKdPdPKldN6hipcub16HIPCUB_304000_NS6detail27convert_result_type_wrapperIS8_S9_N2at6native12_GLOBAL__N_19CustomMaxEEEEE10hipError_tPvRmT0_T1_jT2_SQ_T4_T3_P12ihipStream_tbEUlT_E_NS1_11comp_targetILNS1_3genE10ELNS1_11target_archE1201ELNS1_3gpuE5ELNS1_3repE0EEENS1_30default_config_static_selectorELNS0_4arch9wavefront6targetE0EEEvSP_,comdat
.Lfunc_end147:
	.size	_ZN7rocprim17ROCPRIM_400000_NS6detail17trampoline_kernelINS0_14default_configENS1_32segmented_reduce_config_selectorIdEEZNS1_21segmented_reduce_implIS3_PKdPdPKldN6hipcub16HIPCUB_304000_NS6detail27convert_result_type_wrapperIS8_S9_N2at6native12_GLOBAL__N_19CustomMaxEEEEE10hipError_tPvRmT0_T1_jT2_SQ_T4_T3_P12ihipStream_tbEUlT_E_NS1_11comp_targetILNS1_3genE10ELNS1_11target_archE1201ELNS1_3gpuE5ELNS1_3repE0EEENS1_30default_config_static_selectorELNS0_4arch9wavefront6targetE0EEEvSP_, .Lfunc_end147-_ZN7rocprim17ROCPRIM_400000_NS6detail17trampoline_kernelINS0_14default_configENS1_32segmented_reduce_config_selectorIdEEZNS1_21segmented_reduce_implIS3_PKdPdPKldN6hipcub16HIPCUB_304000_NS6detail27convert_result_type_wrapperIS8_S9_N2at6native12_GLOBAL__N_19CustomMaxEEEEE10hipError_tPvRmT0_T1_jT2_SQ_T4_T3_P12ihipStream_tbEUlT_E_NS1_11comp_targetILNS1_3genE10ELNS1_11target_archE1201ELNS1_3gpuE5ELNS1_3repE0EEENS1_30default_config_static_selectorELNS0_4arch9wavefront6targetE0EEEvSP_
                                        ; -- End function
	.set _ZN7rocprim17ROCPRIM_400000_NS6detail17trampoline_kernelINS0_14default_configENS1_32segmented_reduce_config_selectorIdEEZNS1_21segmented_reduce_implIS3_PKdPdPKldN6hipcub16HIPCUB_304000_NS6detail27convert_result_type_wrapperIS8_S9_N2at6native12_GLOBAL__N_19CustomMaxEEEEE10hipError_tPvRmT0_T1_jT2_SQ_T4_T3_P12ihipStream_tbEUlT_E_NS1_11comp_targetILNS1_3genE10ELNS1_11target_archE1201ELNS1_3gpuE5ELNS1_3repE0EEENS1_30default_config_static_selectorELNS0_4arch9wavefront6targetE0EEEvSP_.num_vgpr, 0
	.set _ZN7rocprim17ROCPRIM_400000_NS6detail17trampoline_kernelINS0_14default_configENS1_32segmented_reduce_config_selectorIdEEZNS1_21segmented_reduce_implIS3_PKdPdPKldN6hipcub16HIPCUB_304000_NS6detail27convert_result_type_wrapperIS8_S9_N2at6native12_GLOBAL__N_19CustomMaxEEEEE10hipError_tPvRmT0_T1_jT2_SQ_T4_T3_P12ihipStream_tbEUlT_E_NS1_11comp_targetILNS1_3genE10ELNS1_11target_archE1201ELNS1_3gpuE5ELNS1_3repE0EEENS1_30default_config_static_selectorELNS0_4arch9wavefront6targetE0EEEvSP_.num_agpr, 0
	.set _ZN7rocprim17ROCPRIM_400000_NS6detail17trampoline_kernelINS0_14default_configENS1_32segmented_reduce_config_selectorIdEEZNS1_21segmented_reduce_implIS3_PKdPdPKldN6hipcub16HIPCUB_304000_NS6detail27convert_result_type_wrapperIS8_S9_N2at6native12_GLOBAL__N_19CustomMaxEEEEE10hipError_tPvRmT0_T1_jT2_SQ_T4_T3_P12ihipStream_tbEUlT_E_NS1_11comp_targetILNS1_3genE10ELNS1_11target_archE1201ELNS1_3gpuE5ELNS1_3repE0EEENS1_30default_config_static_selectorELNS0_4arch9wavefront6targetE0EEEvSP_.numbered_sgpr, 0
	.set _ZN7rocprim17ROCPRIM_400000_NS6detail17trampoline_kernelINS0_14default_configENS1_32segmented_reduce_config_selectorIdEEZNS1_21segmented_reduce_implIS3_PKdPdPKldN6hipcub16HIPCUB_304000_NS6detail27convert_result_type_wrapperIS8_S9_N2at6native12_GLOBAL__N_19CustomMaxEEEEE10hipError_tPvRmT0_T1_jT2_SQ_T4_T3_P12ihipStream_tbEUlT_E_NS1_11comp_targetILNS1_3genE10ELNS1_11target_archE1201ELNS1_3gpuE5ELNS1_3repE0EEENS1_30default_config_static_selectorELNS0_4arch9wavefront6targetE0EEEvSP_.num_named_barrier, 0
	.set _ZN7rocprim17ROCPRIM_400000_NS6detail17trampoline_kernelINS0_14default_configENS1_32segmented_reduce_config_selectorIdEEZNS1_21segmented_reduce_implIS3_PKdPdPKldN6hipcub16HIPCUB_304000_NS6detail27convert_result_type_wrapperIS8_S9_N2at6native12_GLOBAL__N_19CustomMaxEEEEE10hipError_tPvRmT0_T1_jT2_SQ_T4_T3_P12ihipStream_tbEUlT_E_NS1_11comp_targetILNS1_3genE10ELNS1_11target_archE1201ELNS1_3gpuE5ELNS1_3repE0EEENS1_30default_config_static_selectorELNS0_4arch9wavefront6targetE0EEEvSP_.private_seg_size, 0
	.set _ZN7rocprim17ROCPRIM_400000_NS6detail17trampoline_kernelINS0_14default_configENS1_32segmented_reduce_config_selectorIdEEZNS1_21segmented_reduce_implIS3_PKdPdPKldN6hipcub16HIPCUB_304000_NS6detail27convert_result_type_wrapperIS8_S9_N2at6native12_GLOBAL__N_19CustomMaxEEEEE10hipError_tPvRmT0_T1_jT2_SQ_T4_T3_P12ihipStream_tbEUlT_E_NS1_11comp_targetILNS1_3genE10ELNS1_11target_archE1201ELNS1_3gpuE5ELNS1_3repE0EEENS1_30default_config_static_selectorELNS0_4arch9wavefront6targetE0EEEvSP_.uses_vcc, 0
	.set _ZN7rocprim17ROCPRIM_400000_NS6detail17trampoline_kernelINS0_14default_configENS1_32segmented_reduce_config_selectorIdEEZNS1_21segmented_reduce_implIS3_PKdPdPKldN6hipcub16HIPCUB_304000_NS6detail27convert_result_type_wrapperIS8_S9_N2at6native12_GLOBAL__N_19CustomMaxEEEEE10hipError_tPvRmT0_T1_jT2_SQ_T4_T3_P12ihipStream_tbEUlT_E_NS1_11comp_targetILNS1_3genE10ELNS1_11target_archE1201ELNS1_3gpuE5ELNS1_3repE0EEENS1_30default_config_static_selectorELNS0_4arch9wavefront6targetE0EEEvSP_.uses_flat_scratch, 0
	.set _ZN7rocprim17ROCPRIM_400000_NS6detail17trampoline_kernelINS0_14default_configENS1_32segmented_reduce_config_selectorIdEEZNS1_21segmented_reduce_implIS3_PKdPdPKldN6hipcub16HIPCUB_304000_NS6detail27convert_result_type_wrapperIS8_S9_N2at6native12_GLOBAL__N_19CustomMaxEEEEE10hipError_tPvRmT0_T1_jT2_SQ_T4_T3_P12ihipStream_tbEUlT_E_NS1_11comp_targetILNS1_3genE10ELNS1_11target_archE1201ELNS1_3gpuE5ELNS1_3repE0EEENS1_30default_config_static_selectorELNS0_4arch9wavefront6targetE0EEEvSP_.has_dyn_sized_stack, 0
	.set _ZN7rocprim17ROCPRIM_400000_NS6detail17trampoline_kernelINS0_14default_configENS1_32segmented_reduce_config_selectorIdEEZNS1_21segmented_reduce_implIS3_PKdPdPKldN6hipcub16HIPCUB_304000_NS6detail27convert_result_type_wrapperIS8_S9_N2at6native12_GLOBAL__N_19CustomMaxEEEEE10hipError_tPvRmT0_T1_jT2_SQ_T4_T3_P12ihipStream_tbEUlT_E_NS1_11comp_targetILNS1_3genE10ELNS1_11target_archE1201ELNS1_3gpuE5ELNS1_3repE0EEENS1_30default_config_static_selectorELNS0_4arch9wavefront6targetE0EEEvSP_.has_recursion, 0
	.set _ZN7rocprim17ROCPRIM_400000_NS6detail17trampoline_kernelINS0_14default_configENS1_32segmented_reduce_config_selectorIdEEZNS1_21segmented_reduce_implIS3_PKdPdPKldN6hipcub16HIPCUB_304000_NS6detail27convert_result_type_wrapperIS8_S9_N2at6native12_GLOBAL__N_19CustomMaxEEEEE10hipError_tPvRmT0_T1_jT2_SQ_T4_T3_P12ihipStream_tbEUlT_E_NS1_11comp_targetILNS1_3genE10ELNS1_11target_archE1201ELNS1_3gpuE5ELNS1_3repE0EEENS1_30default_config_static_selectorELNS0_4arch9wavefront6targetE0EEEvSP_.has_indirect_call, 0
	.section	.AMDGPU.csdata,"",@progbits
; Kernel info:
; codeLenInByte = 0
; TotalNumSgprs: 0
; NumVgprs: 0
; ScratchSize: 0
; MemoryBound: 0
; FloatMode: 240
; IeeeMode: 1
; LDSByteSize: 0 bytes/workgroup (compile time only)
; SGPRBlocks: 0
; VGPRBlocks: 0
; NumSGPRsForWavesPerEU: 1
; NumVGPRsForWavesPerEU: 1
; NamedBarCnt: 0
; Occupancy: 16
; WaveLimiterHint : 0
; COMPUTE_PGM_RSRC2:SCRATCH_EN: 0
; COMPUTE_PGM_RSRC2:USER_SGPR: 2
; COMPUTE_PGM_RSRC2:TRAP_HANDLER: 0
; COMPUTE_PGM_RSRC2:TGID_X_EN: 1
; COMPUTE_PGM_RSRC2:TGID_Y_EN: 0
; COMPUTE_PGM_RSRC2:TGID_Z_EN: 0
; COMPUTE_PGM_RSRC2:TIDIG_COMP_CNT: 0
	.section	.text._ZN7rocprim17ROCPRIM_400000_NS6detail17trampoline_kernelINS0_14default_configENS1_32segmented_reduce_config_selectorIdEEZNS1_21segmented_reduce_implIS3_PKdPdPKldN6hipcub16HIPCUB_304000_NS6detail27convert_result_type_wrapperIS8_S9_N2at6native12_GLOBAL__N_19CustomMaxEEEEE10hipError_tPvRmT0_T1_jT2_SQ_T4_T3_P12ihipStream_tbEUlT_E_NS1_11comp_targetILNS1_3genE4ELNS1_11target_archE910ELNS1_3gpuE8ELNS1_3repE0EEENS1_30default_config_static_selectorELNS0_4arch9wavefront6targetE0EEEvSP_,"axG",@progbits,_ZN7rocprim17ROCPRIM_400000_NS6detail17trampoline_kernelINS0_14default_configENS1_32segmented_reduce_config_selectorIdEEZNS1_21segmented_reduce_implIS3_PKdPdPKldN6hipcub16HIPCUB_304000_NS6detail27convert_result_type_wrapperIS8_S9_N2at6native12_GLOBAL__N_19CustomMaxEEEEE10hipError_tPvRmT0_T1_jT2_SQ_T4_T3_P12ihipStream_tbEUlT_E_NS1_11comp_targetILNS1_3genE4ELNS1_11target_archE910ELNS1_3gpuE8ELNS1_3repE0EEENS1_30default_config_static_selectorELNS0_4arch9wavefront6targetE0EEEvSP_,comdat
	.globl	_ZN7rocprim17ROCPRIM_400000_NS6detail17trampoline_kernelINS0_14default_configENS1_32segmented_reduce_config_selectorIdEEZNS1_21segmented_reduce_implIS3_PKdPdPKldN6hipcub16HIPCUB_304000_NS6detail27convert_result_type_wrapperIS8_S9_N2at6native12_GLOBAL__N_19CustomMaxEEEEE10hipError_tPvRmT0_T1_jT2_SQ_T4_T3_P12ihipStream_tbEUlT_E_NS1_11comp_targetILNS1_3genE4ELNS1_11target_archE910ELNS1_3gpuE8ELNS1_3repE0EEENS1_30default_config_static_selectorELNS0_4arch9wavefront6targetE0EEEvSP_ ; -- Begin function _ZN7rocprim17ROCPRIM_400000_NS6detail17trampoline_kernelINS0_14default_configENS1_32segmented_reduce_config_selectorIdEEZNS1_21segmented_reduce_implIS3_PKdPdPKldN6hipcub16HIPCUB_304000_NS6detail27convert_result_type_wrapperIS8_S9_N2at6native12_GLOBAL__N_19CustomMaxEEEEE10hipError_tPvRmT0_T1_jT2_SQ_T4_T3_P12ihipStream_tbEUlT_E_NS1_11comp_targetILNS1_3genE4ELNS1_11target_archE910ELNS1_3gpuE8ELNS1_3repE0EEENS1_30default_config_static_selectorELNS0_4arch9wavefront6targetE0EEEvSP_
	.p2align	8
	.type	_ZN7rocprim17ROCPRIM_400000_NS6detail17trampoline_kernelINS0_14default_configENS1_32segmented_reduce_config_selectorIdEEZNS1_21segmented_reduce_implIS3_PKdPdPKldN6hipcub16HIPCUB_304000_NS6detail27convert_result_type_wrapperIS8_S9_N2at6native12_GLOBAL__N_19CustomMaxEEEEE10hipError_tPvRmT0_T1_jT2_SQ_T4_T3_P12ihipStream_tbEUlT_E_NS1_11comp_targetILNS1_3genE4ELNS1_11target_archE910ELNS1_3gpuE8ELNS1_3repE0EEENS1_30default_config_static_selectorELNS0_4arch9wavefront6targetE0EEEvSP_,@function
_ZN7rocprim17ROCPRIM_400000_NS6detail17trampoline_kernelINS0_14default_configENS1_32segmented_reduce_config_selectorIdEEZNS1_21segmented_reduce_implIS3_PKdPdPKldN6hipcub16HIPCUB_304000_NS6detail27convert_result_type_wrapperIS8_S9_N2at6native12_GLOBAL__N_19CustomMaxEEEEE10hipError_tPvRmT0_T1_jT2_SQ_T4_T3_P12ihipStream_tbEUlT_E_NS1_11comp_targetILNS1_3genE4ELNS1_11target_archE910ELNS1_3gpuE8ELNS1_3repE0EEENS1_30default_config_static_selectorELNS0_4arch9wavefront6targetE0EEEvSP_: ; @_ZN7rocprim17ROCPRIM_400000_NS6detail17trampoline_kernelINS0_14default_configENS1_32segmented_reduce_config_selectorIdEEZNS1_21segmented_reduce_implIS3_PKdPdPKldN6hipcub16HIPCUB_304000_NS6detail27convert_result_type_wrapperIS8_S9_N2at6native12_GLOBAL__N_19CustomMaxEEEEE10hipError_tPvRmT0_T1_jT2_SQ_T4_T3_P12ihipStream_tbEUlT_E_NS1_11comp_targetILNS1_3genE4ELNS1_11target_archE910ELNS1_3gpuE8ELNS1_3repE0EEENS1_30default_config_static_selectorELNS0_4arch9wavefront6targetE0EEEvSP_
; %bb.0:
	.section	.rodata,"a",@progbits
	.p2align	6, 0x0
	.amdhsa_kernel _ZN7rocprim17ROCPRIM_400000_NS6detail17trampoline_kernelINS0_14default_configENS1_32segmented_reduce_config_selectorIdEEZNS1_21segmented_reduce_implIS3_PKdPdPKldN6hipcub16HIPCUB_304000_NS6detail27convert_result_type_wrapperIS8_S9_N2at6native12_GLOBAL__N_19CustomMaxEEEEE10hipError_tPvRmT0_T1_jT2_SQ_T4_T3_P12ihipStream_tbEUlT_E_NS1_11comp_targetILNS1_3genE4ELNS1_11target_archE910ELNS1_3gpuE8ELNS1_3repE0EEENS1_30default_config_static_selectorELNS0_4arch9wavefront6targetE0EEEvSP_
		.amdhsa_group_segment_fixed_size 0
		.amdhsa_private_segment_fixed_size 0
		.amdhsa_kernarg_size 56
		.amdhsa_user_sgpr_count 2
		.amdhsa_user_sgpr_dispatch_ptr 0
		.amdhsa_user_sgpr_queue_ptr 0
		.amdhsa_user_sgpr_kernarg_segment_ptr 1
		.amdhsa_user_sgpr_dispatch_id 0
		.amdhsa_user_sgpr_kernarg_preload_length 0
		.amdhsa_user_sgpr_kernarg_preload_offset 0
		.amdhsa_user_sgpr_private_segment_size 0
		.amdhsa_wavefront_size32 1
		.amdhsa_uses_dynamic_stack 0
		.amdhsa_enable_private_segment 0
		.amdhsa_system_sgpr_workgroup_id_x 1
		.amdhsa_system_sgpr_workgroup_id_y 0
		.amdhsa_system_sgpr_workgroup_id_z 0
		.amdhsa_system_sgpr_workgroup_info 0
		.amdhsa_system_vgpr_workitem_id 0
		.amdhsa_next_free_vgpr 1
		.amdhsa_next_free_sgpr 1
		.amdhsa_named_barrier_count 0
		.amdhsa_reserve_vcc 0
		.amdhsa_float_round_mode_32 0
		.amdhsa_float_round_mode_16_64 0
		.amdhsa_float_denorm_mode_32 3
		.amdhsa_float_denorm_mode_16_64 3
		.amdhsa_fp16_overflow 0
		.amdhsa_memory_ordered 1
		.amdhsa_forward_progress 1
		.amdhsa_inst_pref_size 0
		.amdhsa_round_robin_scheduling 0
		.amdhsa_exception_fp_ieee_invalid_op 0
		.amdhsa_exception_fp_denorm_src 0
		.amdhsa_exception_fp_ieee_div_zero 0
		.amdhsa_exception_fp_ieee_overflow 0
		.amdhsa_exception_fp_ieee_underflow 0
		.amdhsa_exception_fp_ieee_inexact 0
		.amdhsa_exception_int_div_zero 0
	.end_amdhsa_kernel
	.section	.text._ZN7rocprim17ROCPRIM_400000_NS6detail17trampoline_kernelINS0_14default_configENS1_32segmented_reduce_config_selectorIdEEZNS1_21segmented_reduce_implIS3_PKdPdPKldN6hipcub16HIPCUB_304000_NS6detail27convert_result_type_wrapperIS8_S9_N2at6native12_GLOBAL__N_19CustomMaxEEEEE10hipError_tPvRmT0_T1_jT2_SQ_T4_T3_P12ihipStream_tbEUlT_E_NS1_11comp_targetILNS1_3genE4ELNS1_11target_archE910ELNS1_3gpuE8ELNS1_3repE0EEENS1_30default_config_static_selectorELNS0_4arch9wavefront6targetE0EEEvSP_,"axG",@progbits,_ZN7rocprim17ROCPRIM_400000_NS6detail17trampoline_kernelINS0_14default_configENS1_32segmented_reduce_config_selectorIdEEZNS1_21segmented_reduce_implIS3_PKdPdPKldN6hipcub16HIPCUB_304000_NS6detail27convert_result_type_wrapperIS8_S9_N2at6native12_GLOBAL__N_19CustomMaxEEEEE10hipError_tPvRmT0_T1_jT2_SQ_T4_T3_P12ihipStream_tbEUlT_E_NS1_11comp_targetILNS1_3genE4ELNS1_11target_archE910ELNS1_3gpuE8ELNS1_3repE0EEENS1_30default_config_static_selectorELNS0_4arch9wavefront6targetE0EEEvSP_,comdat
.Lfunc_end148:
	.size	_ZN7rocprim17ROCPRIM_400000_NS6detail17trampoline_kernelINS0_14default_configENS1_32segmented_reduce_config_selectorIdEEZNS1_21segmented_reduce_implIS3_PKdPdPKldN6hipcub16HIPCUB_304000_NS6detail27convert_result_type_wrapperIS8_S9_N2at6native12_GLOBAL__N_19CustomMaxEEEEE10hipError_tPvRmT0_T1_jT2_SQ_T4_T3_P12ihipStream_tbEUlT_E_NS1_11comp_targetILNS1_3genE4ELNS1_11target_archE910ELNS1_3gpuE8ELNS1_3repE0EEENS1_30default_config_static_selectorELNS0_4arch9wavefront6targetE0EEEvSP_, .Lfunc_end148-_ZN7rocprim17ROCPRIM_400000_NS6detail17trampoline_kernelINS0_14default_configENS1_32segmented_reduce_config_selectorIdEEZNS1_21segmented_reduce_implIS3_PKdPdPKldN6hipcub16HIPCUB_304000_NS6detail27convert_result_type_wrapperIS8_S9_N2at6native12_GLOBAL__N_19CustomMaxEEEEE10hipError_tPvRmT0_T1_jT2_SQ_T4_T3_P12ihipStream_tbEUlT_E_NS1_11comp_targetILNS1_3genE4ELNS1_11target_archE910ELNS1_3gpuE8ELNS1_3repE0EEENS1_30default_config_static_selectorELNS0_4arch9wavefront6targetE0EEEvSP_
                                        ; -- End function
	.set _ZN7rocprim17ROCPRIM_400000_NS6detail17trampoline_kernelINS0_14default_configENS1_32segmented_reduce_config_selectorIdEEZNS1_21segmented_reduce_implIS3_PKdPdPKldN6hipcub16HIPCUB_304000_NS6detail27convert_result_type_wrapperIS8_S9_N2at6native12_GLOBAL__N_19CustomMaxEEEEE10hipError_tPvRmT0_T1_jT2_SQ_T4_T3_P12ihipStream_tbEUlT_E_NS1_11comp_targetILNS1_3genE4ELNS1_11target_archE910ELNS1_3gpuE8ELNS1_3repE0EEENS1_30default_config_static_selectorELNS0_4arch9wavefront6targetE0EEEvSP_.num_vgpr, 0
	.set _ZN7rocprim17ROCPRIM_400000_NS6detail17trampoline_kernelINS0_14default_configENS1_32segmented_reduce_config_selectorIdEEZNS1_21segmented_reduce_implIS3_PKdPdPKldN6hipcub16HIPCUB_304000_NS6detail27convert_result_type_wrapperIS8_S9_N2at6native12_GLOBAL__N_19CustomMaxEEEEE10hipError_tPvRmT0_T1_jT2_SQ_T4_T3_P12ihipStream_tbEUlT_E_NS1_11comp_targetILNS1_3genE4ELNS1_11target_archE910ELNS1_3gpuE8ELNS1_3repE0EEENS1_30default_config_static_selectorELNS0_4arch9wavefront6targetE0EEEvSP_.num_agpr, 0
	.set _ZN7rocprim17ROCPRIM_400000_NS6detail17trampoline_kernelINS0_14default_configENS1_32segmented_reduce_config_selectorIdEEZNS1_21segmented_reduce_implIS3_PKdPdPKldN6hipcub16HIPCUB_304000_NS6detail27convert_result_type_wrapperIS8_S9_N2at6native12_GLOBAL__N_19CustomMaxEEEEE10hipError_tPvRmT0_T1_jT2_SQ_T4_T3_P12ihipStream_tbEUlT_E_NS1_11comp_targetILNS1_3genE4ELNS1_11target_archE910ELNS1_3gpuE8ELNS1_3repE0EEENS1_30default_config_static_selectorELNS0_4arch9wavefront6targetE0EEEvSP_.numbered_sgpr, 0
	.set _ZN7rocprim17ROCPRIM_400000_NS6detail17trampoline_kernelINS0_14default_configENS1_32segmented_reduce_config_selectorIdEEZNS1_21segmented_reduce_implIS3_PKdPdPKldN6hipcub16HIPCUB_304000_NS6detail27convert_result_type_wrapperIS8_S9_N2at6native12_GLOBAL__N_19CustomMaxEEEEE10hipError_tPvRmT0_T1_jT2_SQ_T4_T3_P12ihipStream_tbEUlT_E_NS1_11comp_targetILNS1_3genE4ELNS1_11target_archE910ELNS1_3gpuE8ELNS1_3repE0EEENS1_30default_config_static_selectorELNS0_4arch9wavefront6targetE0EEEvSP_.num_named_barrier, 0
	.set _ZN7rocprim17ROCPRIM_400000_NS6detail17trampoline_kernelINS0_14default_configENS1_32segmented_reduce_config_selectorIdEEZNS1_21segmented_reduce_implIS3_PKdPdPKldN6hipcub16HIPCUB_304000_NS6detail27convert_result_type_wrapperIS8_S9_N2at6native12_GLOBAL__N_19CustomMaxEEEEE10hipError_tPvRmT0_T1_jT2_SQ_T4_T3_P12ihipStream_tbEUlT_E_NS1_11comp_targetILNS1_3genE4ELNS1_11target_archE910ELNS1_3gpuE8ELNS1_3repE0EEENS1_30default_config_static_selectorELNS0_4arch9wavefront6targetE0EEEvSP_.private_seg_size, 0
	.set _ZN7rocprim17ROCPRIM_400000_NS6detail17trampoline_kernelINS0_14default_configENS1_32segmented_reduce_config_selectorIdEEZNS1_21segmented_reduce_implIS3_PKdPdPKldN6hipcub16HIPCUB_304000_NS6detail27convert_result_type_wrapperIS8_S9_N2at6native12_GLOBAL__N_19CustomMaxEEEEE10hipError_tPvRmT0_T1_jT2_SQ_T4_T3_P12ihipStream_tbEUlT_E_NS1_11comp_targetILNS1_3genE4ELNS1_11target_archE910ELNS1_3gpuE8ELNS1_3repE0EEENS1_30default_config_static_selectorELNS0_4arch9wavefront6targetE0EEEvSP_.uses_vcc, 0
	.set _ZN7rocprim17ROCPRIM_400000_NS6detail17trampoline_kernelINS0_14default_configENS1_32segmented_reduce_config_selectorIdEEZNS1_21segmented_reduce_implIS3_PKdPdPKldN6hipcub16HIPCUB_304000_NS6detail27convert_result_type_wrapperIS8_S9_N2at6native12_GLOBAL__N_19CustomMaxEEEEE10hipError_tPvRmT0_T1_jT2_SQ_T4_T3_P12ihipStream_tbEUlT_E_NS1_11comp_targetILNS1_3genE4ELNS1_11target_archE910ELNS1_3gpuE8ELNS1_3repE0EEENS1_30default_config_static_selectorELNS0_4arch9wavefront6targetE0EEEvSP_.uses_flat_scratch, 0
	.set _ZN7rocprim17ROCPRIM_400000_NS6detail17trampoline_kernelINS0_14default_configENS1_32segmented_reduce_config_selectorIdEEZNS1_21segmented_reduce_implIS3_PKdPdPKldN6hipcub16HIPCUB_304000_NS6detail27convert_result_type_wrapperIS8_S9_N2at6native12_GLOBAL__N_19CustomMaxEEEEE10hipError_tPvRmT0_T1_jT2_SQ_T4_T3_P12ihipStream_tbEUlT_E_NS1_11comp_targetILNS1_3genE4ELNS1_11target_archE910ELNS1_3gpuE8ELNS1_3repE0EEENS1_30default_config_static_selectorELNS0_4arch9wavefront6targetE0EEEvSP_.has_dyn_sized_stack, 0
	.set _ZN7rocprim17ROCPRIM_400000_NS6detail17trampoline_kernelINS0_14default_configENS1_32segmented_reduce_config_selectorIdEEZNS1_21segmented_reduce_implIS3_PKdPdPKldN6hipcub16HIPCUB_304000_NS6detail27convert_result_type_wrapperIS8_S9_N2at6native12_GLOBAL__N_19CustomMaxEEEEE10hipError_tPvRmT0_T1_jT2_SQ_T4_T3_P12ihipStream_tbEUlT_E_NS1_11comp_targetILNS1_3genE4ELNS1_11target_archE910ELNS1_3gpuE8ELNS1_3repE0EEENS1_30default_config_static_selectorELNS0_4arch9wavefront6targetE0EEEvSP_.has_recursion, 0
	.set _ZN7rocprim17ROCPRIM_400000_NS6detail17trampoline_kernelINS0_14default_configENS1_32segmented_reduce_config_selectorIdEEZNS1_21segmented_reduce_implIS3_PKdPdPKldN6hipcub16HIPCUB_304000_NS6detail27convert_result_type_wrapperIS8_S9_N2at6native12_GLOBAL__N_19CustomMaxEEEEE10hipError_tPvRmT0_T1_jT2_SQ_T4_T3_P12ihipStream_tbEUlT_E_NS1_11comp_targetILNS1_3genE4ELNS1_11target_archE910ELNS1_3gpuE8ELNS1_3repE0EEENS1_30default_config_static_selectorELNS0_4arch9wavefront6targetE0EEEvSP_.has_indirect_call, 0
	.section	.AMDGPU.csdata,"",@progbits
; Kernel info:
; codeLenInByte = 0
; TotalNumSgprs: 0
; NumVgprs: 0
; ScratchSize: 0
; MemoryBound: 0
; FloatMode: 240
; IeeeMode: 1
; LDSByteSize: 0 bytes/workgroup (compile time only)
; SGPRBlocks: 0
; VGPRBlocks: 0
; NumSGPRsForWavesPerEU: 1
; NumVGPRsForWavesPerEU: 1
; NamedBarCnt: 0
; Occupancy: 16
; WaveLimiterHint : 0
; COMPUTE_PGM_RSRC2:SCRATCH_EN: 0
; COMPUTE_PGM_RSRC2:USER_SGPR: 2
; COMPUTE_PGM_RSRC2:TRAP_HANDLER: 0
; COMPUTE_PGM_RSRC2:TGID_X_EN: 1
; COMPUTE_PGM_RSRC2:TGID_Y_EN: 0
; COMPUTE_PGM_RSRC2:TGID_Z_EN: 0
; COMPUTE_PGM_RSRC2:TIDIG_COMP_CNT: 0
	.section	.text._ZN7rocprim17ROCPRIM_400000_NS6detail17trampoline_kernelINS0_14default_configENS1_32segmented_reduce_config_selectorIdEEZNS1_21segmented_reduce_implIS3_PKdPdPKldN6hipcub16HIPCUB_304000_NS6detail27convert_result_type_wrapperIS8_S9_N2at6native12_GLOBAL__N_19CustomMaxEEEEE10hipError_tPvRmT0_T1_jT2_SQ_T4_T3_P12ihipStream_tbEUlT_E_NS1_11comp_targetILNS1_3genE3ELNS1_11target_archE908ELNS1_3gpuE7ELNS1_3repE0EEENS1_30default_config_static_selectorELNS0_4arch9wavefront6targetE0EEEvSP_,"axG",@progbits,_ZN7rocprim17ROCPRIM_400000_NS6detail17trampoline_kernelINS0_14default_configENS1_32segmented_reduce_config_selectorIdEEZNS1_21segmented_reduce_implIS3_PKdPdPKldN6hipcub16HIPCUB_304000_NS6detail27convert_result_type_wrapperIS8_S9_N2at6native12_GLOBAL__N_19CustomMaxEEEEE10hipError_tPvRmT0_T1_jT2_SQ_T4_T3_P12ihipStream_tbEUlT_E_NS1_11comp_targetILNS1_3genE3ELNS1_11target_archE908ELNS1_3gpuE7ELNS1_3repE0EEENS1_30default_config_static_selectorELNS0_4arch9wavefront6targetE0EEEvSP_,comdat
	.globl	_ZN7rocprim17ROCPRIM_400000_NS6detail17trampoline_kernelINS0_14default_configENS1_32segmented_reduce_config_selectorIdEEZNS1_21segmented_reduce_implIS3_PKdPdPKldN6hipcub16HIPCUB_304000_NS6detail27convert_result_type_wrapperIS8_S9_N2at6native12_GLOBAL__N_19CustomMaxEEEEE10hipError_tPvRmT0_T1_jT2_SQ_T4_T3_P12ihipStream_tbEUlT_E_NS1_11comp_targetILNS1_3genE3ELNS1_11target_archE908ELNS1_3gpuE7ELNS1_3repE0EEENS1_30default_config_static_selectorELNS0_4arch9wavefront6targetE0EEEvSP_ ; -- Begin function _ZN7rocprim17ROCPRIM_400000_NS6detail17trampoline_kernelINS0_14default_configENS1_32segmented_reduce_config_selectorIdEEZNS1_21segmented_reduce_implIS3_PKdPdPKldN6hipcub16HIPCUB_304000_NS6detail27convert_result_type_wrapperIS8_S9_N2at6native12_GLOBAL__N_19CustomMaxEEEEE10hipError_tPvRmT0_T1_jT2_SQ_T4_T3_P12ihipStream_tbEUlT_E_NS1_11comp_targetILNS1_3genE3ELNS1_11target_archE908ELNS1_3gpuE7ELNS1_3repE0EEENS1_30default_config_static_selectorELNS0_4arch9wavefront6targetE0EEEvSP_
	.p2align	8
	.type	_ZN7rocprim17ROCPRIM_400000_NS6detail17trampoline_kernelINS0_14default_configENS1_32segmented_reduce_config_selectorIdEEZNS1_21segmented_reduce_implIS3_PKdPdPKldN6hipcub16HIPCUB_304000_NS6detail27convert_result_type_wrapperIS8_S9_N2at6native12_GLOBAL__N_19CustomMaxEEEEE10hipError_tPvRmT0_T1_jT2_SQ_T4_T3_P12ihipStream_tbEUlT_E_NS1_11comp_targetILNS1_3genE3ELNS1_11target_archE908ELNS1_3gpuE7ELNS1_3repE0EEENS1_30default_config_static_selectorELNS0_4arch9wavefront6targetE0EEEvSP_,@function
_ZN7rocprim17ROCPRIM_400000_NS6detail17trampoline_kernelINS0_14default_configENS1_32segmented_reduce_config_selectorIdEEZNS1_21segmented_reduce_implIS3_PKdPdPKldN6hipcub16HIPCUB_304000_NS6detail27convert_result_type_wrapperIS8_S9_N2at6native12_GLOBAL__N_19CustomMaxEEEEE10hipError_tPvRmT0_T1_jT2_SQ_T4_T3_P12ihipStream_tbEUlT_E_NS1_11comp_targetILNS1_3genE3ELNS1_11target_archE908ELNS1_3gpuE7ELNS1_3repE0EEENS1_30default_config_static_selectorELNS0_4arch9wavefront6targetE0EEEvSP_: ; @_ZN7rocprim17ROCPRIM_400000_NS6detail17trampoline_kernelINS0_14default_configENS1_32segmented_reduce_config_selectorIdEEZNS1_21segmented_reduce_implIS3_PKdPdPKldN6hipcub16HIPCUB_304000_NS6detail27convert_result_type_wrapperIS8_S9_N2at6native12_GLOBAL__N_19CustomMaxEEEEE10hipError_tPvRmT0_T1_jT2_SQ_T4_T3_P12ihipStream_tbEUlT_E_NS1_11comp_targetILNS1_3genE3ELNS1_11target_archE908ELNS1_3gpuE7ELNS1_3repE0EEENS1_30default_config_static_selectorELNS0_4arch9wavefront6targetE0EEEvSP_
; %bb.0:
	.section	.rodata,"a",@progbits
	.p2align	6, 0x0
	.amdhsa_kernel _ZN7rocprim17ROCPRIM_400000_NS6detail17trampoline_kernelINS0_14default_configENS1_32segmented_reduce_config_selectorIdEEZNS1_21segmented_reduce_implIS3_PKdPdPKldN6hipcub16HIPCUB_304000_NS6detail27convert_result_type_wrapperIS8_S9_N2at6native12_GLOBAL__N_19CustomMaxEEEEE10hipError_tPvRmT0_T1_jT2_SQ_T4_T3_P12ihipStream_tbEUlT_E_NS1_11comp_targetILNS1_3genE3ELNS1_11target_archE908ELNS1_3gpuE7ELNS1_3repE0EEENS1_30default_config_static_selectorELNS0_4arch9wavefront6targetE0EEEvSP_
		.amdhsa_group_segment_fixed_size 0
		.amdhsa_private_segment_fixed_size 0
		.amdhsa_kernarg_size 56
		.amdhsa_user_sgpr_count 2
		.amdhsa_user_sgpr_dispatch_ptr 0
		.amdhsa_user_sgpr_queue_ptr 0
		.amdhsa_user_sgpr_kernarg_segment_ptr 1
		.amdhsa_user_sgpr_dispatch_id 0
		.amdhsa_user_sgpr_kernarg_preload_length 0
		.amdhsa_user_sgpr_kernarg_preload_offset 0
		.amdhsa_user_sgpr_private_segment_size 0
		.amdhsa_wavefront_size32 1
		.amdhsa_uses_dynamic_stack 0
		.amdhsa_enable_private_segment 0
		.amdhsa_system_sgpr_workgroup_id_x 1
		.amdhsa_system_sgpr_workgroup_id_y 0
		.amdhsa_system_sgpr_workgroup_id_z 0
		.amdhsa_system_sgpr_workgroup_info 0
		.amdhsa_system_vgpr_workitem_id 0
		.amdhsa_next_free_vgpr 1
		.amdhsa_next_free_sgpr 1
		.amdhsa_named_barrier_count 0
		.amdhsa_reserve_vcc 0
		.amdhsa_float_round_mode_32 0
		.amdhsa_float_round_mode_16_64 0
		.amdhsa_float_denorm_mode_32 3
		.amdhsa_float_denorm_mode_16_64 3
		.amdhsa_fp16_overflow 0
		.amdhsa_memory_ordered 1
		.amdhsa_forward_progress 1
		.amdhsa_inst_pref_size 0
		.amdhsa_round_robin_scheduling 0
		.amdhsa_exception_fp_ieee_invalid_op 0
		.amdhsa_exception_fp_denorm_src 0
		.amdhsa_exception_fp_ieee_div_zero 0
		.amdhsa_exception_fp_ieee_overflow 0
		.amdhsa_exception_fp_ieee_underflow 0
		.amdhsa_exception_fp_ieee_inexact 0
		.amdhsa_exception_int_div_zero 0
	.end_amdhsa_kernel
	.section	.text._ZN7rocprim17ROCPRIM_400000_NS6detail17trampoline_kernelINS0_14default_configENS1_32segmented_reduce_config_selectorIdEEZNS1_21segmented_reduce_implIS3_PKdPdPKldN6hipcub16HIPCUB_304000_NS6detail27convert_result_type_wrapperIS8_S9_N2at6native12_GLOBAL__N_19CustomMaxEEEEE10hipError_tPvRmT0_T1_jT2_SQ_T4_T3_P12ihipStream_tbEUlT_E_NS1_11comp_targetILNS1_3genE3ELNS1_11target_archE908ELNS1_3gpuE7ELNS1_3repE0EEENS1_30default_config_static_selectorELNS0_4arch9wavefront6targetE0EEEvSP_,"axG",@progbits,_ZN7rocprim17ROCPRIM_400000_NS6detail17trampoline_kernelINS0_14default_configENS1_32segmented_reduce_config_selectorIdEEZNS1_21segmented_reduce_implIS3_PKdPdPKldN6hipcub16HIPCUB_304000_NS6detail27convert_result_type_wrapperIS8_S9_N2at6native12_GLOBAL__N_19CustomMaxEEEEE10hipError_tPvRmT0_T1_jT2_SQ_T4_T3_P12ihipStream_tbEUlT_E_NS1_11comp_targetILNS1_3genE3ELNS1_11target_archE908ELNS1_3gpuE7ELNS1_3repE0EEENS1_30default_config_static_selectorELNS0_4arch9wavefront6targetE0EEEvSP_,comdat
.Lfunc_end149:
	.size	_ZN7rocprim17ROCPRIM_400000_NS6detail17trampoline_kernelINS0_14default_configENS1_32segmented_reduce_config_selectorIdEEZNS1_21segmented_reduce_implIS3_PKdPdPKldN6hipcub16HIPCUB_304000_NS6detail27convert_result_type_wrapperIS8_S9_N2at6native12_GLOBAL__N_19CustomMaxEEEEE10hipError_tPvRmT0_T1_jT2_SQ_T4_T3_P12ihipStream_tbEUlT_E_NS1_11comp_targetILNS1_3genE3ELNS1_11target_archE908ELNS1_3gpuE7ELNS1_3repE0EEENS1_30default_config_static_selectorELNS0_4arch9wavefront6targetE0EEEvSP_, .Lfunc_end149-_ZN7rocprim17ROCPRIM_400000_NS6detail17trampoline_kernelINS0_14default_configENS1_32segmented_reduce_config_selectorIdEEZNS1_21segmented_reduce_implIS3_PKdPdPKldN6hipcub16HIPCUB_304000_NS6detail27convert_result_type_wrapperIS8_S9_N2at6native12_GLOBAL__N_19CustomMaxEEEEE10hipError_tPvRmT0_T1_jT2_SQ_T4_T3_P12ihipStream_tbEUlT_E_NS1_11comp_targetILNS1_3genE3ELNS1_11target_archE908ELNS1_3gpuE7ELNS1_3repE0EEENS1_30default_config_static_selectorELNS0_4arch9wavefront6targetE0EEEvSP_
                                        ; -- End function
	.set _ZN7rocprim17ROCPRIM_400000_NS6detail17trampoline_kernelINS0_14default_configENS1_32segmented_reduce_config_selectorIdEEZNS1_21segmented_reduce_implIS3_PKdPdPKldN6hipcub16HIPCUB_304000_NS6detail27convert_result_type_wrapperIS8_S9_N2at6native12_GLOBAL__N_19CustomMaxEEEEE10hipError_tPvRmT0_T1_jT2_SQ_T4_T3_P12ihipStream_tbEUlT_E_NS1_11comp_targetILNS1_3genE3ELNS1_11target_archE908ELNS1_3gpuE7ELNS1_3repE0EEENS1_30default_config_static_selectorELNS0_4arch9wavefront6targetE0EEEvSP_.num_vgpr, 0
	.set _ZN7rocprim17ROCPRIM_400000_NS6detail17trampoline_kernelINS0_14default_configENS1_32segmented_reduce_config_selectorIdEEZNS1_21segmented_reduce_implIS3_PKdPdPKldN6hipcub16HIPCUB_304000_NS6detail27convert_result_type_wrapperIS8_S9_N2at6native12_GLOBAL__N_19CustomMaxEEEEE10hipError_tPvRmT0_T1_jT2_SQ_T4_T3_P12ihipStream_tbEUlT_E_NS1_11comp_targetILNS1_3genE3ELNS1_11target_archE908ELNS1_3gpuE7ELNS1_3repE0EEENS1_30default_config_static_selectorELNS0_4arch9wavefront6targetE0EEEvSP_.num_agpr, 0
	.set _ZN7rocprim17ROCPRIM_400000_NS6detail17trampoline_kernelINS0_14default_configENS1_32segmented_reduce_config_selectorIdEEZNS1_21segmented_reduce_implIS3_PKdPdPKldN6hipcub16HIPCUB_304000_NS6detail27convert_result_type_wrapperIS8_S9_N2at6native12_GLOBAL__N_19CustomMaxEEEEE10hipError_tPvRmT0_T1_jT2_SQ_T4_T3_P12ihipStream_tbEUlT_E_NS1_11comp_targetILNS1_3genE3ELNS1_11target_archE908ELNS1_3gpuE7ELNS1_3repE0EEENS1_30default_config_static_selectorELNS0_4arch9wavefront6targetE0EEEvSP_.numbered_sgpr, 0
	.set _ZN7rocprim17ROCPRIM_400000_NS6detail17trampoline_kernelINS0_14default_configENS1_32segmented_reduce_config_selectorIdEEZNS1_21segmented_reduce_implIS3_PKdPdPKldN6hipcub16HIPCUB_304000_NS6detail27convert_result_type_wrapperIS8_S9_N2at6native12_GLOBAL__N_19CustomMaxEEEEE10hipError_tPvRmT0_T1_jT2_SQ_T4_T3_P12ihipStream_tbEUlT_E_NS1_11comp_targetILNS1_3genE3ELNS1_11target_archE908ELNS1_3gpuE7ELNS1_3repE0EEENS1_30default_config_static_selectorELNS0_4arch9wavefront6targetE0EEEvSP_.num_named_barrier, 0
	.set _ZN7rocprim17ROCPRIM_400000_NS6detail17trampoline_kernelINS0_14default_configENS1_32segmented_reduce_config_selectorIdEEZNS1_21segmented_reduce_implIS3_PKdPdPKldN6hipcub16HIPCUB_304000_NS6detail27convert_result_type_wrapperIS8_S9_N2at6native12_GLOBAL__N_19CustomMaxEEEEE10hipError_tPvRmT0_T1_jT2_SQ_T4_T3_P12ihipStream_tbEUlT_E_NS1_11comp_targetILNS1_3genE3ELNS1_11target_archE908ELNS1_3gpuE7ELNS1_3repE0EEENS1_30default_config_static_selectorELNS0_4arch9wavefront6targetE0EEEvSP_.private_seg_size, 0
	.set _ZN7rocprim17ROCPRIM_400000_NS6detail17trampoline_kernelINS0_14default_configENS1_32segmented_reduce_config_selectorIdEEZNS1_21segmented_reduce_implIS3_PKdPdPKldN6hipcub16HIPCUB_304000_NS6detail27convert_result_type_wrapperIS8_S9_N2at6native12_GLOBAL__N_19CustomMaxEEEEE10hipError_tPvRmT0_T1_jT2_SQ_T4_T3_P12ihipStream_tbEUlT_E_NS1_11comp_targetILNS1_3genE3ELNS1_11target_archE908ELNS1_3gpuE7ELNS1_3repE0EEENS1_30default_config_static_selectorELNS0_4arch9wavefront6targetE0EEEvSP_.uses_vcc, 0
	.set _ZN7rocprim17ROCPRIM_400000_NS6detail17trampoline_kernelINS0_14default_configENS1_32segmented_reduce_config_selectorIdEEZNS1_21segmented_reduce_implIS3_PKdPdPKldN6hipcub16HIPCUB_304000_NS6detail27convert_result_type_wrapperIS8_S9_N2at6native12_GLOBAL__N_19CustomMaxEEEEE10hipError_tPvRmT0_T1_jT2_SQ_T4_T3_P12ihipStream_tbEUlT_E_NS1_11comp_targetILNS1_3genE3ELNS1_11target_archE908ELNS1_3gpuE7ELNS1_3repE0EEENS1_30default_config_static_selectorELNS0_4arch9wavefront6targetE0EEEvSP_.uses_flat_scratch, 0
	.set _ZN7rocprim17ROCPRIM_400000_NS6detail17trampoline_kernelINS0_14default_configENS1_32segmented_reduce_config_selectorIdEEZNS1_21segmented_reduce_implIS3_PKdPdPKldN6hipcub16HIPCUB_304000_NS6detail27convert_result_type_wrapperIS8_S9_N2at6native12_GLOBAL__N_19CustomMaxEEEEE10hipError_tPvRmT0_T1_jT2_SQ_T4_T3_P12ihipStream_tbEUlT_E_NS1_11comp_targetILNS1_3genE3ELNS1_11target_archE908ELNS1_3gpuE7ELNS1_3repE0EEENS1_30default_config_static_selectorELNS0_4arch9wavefront6targetE0EEEvSP_.has_dyn_sized_stack, 0
	.set _ZN7rocprim17ROCPRIM_400000_NS6detail17trampoline_kernelINS0_14default_configENS1_32segmented_reduce_config_selectorIdEEZNS1_21segmented_reduce_implIS3_PKdPdPKldN6hipcub16HIPCUB_304000_NS6detail27convert_result_type_wrapperIS8_S9_N2at6native12_GLOBAL__N_19CustomMaxEEEEE10hipError_tPvRmT0_T1_jT2_SQ_T4_T3_P12ihipStream_tbEUlT_E_NS1_11comp_targetILNS1_3genE3ELNS1_11target_archE908ELNS1_3gpuE7ELNS1_3repE0EEENS1_30default_config_static_selectorELNS0_4arch9wavefront6targetE0EEEvSP_.has_recursion, 0
	.set _ZN7rocprim17ROCPRIM_400000_NS6detail17trampoline_kernelINS0_14default_configENS1_32segmented_reduce_config_selectorIdEEZNS1_21segmented_reduce_implIS3_PKdPdPKldN6hipcub16HIPCUB_304000_NS6detail27convert_result_type_wrapperIS8_S9_N2at6native12_GLOBAL__N_19CustomMaxEEEEE10hipError_tPvRmT0_T1_jT2_SQ_T4_T3_P12ihipStream_tbEUlT_E_NS1_11comp_targetILNS1_3genE3ELNS1_11target_archE908ELNS1_3gpuE7ELNS1_3repE0EEENS1_30default_config_static_selectorELNS0_4arch9wavefront6targetE0EEEvSP_.has_indirect_call, 0
	.section	.AMDGPU.csdata,"",@progbits
; Kernel info:
; codeLenInByte = 0
; TotalNumSgprs: 0
; NumVgprs: 0
; ScratchSize: 0
; MemoryBound: 0
; FloatMode: 240
; IeeeMode: 1
; LDSByteSize: 0 bytes/workgroup (compile time only)
; SGPRBlocks: 0
; VGPRBlocks: 0
; NumSGPRsForWavesPerEU: 1
; NumVGPRsForWavesPerEU: 1
; NamedBarCnt: 0
; Occupancy: 16
; WaveLimiterHint : 0
; COMPUTE_PGM_RSRC2:SCRATCH_EN: 0
; COMPUTE_PGM_RSRC2:USER_SGPR: 2
; COMPUTE_PGM_RSRC2:TRAP_HANDLER: 0
; COMPUTE_PGM_RSRC2:TGID_X_EN: 1
; COMPUTE_PGM_RSRC2:TGID_Y_EN: 0
; COMPUTE_PGM_RSRC2:TGID_Z_EN: 0
; COMPUTE_PGM_RSRC2:TIDIG_COMP_CNT: 0
	.section	.text._ZN7rocprim17ROCPRIM_400000_NS6detail17trampoline_kernelINS0_14default_configENS1_32segmented_reduce_config_selectorIdEEZNS1_21segmented_reduce_implIS3_PKdPdPKldN6hipcub16HIPCUB_304000_NS6detail27convert_result_type_wrapperIS8_S9_N2at6native12_GLOBAL__N_19CustomMaxEEEEE10hipError_tPvRmT0_T1_jT2_SQ_T4_T3_P12ihipStream_tbEUlT_E_NS1_11comp_targetILNS1_3genE2ELNS1_11target_archE906ELNS1_3gpuE6ELNS1_3repE0EEENS1_30default_config_static_selectorELNS0_4arch9wavefront6targetE0EEEvSP_,"axG",@progbits,_ZN7rocprim17ROCPRIM_400000_NS6detail17trampoline_kernelINS0_14default_configENS1_32segmented_reduce_config_selectorIdEEZNS1_21segmented_reduce_implIS3_PKdPdPKldN6hipcub16HIPCUB_304000_NS6detail27convert_result_type_wrapperIS8_S9_N2at6native12_GLOBAL__N_19CustomMaxEEEEE10hipError_tPvRmT0_T1_jT2_SQ_T4_T3_P12ihipStream_tbEUlT_E_NS1_11comp_targetILNS1_3genE2ELNS1_11target_archE906ELNS1_3gpuE6ELNS1_3repE0EEENS1_30default_config_static_selectorELNS0_4arch9wavefront6targetE0EEEvSP_,comdat
	.globl	_ZN7rocprim17ROCPRIM_400000_NS6detail17trampoline_kernelINS0_14default_configENS1_32segmented_reduce_config_selectorIdEEZNS1_21segmented_reduce_implIS3_PKdPdPKldN6hipcub16HIPCUB_304000_NS6detail27convert_result_type_wrapperIS8_S9_N2at6native12_GLOBAL__N_19CustomMaxEEEEE10hipError_tPvRmT0_T1_jT2_SQ_T4_T3_P12ihipStream_tbEUlT_E_NS1_11comp_targetILNS1_3genE2ELNS1_11target_archE906ELNS1_3gpuE6ELNS1_3repE0EEENS1_30default_config_static_selectorELNS0_4arch9wavefront6targetE0EEEvSP_ ; -- Begin function _ZN7rocprim17ROCPRIM_400000_NS6detail17trampoline_kernelINS0_14default_configENS1_32segmented_reduce_config_selectorIdEEZNS1_21segmented_reduce_implIS3_PKdPdPKldN6hipcub16HIPCUB_304000_NS6detail27convert_result_type_wrapperIS8_S9_N2at6native12_GLOBAL__N_19CustomMaxEEEEE10hipError_tPvRmT0_T1_jT2_SQ_T4_T3_P12ihipStream_tbEUlT_E_NS1_11comp_targetILNS1_3genE2ELNS1_11target_archE906ELNS1_3gpuE6ELNS1_3repE0EEENS1_30default_config_static_selectorELNS0_4arch9wavefront6targetE0EEEvSP_
	.p2align	8
	.type	_ZN7rocprim17ROCPRIM_400000_NS6detail17trampoline_kernelINS0_14default_configENS1_32segmented_reduce_config_selectorIdEEZNS1_21segmented_reduce_implIS3_PKdPdPKldN6hipcub16HIPCUB_304000_NS6detail27convert_result_type_wrapperIS8_S9_N2at6native12_GLOBAL__N_19CustomMaxEEEEE10hipError_tPvRmT0_T1_jT2_SQ_T4_T3_P12ihipStream_tbEUlT_E_NS1_11comp_targetILNS1_3genE2ELNS1_11target_archE906ELNS1_3gpuE6ELNS1_3repE0EEENS1_30default_config_static_selectorELNS0_4arch9wavefront6targetE0EEEvSP_,@function
_ZN7rocprim17ROCPRIM_400000_NS6detail17trampoline_kernelINS0_14default_configENS1_32segmented_reduce_config_selectorIdEEZNS1_21segmented_reduce_implIS3_PKdPdPKldN6hipcub16HIPCUB_304000_NS6detail27convert_result_type_wrapperIS8_S9_N2at6native12_GLOBAL__N_19CustomMaxEEEEE10hipError_tPvRmT0_T1_jT2_SQ_T4_T3_P12ihipStream_tbEUlT_E_NS1_11comp_targetILNS1_3genE2ELNS1_11target_archE906ELNS1_3gpuE6ELNS1_3repE0EEENS1_30default_config_static_selectorELNS0_4arch9wavefront6targetE0EEEvSP_: ; @_ZN7rocprim17ROCPRIM_400000_NS6detail17trampoline_kernelINS0_14default_configENS1_32segmented_reduce_config_selectorIdEEZNS1_21segmented_reduce_implIS3_PKdPdPKldN6hipcub16HIPCUB_304000_NS6detail27convert_result_type_wrapperIS8_S9_N2at6native12_GLOBAL__N_19CustomMaxEEEEE10hipError_tPvRmT0_T1_jT2_SQ_T4_T3_P12ihipStream_tbEUlT_E_NS1_11comp_targetILNS1_3genE2ELNS1_11target_archE906ELNS1_3gpuE6ELNS1_3repE0EEENS1_30default_config_static_selectorELNS0_4arch9wavefront6targetE0EEEvSP_
; %bb.0:
	.section	.rodata,"a",@progbits
	.p2align	6, 0x0
	.amdhsa_kernel _ZN7rocprim17ROCPRIM_400000_NS6detail17trampoline_kernelINS0_14default_configENS1_32segmented_reduce_config_selectorIdEEZNS1_21segmented_reduce_implIS3_PKdPdPKldN6hipcub16HIPCUB_304000_NS6detail27convert_result_type_wrapperIS8_S9_N2at6native12_GLOBAL__N_19CustomMaxEEEEE10hipError_tPvRmT0_T1_jT2_SQ_T4_T3_P12ihipStream_tbEUlT_E_NS1_11comp_targetILNS1_3genE2ELNS1_11target_archE906ELNS1_3gpuE6ELNS1_3repE0EEENS1_30default_config_static_selectorELNS0_4arch9wavefront6targetE0EEEvSP_
		.amdhsa_group_segment_fixed_size 0
		.amdhsa_private_segment_fixed_size 0
		.amdhsa_kernarg_size 56
		.amdhsa_user_sgpr_count 2
		.amdhsa_user_sgpr_dispatch_ptr 0
		.amdhsa_user_sgpr_queue_ptr 0
		.amdhsa_user_sgpr_kernarg_segment_ptr 1
		.amdhsa_user_sgpr_dispatch_id 0
		.amdhsa_user_sgpr_kernarg_preload_length 0
		.amdhsa_user_sgpr_kernarg_preload_offset 0
		.amdhsa_user_sgpr_private_segment_size 0
		.amdhsa_wavefront_size32 1
		.amdhsa_uses_dynamic_stack 0
		.amdhsa_enable_private_segment 0
		.amdhsa_system_sgpr_workgroup_id_x 1
		.amdhsa_system_sgpr_workgroup_id_y 0
		.amdhsa_system_sgpr_workgroup_id_z 0
		.amdhsa_system_sgpr_workgroup_info 0
		.amdhsa_system_vgpr_workitem_id 0
		.amdhsa_next_free_vgpr 1
		.amdhsa_next_free_sgpr 1
		.amdhsa_named_barrier_count 0
		.amdhsa_reserve_vcc 0
		.amdhsa_float_round_mode_32 0
		.amdhsa_float_round_mode_16_64 0
		.amdhsa_float_denorm_mode_32 3
		.amdhsa_float_denorm_mode_16_64 3
		.amdhsa_fp16_overflow 0
		.amdhsa_memory_ordered 1
		.amdhsa_forward_progress 1
		.amdhsa_inst_pref_size 0
		.amdhsa_round_robin_scheduling 0
		.amdhsa_exception_fp_ieee_invalid_op 0
		.amdhsa_exception_fp_denorm_src 0
		.amdhsa_exception_fp_ieee_div_zero 0
		.amdhsa_exception_fp_ieee_overflow 0
		.amdhsa_exception_fp_ieee_underflow 0
		.amdhsa_exception_fp_ieee_inexact 0
		.amdhsa_exception_int_div_zero 0
	.end_amdhsa_kernel
	.section	.text._ZN7rocprim17ROCPRIM_400000_NS6detail17trampoline_kernelINS0_14default_configENS1_32segmented_reduce_config_selectorIdEEZNS1_21segmented_reduce_implIS3_PKdPdPKldN6hipcub16HIPCUB_304000_NS6detail27convert_result_type_wrapperIS8_S9_N2at6native12_GLOBAL__N_19CustomMaxEEEEE10hipError_tPvRmT0_T1_jT2_SQ_T4_T3_P12ihipStream_tbEUlT_E_NS1_11comp_targetILNS1_3genE2ELNS1_11target_archE906ELNS1_3gpuE6ELNS1_3repE0EEENS1_30default_config_static_selectorELNS0_4arch9wavefront6targetE0EEEvSP_,"axG",@progbits,_ZN7rocprim17ROCPRIM_400000_NS6detail17trampoline_kernelINS0_14default_configENS1_32segmented_reduce_config_selectorIdEEZNS1_21segmented_reduce_implIS3_PKdPdPKldN6hipcub16HIPCUB_304000_NS6detail27convert_result_type_wrapperIS8_S9_N2at6native12_GLOBAL__N_19CustomMaxEEEEE10hipError_tPvRmT0_T1_jT2_SQ_T4_T3_P12ihipStream_tbEUlT_E_NS1_11comp_targetILNS1_3genE2ELNS1_11target_archE906ELNS1_3gpuE6ELNS1_3repE0EEENS1_30default_config_static_selectorELNS0_4arch9wavefront6targetE0EEEvSP_,comdat
.Lfunc_end150:
	.size	_ZN7rocprim17ROCPRIM_400000_NS6detail17trampoline_kernelINS0_14default_configENS1_32segmented_reduce_config_selectorIdEEZNS1_21segmented_reduce_implIS3_PKdPdPKldN6hipcub16HIPCUB_304000_NS6detail27convert_result_type_wrapperIS8_S9_N2at6native12_GLOBAL__N_19CustomMaxEEEEE10hipError_tPvRmT0_T1_jT2_SQ_T4_T3_P12ihipStream_tbEUlT_E_NS1_11comp_targetILNS1_3genE2ELNS1_11target_archE906ELNS1_3gpuE6ELNS1_3repE0EEENS1_30default_config_static_selectorELNS0_4arch9wavefront6targetE0EEEvSP_, .Lfunc_end150-_ZN7rocprim17ROCPRIM_400000_NS6detail17trampoline_kernelINS0_14default_configENS1_32segmented_reduce_config_selectorIdEEZNS1_21segmented_reduce_implIS3_PKdPdPKldN6hipcub16HIPCUB_304000_NS6detail27convert_result_type_wrapperIS8_S9_N2at6native12_GLOBAL__N_19CustomMaxEEEEE10hipError_tPvRmT0_T1_jT2_SQ_T4_T3_P12ihipStream_tbEUlT_E_NS1_11comp_targetILNS1_3genE2ELNS1_11target_archE906ELNS1_3gpuE6ELNS1_3repE0EEENS1_30default_config_static_selectorELNS0_4arch9wavefront6targetE0EEEvSP_
                                        ; -- End function
	.set _ZN7rocprim17ROCPRIM_400000_NS6detail17trampoline_kernelINS0_14default_configENS1_32segmented_reduce_config_selectorIdEEZNS1_21segmented_reduce_implIS3_PKdPdPKldN6hipcub16HIPCUB_304000_NS6detail27convert_result_type_wrapperIS8_S9_N2at6native12_GLOBAL__N_19CustomMaxEEEEE10hipError_tPvRmT0_T1_jT2_SQ_T4_T3_P12ihipStream_tbEUlT_E_NS1_11comp_targetILNS1_3genE2ELNS1_11target_archE906ELNS1_3gpuE6ELNS1_3repE0EEENS1_30default_config_static_selectorELNS0_4arch9wavefront6targetE0EEEvSP_.num_vgpr, 0
	.set _ZN7rocprim17ROCPRIM_400000_NS6detail17trampoline_kernelINS0_14default_configENS1_32segmented_reduce_config_selectorIdEEZNS1_21segmented_reduce_implIS3_PKdPdPKldN6hipcub16HIPCUB_304000_NS6detail27convert_result_type_wrapperIS8_S9_N2at6native12_GLOBAL__N_19CustomMaxEEEEE10hipError_tPvRmT0_T1_jT2_SQ_T4_T3_P12ihipStream_tbEUlT_E_NS1_11comp_targetILNS1_3genE2ELNS1_11target_archE906ELNS1_3gpuE6ELNS1_3repE0EEENS1_30default_config_static_selectorELNS0_4arch9wavefront6targetE0EEEvSP_.num_agpr, 0
	.set _ZN7rocprim17ROCPRIM_400000_NS6detail17trampoline_kernelINS0_14default_configENS1_32segmented_reduce_config_selectorIdEEZNS1_21segmented_reduce_implIS3_PKdPdPKldN6hipcub16HIPCUB_304000_NS6detail27convert_result_type_wrapperIS8_S9_N2at6native12_GLOBAL__N_19CustomMaxEEEEE10hipError_tPvRmT0_T1_jT2_SQ_T4_T3_P12ihipStream_tbEUlT_E_NS1_11comp_targetILNS1_3genE2ELNS1_11target_archE906ELNS1_3gpuE6ELNS1_3repE0EEENS1_30default_config_static_selectorELNS0_4arch9wavefront6targetE0EEEvSP_.numbered_sgpr, 0
	.set _ZN7rocprim17ROCPRIM_400000_NS6detail17trampoline_kernelINS0_14default_configENS1_32segmented_reduce_config_selectorIdEEZNS1_21segmented_reduce_implIS3_PKdPdPKldN6hipcub16HIPCUB_304000_NS6detail27convert_result_type_wrapperIS8_S9_N2at6native12_GLOBAL__N_19CustomMaxEEEEE10hipError_tPvRmT0_T1_jT2_SQ_T4_T3_P12ihipStream_tbEUlT_E_NS1_11comp_targetILNS1_3genE2ELNS1_11target_archE906ELNS1_3gpuE6ELNS1_3repE0EEENS1_30default_config_static_selectorELNS0_4arch9wavefront6targetE0EEEvSP_.num_named_barrier, 0
	.set _ZN7rocprim17ROCPRIM_400000_NS6detail17trampoline_kernelINS0_14default_configENS1_32segmented_reduce_config_selectorIdEEZNS1_21segmented_reduce_implIS3_PKdPdPKldN6hipcub16HIPCUB_304000_NS6detail27convert_result_type_wrapperIS8_S9_N2at6native12_GLOBAL__N_19CustomMaxEEEEE10hipError_tPvRmT0_T1_jT2_SQ_T4_T3_P12ihipStream_tbEUlT_E_NS1_11comp_targetILNS1_3genE2ELNS1_11target_archE906ELNS1_3gpuE6ELNS1_3repE0EEENS1_30default_config_static_selectorELNS0_4arch9wavefront6targetE0EEEvSP_.private_seg_size, 0
	.set _ZN7rocprim17ROCPRIM_400000_NS6detail17trampoline_kernelINS0_14default_configENS1_32segmented_reduce_config_selectorIdEEZNS1_21segmented_reduce_implIS3_PKdPdPKldN6hipcub16HIPCUB_304000_NS6detail27convert_result_type_wrapperIS8_S9_N2at6native12_GLOBAL__N_19CustomMaxEEEEE10hipError_tPvRmT0_T1_jT2_SQ_T4_T3_P12ihipStream_tbEUlT_E_NS1_11comp_targetILNS1_3genE2ELNS1_11target_archE906ELNS1_3gpuE6ELNS1_3repE0EEENS1_30default_config_static_selectorELNS0_4arch9wavefront6targetE0EEEvSP_.uses_vcc, 0
	.set _ZN7rocprim17ROCPRIM_400000_NS6detail17trampoline_kernelINS0_14default_configENS1_32segmented_reduce_config_selectorIdEEZNS1_21segmented_reduce_implIS3_PKdPdPKldN6hipcub16HIPCUB_304000_NS6detail27convert_result_type_wrapperIS8_S9_N2at6native12_GLOBAL__N_19CustomMaxEEEEE10hipError_tPvRmT0_T1_jT2_SQ_T4_T3_P12ihipStream_tbEUlT_E_NS1_11comp_targetILNS1_3genE2ELNS1_11target_archE906ELNS1_3gpuE6ELNS1_3repE0EEENS1_30default_config_static_selectorELNS0_4arch9wavefront6targetE0EEEvSP_.uses_flat_scratch, 0
	.set _ZN7rocprim17ROCPRIM_400000_NS6detail17trampoline_kernelINS0_14default_configENS1_32segmented_reduce_config_selectorIdEEZNS1_21segmented_reduce_implIS3_PKdPdPKldN6hipcub16HIPCUB_304000_NS6detail27convert_result_type_wrapperIS8_S9_N2at6native12_GLOBAL__N_19CustomMaxEEEEE10hipError_tPvRmT0_T1_jT2_SQ_T4_T3_P12ihipStream_tbEUlT_E_NS1_11comp_targetILNS1_3genE2ELNS1_11target_archE906ELNS1_3gpuE6ELNS1_3repE0EEENS1_30default_config_static_selectorELNS0_4arch9wavefront6targetE0EEEvSP_.has_dyn_sized_stack, 0
	.set _ZN7rocprim17ROCPRIM_400000_NS6detail17trampoline_kernelINS0_14default_configENS1_32segmented_reduce_config_selectorIdEEZNS1_21segmented_reduce_implIS3_PKdPdPKldN6hipcub16HIPCUB_304000_NS6detail27convert_result_type_wrapperIS8_S9_N2at6native12_GLOBAL__N_19CustomMaxEEEEE10hipError_tPvRmT0_T1_jT2_SQ_T4_T3_P12ihipStream_tbEUlT_E_NS1_11comp_targetILNS1_3genE2ELNS1_11target_archE906ELNS1_3gpuE6ELNS1_3repE0EEENS1_30default_config_static_selectorELNS0_4arch9wavefront6targetE0EEEvSP_.has_recursion, 0
	.set _ZN7rocprim17ROCPRIM_400000_NS6detail17trampoline_kernelINS0_14default_configENS1_32segmented_reduce_config_selectorIdEEZNS1_21segmented_reduce_implIS3_PKdPdPKldN6hipcub16HIPCUB_304000_NS6detail27convert_result_type_wrapperIS8_S9_N2at6native12_GLOBAL__N_19CustomMaxEEEEE10hipError_tPvRmT0_T1_jT2_SQ_T4_T3_P12ihipStream_tbEUlT_E_NS1_11comp_targetILNS1_3genE2ELNS1_11target_archE906ELNS1_3gpuE6ELNS1_3repE0EEENS1_30default_config_static_selectorELNS0_4arch9wavefront6targetE0EEEvSP_.has_indirect_call, 0
	.section	.AMDGPU.csdata,"",@progbits
; Kernel info:
; codeLenInByte = 0
; TotalNumSgprs: 0
; NumVgprs: 0
; ScratchSize: 0
; MemoryBound: 0
; FloatMode: 240
; IeeeMode: 1
; LDSByteSize: 0 bytes/workgroup (compile time only)
; SGPRBlocks: 0
; VGPRBlocks: 0
; NumSGPRsForWavesPerEU: 1
; NumVGPRsForWavesPerEU: 1
; NamedBarCnt: 0
; Occupancy: 16
; WaveLimiterHint : 0
; COMPUTE_PGM_RSRC2:SCRATCH_EN: 0
; COMPUTE_PGM_RSRC2:USER_SGPR: 2
; COMPUTE_PGM_RSRC2:TRAP_HANDLER: 0
; COMPUTE_PGM_RSRC2:TGID_X_EN: 1
; COMPUTE_PGM_RSRC2:TGID_Y_EN: 0
; COMPUTE_PGM_RSRC2:TGID_Z_EN: 0
; COMPUTE_PGM_RSRC2:TIDIG_COMP_CNT: 0
	.section	.text._ZN7rocprim17ROCPRIM_400000_NS6detail17trampoline_kernelINS0_14default_configENS1_32segmented_reduce_config_selectorIdEEZNS1_21segmented_reduce_implIS3_PKdPdPKldN6hipcub16HIPCUB_304000_NS6detail27convert_result_type_wrapperIS8_S9_N2at6native12_GLOBAL__N_19CustomMaxEEEEE10hipError_tPvRmT0_T1_jT2_SQ_T4_T3_P12ihipStream_tbEUlT_E_NS1_11comp_targetILNS1_3genE9ELNS1_11target_archE1100ELNS1_3gpuE3ELNS1_3repE0EEENS1_30default_config_static_selectorELNS0_4arch9wavefront6targetE0EEEvSP_,"axG",@progbits,_ZN7rocprim17ROCPRIM_400000_NS6detail17trampoline_kernelINS0_14default_configENS1_32segmented_reduce_config_selectorIdEEZNS1_21segmented_reduce_implIS3_PKdPdPKldN6hipcub16HIPCUB_304000_NS6detail27convert_result_type_wrapperIS8_S9_N2at6native12_GLOBAL__N_19CustomMaxEEEEE10hipError_tPvRmT0_T1_jT2_SQ_T4_T3_P12ihipStream_tbEUlT_E_NS1_11comp_targetILNS1_3genE9ELNS1_11target_archE1100ELNS1_3gpuE3ELNS1_3repE0EEENS1_30default_config_static_selectorELNS0_4arch9wavefront6targetE0EEEvSP_,comdat
	.globl	_ZN7rocprim17ROCPRIM_400000_NS6detail17trampoline_kernelINS0_14default_configENS1_32segmented_reduce_config_selectorIdEEZNS1_21segmented_reduce_implIS3_PKdPdPKldN6hipcub16HIPCUB_304000_NS6detail27convert_result_type_wrapperIS8_S9_N2at6native12_GLOBAL__N_19CustomMaxEEEEE10hipError_tPvRmT0_T1_jT2_SQ_T4_T3_P12ihipStream_tbEUlT_E_NS1_11comp_targetILNS1_3genE9ELNS1_11target_archE1100ELNS1_3gpuE3ELNS1_3repE0EEENS1_30default_config_static_selectorELNS0_4arch9wavefront6targetE0EEEvSP_ ; -- Begin function _ZN7rocprim17ROCPRIM_400000_NS6detail17trampoline_kernelINS0_14default_configENS1_32segmented_reduce_config_selectorIdEEZNS1_21segmented_reduce_implIS3_PKdPdPKldN6hipcub16HIPCUB_304000_NS6detail27convert_result_type_wrapperIS8_S9_N2at6native12_GLOBAL__N_19CustomMaxEEEEE10hipError_tPvRmT0_T1_jT2_SQ_T4_T3_P12ihipStream_tbEUlT_E_NS1_11comp_targetILNS1_3genE9ELNS1_11target_archE1100ELNS1_3gpuE3ELNS1_3repE0EEENS1_30default_config_static_selectorELNS0_4arch9wavefront6targetE0EEEvSP_
	.p2align	8
	.type	_ZN7rocprim17ROCPRIM_400000_NS6detail17trampoline_kernelINS0_14default_configENS1_32segmented_reduce_config_selectorIdEEZNS1_21segmented_reduce_implIS3_PKdPdPKldN6hipcub16HIPCUB_304000_NS6detail27convert_result_type_wrapperIS8_S9_N2at6native12_GLOBAL__N_19CustomMaxEEEEE10hipError_tPvRmT0_T1_jT2_SQ_T4_T3_P12ihipStream_tbEUlT_E_NS1_11comp_targetILNS1_3genE9ELNS1_11target_archE1100ELNS1_3gpuE3ELNS1_3repE0EEENS1_30default_config_static_selectorELNS0_4arch9wavefront6targetE0EEEvSP_,@function
_ZN7rocprim17ROCPRIM_400000_NS6detail17trampoline_kernelINS0_14default_configENS1_32segmented_reduce_config_selectorIdEEZNS1_21segmented_reduce_implIS3_PKdPdPKldN6hipcub16HIPCUB_304000_NS6detail27convert_result_type_wrapperIS8_S9_N2at6native12_GLOBAL__N_19CustomMaxEEEEE10hipError_tPvRmT0_T1_jT2_SQ_T4_T3_P12ihipStream_tbEUlT_E_NS1_11comp_targetILNS1_3genE9ELNS1_11target_archE1100ELNS1_3gpuE3ELNS1_3repE0EEENS1_30default_config_static_selectorELNS0_4arch9wavefront6targetE0EEEvSP_: ; @_ZN7rocprim17ROCPRIM_400000_NS6detail17trampoline_kernelINS0_14default_configENS1_32segmented_reduce_config_selectorIdEEZNS1_21segmented_reduce_implIS3_PKdPdPKldN6hipcub16HIPCUB_304000_NS6detail27convert_result_type_wrapperIS8_S9_N2at6native12_GLOBAL__N_19CustomMaxEEEEE10hipError_tPvRmT0_T1_jT2_SQ_T4_T3_P12ihipStream_tbEUlT_E_NS1_11comp_targetILNS1_3genE9ELNS1_11target_archE1100ELNS1_3gpuE3ELNS1_3repE0EEENS1_30default_config_static_selectorELNS0_4arch9wavefront6targetE0EEEvSP_
; %bb.0:
	.section	.rodata,"a",@progbits
	.p2align	6, 0x0
	.amdhsa_kernel _ZN7rocprim17ROCPRIM_400000_NS6detail17trampoline_kernelINS0_14default_configENS1_32segmented_reduce_config_selectorIdEEZNS1_21segmented_reduce_implIS3_PKdPdPKldN6hipcub16HIPCUB_304000_NS6detail27convert_result_type_wrapperIS8_S9_N2at6native12_GLOBAL__N_19CustomMaxEEEEE10hipError_tPvRmT0_T1_jT2_SQ_T4_T3_P12ihipStream_tbEUlT_E_NS1_11comp_targetILNS1_3genE9ELNS1_11target_archE1100ELNS1_3gpuE3ELNS1_3repE0EEENS1_30default_config_static_selectorELNS0_4arch9wavefront6targetE0EEEvSP_
		.amdhsa_group_segment_fixed_size 0
		.amdhsa_private_segment_fixed_size 0
		.amdhsa_kernarg_size 56
		.amdhsa_user_sgpr_count 2
		.amdhsa_user_sgpr_dispatch_ptr 0
		.amdhsa_user_sgpr_queue_ptr 0
		.amdhsa_user_sgpr_kernarg_segment_ptr 1
		.amdhsa_user_sgpr_dispatch_id 0
		.amdhsa_user_sgpr_kernarg_preload_length 0
		.amdhsa_user_sgpr_kernarg_preload_offset 0
		.amdhsa_user_sgpr_private_segment_size 0
		.amdhsa_wavefront_size32 1
		.amdhsa_uses_dynamic_stack 0
		.amdhsa_enable_private_segment 0
		.amdhsa_system_sgpr_workgroup_id_x 1
		.amdhsa_system_sgpr_workgroup_id_y 0
		.amdhsa_system_sgpr_workgroup_id_z 0
		.amdhsa_system_sgpr_workgroup_info 0
		.amdhsa_system_vgpr_workitem_id 0
		.amdhsa_next_free_vgpr 1
		.amdhsa_next_free_sgpr 1
		.amdhsa_named_barrier_count 0
		.amdhsa_reserve_vcc 0
		.amdhsa_float_round_mode_32 0
		.amdhsa_float_round_mode_16_64 0
		.amdhsa_float_denorm_mode_32 3
		.amdhsa_float_denorm_mode_16_64 3
		.amdhsa_fp16_overflow 0
		.amdhsa_memory_ordered 1
		.amdhsa_forward_progress 1
		.amdhsa_inst_pref_size 0
		.amdhsa_round_robin_scheduling 0
		.amdhsa_exception_fp_ieee_invalid_op 0
		.amdhsa_exception_fp_denorm_src 0
		.amdhsa_exception_fp_ieee_div_zero 0
		.amdhsa_exception_fp_ieee_overflow 0
		.amdhsa_exception_fp_ieee_underflow 0
		.amdhsa_exception_fp_ieee_inexact 0
		.amdhsa_exception_int_div_zero 0
	.end_amdhsa_kernel
	.section	.text._ZN7rocprim17ROCPRIM_400000_NS6detail17trampoline_kernelINS0_14default_configENS1_32segmented_reduce_config_selectorIdEEZNS1_21segmented_reduce_implIS3_PKdPdPKldN6hipcub16HIPCUB_304000_NS6detail27convert_result_type_wrapperIS8_S9_N2at6native12_GLOBAL__N_19CustomMaxEEEEE10hipError_tPvRmT0_T1_jT2_SQ_T4_T3_P12ihipStream_tbEUlT_E_NS1_11comp_targetILNS1_3genE9ELNS1_11target_archE1100ELNS1_3gpuE3ELNS1_3repE0EEENS1_30default_config_static_selectorELNS0_4arch9wavefront6targetE0EEEvSP_,"axG",@progbits,_ZN7rocprim17ROCPRIM_400000_NS6detail17trampoline_kernelINS0_14default_configENS1_32segmented_reduce_config_selectorIdEEZNS1_21segmented_reduce_implIS3_PKdPdPKldN6hipcub16HIPCUB_304000_NS6detail27convert_result_type_wrapperIS8_S9_N2at6native12_GLOBAL__N_19CustomMaxEEEEE10hipError_tPvRmT0_T1_jT2_SQ_T4_T3_P12ihipStream_tbEUlT_E_NS1_11comp_targetILNS1_3genE9ELNS1_11target_archE1100ELNS1_3gpuE3ELNS1_3repE0EEENS1_30default_config_static_selectorELNS0_4arch9wavefront6targetE0EEEvSP_,comdat
.Lfunc_end151:
	.size	_ZN7rocprim17ROCPRIM_400000_NS6detail17trampoline_kernelINS0_14default_configENS1_32segmented_reduce_config_selectorIdEEZNS1_21segmented_reduce_implIS3_PKdPdPKldN6hipcub16HIPCUB_304000_NS6detail27convert_result_type_wrapperIS8_S9_N2at6native12_GLOBAL__N_19CustomMaxEEEEE10hipError_tPvRmT0_T1_jT2_SQ_T4_T3_P12ihipStream_tbEUlT_E_NS1_11comp_targetILNS1_3genE9ELNS1_11target_archE1100ELNS1_3gpuE3ELNS1_3repE0EEENS1_30default_config_static_selectorELNS0_4arch9wavefront6targetE0EEEvSP_, .Lfunc_end151-_ZN7rocprim17ROCPRIM_400000_NS6detail17trampoline_kernelINS0_14default_configENS1_32segmented_reduce_config_selectorIdEEZNS1_21segmented_reduce_implIS3_PKdPdPKldN6hipcub16HIPCUB_304000_NS6detail27convert_result_type_wrapperIS8_S9_N2at6native12_GLOBAL__N_19CustomMaxEEEEE10hipError_tPvRmT0_T1_jT2_SQ_T4_T3_P12ihipStream_tbEUlT_E_NS1_11comp_targetILNS1_3genE9ELNS1_11target_archE1100ELNS1_3gpuE3ELNS1_3repE0EEENS1_30default_config_static_selectorELNS0_4arch9wavefront6targetE0EEEvSP_
                                        ; -- End function
	.set _ZN7rocprim17ROCPRIM_400000_NS6detail17trampoline_kernelINS0_14default_configENS1_32segmented_reduce_config_selectorIdEEZNS1_21segmented_reduce_implIS3_PKdPdPKldN6hipcub16HIPCUB_304000_NS6detail27convert_result_type_wrapperIS8_S9_N2at6native12_GLOBAL__N_19CustomMaxEEEEE10hipError_tPvRmT0_T1_jT2_SQ_T4_T3_P12ihipStream_tbEUlT_E_NS1_11comp_targetILNS1_3genE9ELNS1_11target_archE1100ELNS1_3gpuE3ELNS1_3repE0EEENS1_30default_config_static_selectorELNS0_4arch9wavefront6targetE0EEEvSP_.num_vgpr, 0
	.set _ZN7rocprim17ROCPRIM_400000_NS6detail17trampoline_kernelINS0_14default_configENS1_32segmented_reduce_config_selectorIdEEZNS1_21segmented_reduce_implIS3_PKdPdPKldN6hipcub16HIPCUB_304000_NS6detail27convert_result_type_wrapperIS8_S9_N2at6native12_GLOBAL__N_19CustomMaxEEEEE10hipError_tPvRmT0_T1_jT2_SQ_T4_T3_P12ihipStream_tbEUlT_E_NS1_11comp_targetILNS1_3genE9ELNS1_11target_archE1100ELNS1_3gpuE3ELNS1_3repE0EEENS1_30default_config_static_selectorELNS0_4arch9wavefront6targetE0EEEvSP_.num_agpr, 0
	.set _ZN7rocprim17ROCPRIM_400000_NS6detail17trampoline_kernelINS0_14default_configENS1_32segmented_reduce_config_selectorIdEEZNS1_21segmented_reduce_implIS3_PKdPdPKldN6hipcub16HIPCUB_304000_NS6detail27convert_result_type_wrapperIS8_S9_N2at6native12_GLOBAL__N_19CustomMaxEEEEE10hipError_tPvRmT0_T1_jT2_SQ_T4_T3_P12ihipStream_tbEUlT_E_NS1_11comp_targetILNS1_3genE9ELNS1_11target_archE1100ELNS1_3gpuE3ELNS1_3repE0EEENS1_30default_config_static_selectorELNS0_4arch9wavefront6targetE0EEEvSP_.numbered_sgpr, 0
	.set _ZN7rocprim17ROCPRIM_400000_NS6detail17trampoline_kernelINS0_14default_configENS1_32segmented_reduce_config_selectorIdEEZNS1_21segmented_reduce_implIS3_PKdPdPKldN6hipcub16HIPCUB_304000_NS6detail27convert_result_type_wrapperIS8_S9_N2at6native12_GLOBAL__N_19CustomMaxEEEEE10hipError_tPvRmT0_T1_jT2_SQ_T4_T3_P12ihipStream_tbEUlT_E_NS1_11comp_targetILNS1_3genE9ELNS1_11target_archE1100ELNS1_3gpuE3ELNS1_3repE0EEENS1_30default_config_static_selectorELNS0_4arch9wavefront6targetE0EEEvSP_.num_named_barrier, 0
	.set _ZN7rocprim17ROCPRIM_400000_NS6detail17trampoline_kernelINS0_14default_configENS1_32segmented_reduce_config_selectorIdEEZNS1_21segmented_reduce_implIS3_PKdPdPKldN6hipcub16HIPCUB_304000_NS6detail27convert_result_type_wrapperIS8_S9_N2at6native12_GLOBAL__N_19CustomMaxEEEEE10hipError_tPvRmT0_T1_jT2_SQ_T4_T3_P12ihipStream_tbEUlT_E_NS1_11comp_targetILNS1_3genE9ELNS1_11target_archE1100ELNS1_3gpuE3ELNS1_3repE0EEENS1_30default_config_static_selectorELNS0_4arch9wavefront6targetE0EEEvSP_.private_seg_size, 0
	.set _ZN7rocprim17ROCPRIM_400000_NS6detail17trampoline_kernelINS0_14default_configENS1_32segmented_reduce_config_selectorIdEEZNS1_21segmented_reduce_implIS3_PKdPdPKldN6hipcub16HIPCUB_304000_NS6detail27convert_result_type_wrapperIS8_S9_N2at6native12_GLOBAL__N_19CustomMaxEEEEE10hipError_tPvRmT0_T1_jT2_SQ_T4_T3_P12ihipStream_tbEUlT_E_NS1_11comp_targetILNS1_3genE9ELNS1_11target_archE1100ELNS1_3gpuE3ELNS1_3repE0EEENS1_30default_config_static_selectorELNS0_4arch9wavefront6targetE0EEEvSP_.uses_vcc, 0
	.set _ZN7rocprim17ROCPRIM_400000_NS6detail17trampoline_kernelINS0_14default_configENS1_32segmented_reduce_config_selectorIdEEZNS1_21segmented_reduce_implIS3_PKdPdPKldN6hipcub16HIPCUB_304000_NS6detail27convert_result_type_wrapperIS8_S9_N2at6native12_GLOBAL__N_19CustomMaxEEEEE10hipError_tPvRmT0_T1_jT2_SQ_T4_T3_P12ihipStream_tbEUlT_E_NS1_11comp_targetILNS1_3genE9ELNS1_11target_archE1100ELNS1_3gpuE3ELNS1_3repE0EEENS1_30default_config_static_selectorELNS0_4arch9wavefront6targetE0EEEvSP_.uses_flat_scratch, 0
	.set _ZN7rocprim17ROCPRIM_400000_NS6detail17trampoline_kernelINS0_14default_configENS1_32segmented_reduce_config_selectorIdEEZNS1_21segmented_reduce_implIS3_PKdPdPKldN6hipcub16HIPCUB_304000_NS6detail27convert_result_type_wrapperIS8_S9_N2at6native12_GLOBAL__N_19CustomMaxEEEEE10hipError_tPvRmT0_T1_jT2_SQ_T4_T3_P12ihipStream_tbEUlT_E_NS1_11comp_targetILNS1_3genE9ELNS1_11target_archE1100ELNS1_3gpuE3ELNS1_3repE0EEENS1_30default_config_static_selectorELNS0_4arch9wavefront6targetE0EEEvSP_.has_dyn_sized_stack, 0
	.set _ZN7rocprim17ROCPRIM_400000_NS6detail17trampoline_kernelINS0_14default_configENS1_32segmented_reduce_config_selectorIdEEZNS1_21segmented_reduce_implIS3_PKdPdPKldN6hipcub16HIPCUB_304000_NS6detail27convert_result_type_wrapperIS8_S9_N2at6native12_GLOBAL__N_19CustomMaxEEEEE10hipError_tPvRmT0_T1_jT2_SQ_T4_T3_P12ihipStream_tbEUlT_E_NS1_11comp_targetILNS1_3genE9ELNS1_11target_archE1100ELNS1_3gpuE3ELNS1_3repE0EEENS1_30default_config_static_selectorELNS0_4arch9wavefront6targetE0EEEvSP_.has_recursion, 0
	.set _ZN7rocprim17ROCPRIM_400000_NS6detail17trampoline_kernelINS0_14default_configENS1_32segmented_reduce_config_selectorIdEEZNS1_21segmented_reduce_implIS3_PKdPdPKldN6hipcub16HIPCUB_304000_NS6detail27convert_result_type_wrapperIS8_S9_N2at6native12_GLOBAL__N_19CustomMaxEEEEE10hipError_tPvRmT0_T1_jT2_SQ_T4_T3_P12ihipStream_tbEUlT_E_NS1_11comp_targetILNS1_3genE9ELNS1_11target_archE1100ELNS1_3gpuE3ELNS1_3repE0EEENS1_30default_config_static_selectorELNS0_4arch9wavefront6targetE0EEEvSP_.has_indirect_call, 0
	.section	.AMDGPU.csdata,"",@progbits
; Kernel info:
; codeLenInByte = 0
; TotalNumSgprs: 0
; NumVgprs: 0
; ScratchSize: 0
; MemoryBound: 0
; FloatMode: 240
; IeeeMode: 1
; LDSByteSize: 0 bytes/workgroup (compile time only)
; SGPRBlocks: 0
; VGPRBlocks: 0
; NumSGPRsForWavesPerEU: 1
; NumVGPRsForWavesPerEU: 1
; NamedBarCnt: 0
; Occupancy: 16
; WaveLimiterHint : 0
; COMPUTE_PGM_RSRC2:SCRATCH_EN: 0
; COMPUTE_PGM_RSRC2:USER_SGPR: 2
; COMPUTE_PGM_RSRC2:TRAP_HANDLER: 0
; COMPUTE_PGM_RSRC2:TGID_X_EN: 1
; COMPUTE_PGM_RSRC2:TGID_Y_EN: 0
; COMPUTE_PGM_RSRC2:TGID_Z_EN: 0
; COMPUTE_PGM_RSRC2:TIDIG_COMP_CNT: 0
	.section	.text._ZN7rocprim17ROCPRIM_400000_NS6detail17trampoline_kernelINS0_14default_configENS1_32segmented_reduce_config_selectorIdEEZNS1_21segmented_reduce_implIS3_PKdPdPKldN6hipcub16HIPCUB_304000_NS6detail27convert_result_type_wrapperIS8_S9_N2at6native12_GLOBAL__N_19CustomMaxEEEEE10hipError_tPvRmT0_T1_jT2_SQ_T4_T3_P12ihipStream_tbEUlT_E_NS1_11comp_targetILNS1_3genE8ELNS1_11target_archE1030ELNS1_3gpuE2ELNS1_3repE0EEENS1_30default_config_static_selectorELNS0_4arch9wavefront6targetE0EEEvSP_,"axG",@progbits,_ZN7rocprim17ROCPRIM_400000_NS6detail17trampoline_kernelINS0_14default_configENS1_32segmented_reduce_config_selectorIdEEZNS1_21segmented_reduce_implIS3_PKdPdPKldN6hipcub16HIPCUB_304000_NS6detail27convert_result_type_wrapperIS8_S9_N2at6native12_GLOBAL__N_19CustomMaxEEEEE10hipError_tPvRmT0_T1_jT2_SQ_T4_T3_P12ihipStream_tbEUlT_E_NS1_11comp_targetILNS1_3genE8ELNS1_11target_archE1030ELNS1_3gpuE2ELNS1_3repE0EEENS1_30default_config_static_selectorELNS0_4arch9wavefront6targetE0EEEvSP_,comdat
	.globl	_ZN7rocprim17ROCPRIM_400000_NS6detail17trampoline_kernelINS0_14default_configENS1_32segmented_reduce_config_selectorIdEEZNS1_21segmented_reduce_implIS3_PKdPdPKldN6hipcub16HIPCUB_304000_NS6detail27convert_result_type_wrapperIS8_S9_N2at6native12_GLOBAL__N_19CustomMaxEEEEE10hipError_tPvRmT0_T1_jT2_SQ_T4_T3_P12ihipStream_tbEUlT_E_NS1_11comp_targetILNS1_3genE8ELNS1_11target_archE1030ELNS1_3gpuE2ELNS1_3repE0EEENS1_30default_config_static_selectorELNS0_4arch9wavefront6targetE0EEEvSP_ ; -- Begin function _ZN7rocprim17ROCPRIM_400000_NS6detail17trampoline_kernelINS0_14default_configENS1_32segmented_reduce_config_selectorIdEEZNS1_21segmented_reduce_implIS3_PKdPdPKldN6hipcub16HIPCUB_304000_NS6detail27convert_result_type_wrapperIS8_S9_N2at6native12_GLOBAL__N_19CustomMaxEEEEE10hipError_tPvRmT0_T1_jT2_SQ_T4_T3_P12ihipStream_tbEUlT_E_NS1_11comp_targetILNS1_3genE8ELNS1_11target_archE1030ELNS1_3gpuE2ELNS1_3repE0EEENS1_30default_config_static_selectorELNS0_4arch9wavefront6targetE0EEEvSP_
	.p2align	8
	.type	_ZN7rocprim17ROCPRIM_400000_NS6detail17trampoline_kernelINS0_14default_configENS1_32segmented_reduce_config_selectorIdEEZNS1_21segmented_reduce_implIS3_PKdPdPKldN6hipcub16HIPCUB_304000_NS6detail27convert_result_type_wrapperIS8_S9_N2at6native12_GLOBAL__N_19CustomMaxEEEEE10hipError_tPvRmT0_T1_jT2_SQ_T4_T3_P12ihipStream_tbEUlT_E_NS1_11comp_targetILNS1_3genE8ELNS1_11target_archE1030ELNS1_3gpuE2ELNS1_3repE0EEENS1_30default_config_static_selectorELNS0_4arch9wavefront6targetE0EEEvSP_,@function
_ZN7rocprim17ROCPRIM_400000_NS6detail17trampoline_kernelINS0_14default_configENS1_32segmented_reduce_config_selectorIdEEZNS1_21segmented_reduce_implIS3_PKdPdPKldN6hipcub16HIPCUB_304000_NS6detail27convert_result_type_wrapperIS8_S9_N2at6native12_GLOBAL__N_19CustomMaxEEEEE10hipError_tPvRmT0_T1_jT2_SQ_T4_T3_P12ihipStream_tbEUlT_E_NS1_11comp_targetILNS1_3genE8ELNS1_11target_archE1030ELNS1_3gpuE2ELNS1_3repE0EEENS1_30default_config_static_selectorELNS0_4arch9wavefront6targetE0EEEvSP_: ; @_ZN7rocprim17ROCPRIM_400000_NS6detail17trampoline_kernelINS0_14default_configENS1_32segmented_reduce_config_selectorIdEEZNS1_21segmented_reduce_implIS3_PKdPdPKldN6hipcub16HIPCUB_304000_NS6detail27convert_result_type_wrapperIS8_S9_N2at6native12_GLOBAL__N_19CustomMaxEEEEE10hipError_tPvRmT0_T1_jT2_SQ_T4_T3_P12ihipStream_tbEUlT_E_NS1_11comp_targetILNS1_3genE8ELNS1_11target_archE1030ELNS1_3gpuE2ELNS1_3repE0EEENS1_30default_config_static_selectorELNS0_4arch9wavefront6targetE0EEEvSP_
; %bb.0:
	.section	.rodata,"a",@progbits
	.p2align	6, 0x0
	.amdhsa_kernel _ZN7rocprim17ROCPRIM_400000_NS6detail17trampoline_kernelINS0_14default_configENS1_32segmented_reduce_config_selectorIdEEZNS1_21segmented_reduce_implIS3_PKdPdPKldN6hipcub16HIPCUB_304000_NS6detail27convert_result_type_wrapperIS8_S9_N2at6native12_GLOBAL__N_19CustomMaxEEEEE10hipError_tPvRmT0_T1_jT2_SQ_T4_T3_P12ihipStream_tbEUlT_E_NS1_11comp_targetILNS1_3genE8ELNS1_11target_archE1030ELNS1_3gpuE2ELNS1_3repE0EEENS1_30default_config_static_selectorELNS0_4arch9wavefront6targetE0EEEvSP_
		.amdhsa_group_segment_fixed_size 0
		.amdhsa_private_segment_fixed_size 0
		.amdhsa_kernarg_size 56
		.amdhsa_user_sgpr_count 2
		.amdhsa_user_sgpr_dispatch_ptr 0
		.amdhsa_user_sgpr_queue_ptr 0
		.amdhsa_user_sgpr_kernarg_segment_ptr 1
		.amdhsa_user_sgpr_dispatch_id 0
		.amdhsa_user_sgpr_kernarg_preload_length 0
		.amdhsa_user_sgpr_kernarg_preload_offset 0
		.amdhsa_user_sgpr_private_segment_size 0
		.amdhsa_wavefront_size32 1
		.amdhsa_uses_dynamic_stack 0
		.amdhsa_enable_private_segment 0
		.amdhsa_system_sgpr_workgroup_id_x 1
		.amdhsa_system_sgpr_workgroup_id_y 0
		.amdhsa_system_sgpr_workgroup_id_z 0
		.amdhsa_system_sgpr_workgroup_info 0
		.amdhsa_system_vgpr_workitem_id 0
		.amdhsa_next_free_vgpr 1
		.amdhsa_next_free_sgpr 1
		.amdhsa_named_barrier_count 0
		.amdhsa_reserve_vcc 0
		.amdhsa_float_round_mode_32 0
		.amdhsa_float_round_mode_16_64 0
		.amdhsa_float_denorm_mode_32 3
		.amdhsa_float_denorm_mode_16_64 3
		.amdhsa_fp16_overflow 0
		.amdhsa_memory_ordered 1
		.amdhsa_forward_progress 1
		.amdhsa_inst_pref_size 0
		.amdhsa_round_robin_scheduling 0
		.amdhsa_exception_fp_ieee_invalid_op 0
		.amdhsa_exception_fp_denorm_src 0
		.amdhsa_exception_fp_ieee_div_zero 0
		.amdhsa_exception_fp_ieee_overflow 0
		.amdhsa_exception_fp_ieee_underflow 0
		.amdhsa_exception_fp_ieee_inexact 0
		.amdhsa_exception_int_div_zero 0
	.end_amdhsa_kernel
	.section	.text._ZN7rocprim17ROCPRIM_400000_NS6detail17trampoline_kernelINS0_14default_configENS1_32segmented_reduce_config_selectorIdEEZNS1_21segmented_reduce_implIS3_PKdPdPKldN6hipcub16HIPCUB_304000_NS6detail27convert_result_type_wrapperIS8_S9_N2at6native12_GLOBAL__N_19CustomMaxEEEEE10hipError_tPvRmT0_T1_jT2_SQ_T4_T3_P12ihipStream_tbEUlT_E_NS1_11comp_targetILNS1_3genE8ELNS1_11target_archE1030ELNS1_3gpuE2ELNS1_3repE0EEENS1_30default_config_static_selectorELNS0_4arch9wavefront6targetE0EEEvSP_,"axG",@progbits,_ZN7rocprim17ROCPRIM_400000_NS6detail17trampoline_kernelINS0_14default_configENS1_32segmented_reduce_config_selectorIdEEZNS1_21segmented_reduce_implIS3_PKdPdPKldN6hipcub16HIPCUB_304000_NS6detail27convert_result_type_wrapperIS8_S9_N2at6native12_GLOBAL__N_19CustomMaxEEEEE10hipError_tPvRmT0_T1_jT2_SQ_T4_T3_P12ihipStream_tbEUlT_E_NS1_11comp_targetILNS1_3genE8ELNS1_11target_archE1030ELNS1_3gpuE2ELNS1_3repE0EEENS1_30default_config_static_selectorELNS0_4arch9wavefront6targetE0EEEvSP_,comdat
.Lfunc_end152:
	.size	_ZN7rocprim17ROCPRIM_400000_NS6detail17trampoline_kernelINS0_14default_configENS1_32segmented_reduce_config_selectorIdEEZNS1_21segmented_reduce_implIS3_PKdPdPKldN6hipcub16HIPCUB_304000_NS6detail27convert_result_type_wrapperIS8_S9_N2at6native12_GLOBAL__N_19CustomMaxEEEEE10hipError_tPvRmT0_T1_jT2_SQ_T4_T3_P12ihipStream_tbEUlT_E_NS1_11comp_targetILNS1_3genE8ELNS1_11target_archE1030ELNS1_3gpuE2ELNS1_3repE0EEENS1_30default_config_static_selectorELNS0_4arch9wavefront6targetE0EEEvSP_, .Lfunc_end152-_ZN7rocprim17ROCPRIM_400000_NS6detail17trampoline_kernelINS0_14default_configENS1_32segmented_reduce_config_selectorIdEEZNS1_21segmented_reduce_implIS3_PKdPdPKldN6hipcub16HIPCUB_304000_NS6detail27convert_result_type_wrapperIS8_S9_N2at6native12_GLOBAL__N_19CustomMaxEEEEE10hipError_tPvRmT0_T1_jT2_SQ_T4_T3_P12ihipStream_tbEUlT_E_NS1_11comp_targetILNS1_3genE8ELNS1_11target_archE1030ELNS1_3gpuE2ELNS1_3repE0EEENS1_30default_config_static_selectorELNS0_4arch9wavefront6targetE0EEEvSP_
                                        ; -- End function
	.set _ZN7rocprim17ROCPRIM_400000_NS6detail17trampoline_kernelINS0_14default_configENS1_32segmented_reduce_config_selectorIdEEZNS1_21segmented_reduce_implIS3_PKdPdPKldN6hipcub16HIPCUB_304000_NS6detail27convert_result_type_wrapperIS8_S9_N2at6native12_GLOBAL__N_19CustomMaxEEEEE10hipError_tPvRmT0_T1_jT2_SQ_T4_T3_P12ihipStream_tbEUlT_E_NS1_11comp_targetILNS1_3genE8ELNS1_11target_archE1030ELNS1_3gpuE2ELNS1_3repE0EEENS1_30default_config_static_selectorELNS0_4arch9wavefront6targetE0EEEvSP_.num_vgpr, 0
	.set _ZN7rocprim17ROCPRIM_400000_NS6detail17trampoline_kernelINS0_14default_configENS1_32segmented_reduce_config_selectorIdEEZNS1_21segmented_reduce_implIS3_PKdPdPKldN6hipcub16HIPCUB_304000_NS6detail27convert_result_type_wrapperIS8_S9_N2at6native12_GLOBAL__N_19CustomMaxEEEEE10hipError_tPvRmT0_T1_jT2_SQ_T4_T3_P12ihipStream_tbEUlT_E_NS1_11comp_targetILNS1_3genE8ELNS1_11target_archE1030ELNS1_3gpuE2ELNS1_3repE0EEENS1_30default_config_static_selectorELNS0_4arch9wavefront6targetE0EEEvSP_.num_agpr, 0
	.set _ZN7rocprim17ROCPRIM_400000_NS6detail17trampoline_kernelINS0_14default_configENS1_32segmented_reduce_config_selectorIdEEZNS1_21segmented_reduce_implIS3_PKdPdPKldN6hipcub16HIPCUB_304000_NS6detail27convert_result_type_wrapperIS8_S9_N2at6native12_GLOBAL__N_19CustomMaxEEEEE10hipError_tPvRmT0_T1_jT2_SQ_T4_T3_P12ihipStream_tbEUlT_E_NS1_11comp_targetILNS1_3genE8ELNS1_11target_archE1030ELNS1_3gpuE2ELNS1_3repE0EEENS1_30default_config_static_selectorELNS0_4arch9wavefront6targetE0EEEvSP_.numbered_sgpr, 0
	.set _ZN7rocprim17ROCPRIM_400000_NS6detail17trampoline_kernelINS0_14default_configENS1_32segmented_reduce_config_selectorIdEEZNS1_21segmented_reduce_implIS3_PKdPdPKldN6hipcub16HIPCUB_304000_NS6detail27convert_result_type_wrapperIS8_S9_N2at6native12_GLOBAL__N_19CustomMaxEEEEE10hipError_tPvRmT0_T1_jT2_SQ_T4_T3_P12ihipStream_tbEUlT_E_NS1_11comp_targetILNS1_3genE8ELNS1_11target_archE1030ELNS1_3gpuE2ELNS1_3repE0EEENS1_30default_config_static_selectorELNS0_4arch9wavefront6targetE0EEEvSP_.num_named_barrier, 0
	.set _ZN7rocprim17ROCPRIM_400000_NS6detail17trampoline_kernelINS0_14default_configENS1_32segmented_reduce_config_selectorIdEEZNS1_21segmented_reduce_implIS3_PKdPdPKldN6hipcub16HIPCUB_304000_NS6detail27convert_result_type_wrapperIS8_S9_N2at6native12_GLOBAL__N_19CustomMaxEEEEE10hipError_tPvRmT0_T1_jT2_SQ_T4_T3_P12ihipStream_tbEUlT_E_NS1_11comp_targetILNS1_3genE8ELNS1_11target_archE1030ELNS1_3gpuE2ELNS1_3repE0EEENS1_30default_config_static_selectorELNS0_4arch9wavefront6targetE0EEEvSP_.private_seg_size, 0
	.set _ZN7rocprim17ROCPRIM_400000_NS6detail17trampoline_kernelINS0_14default_configENS1_32segmented_reduce_config_selectorIdEEZNS1_21segmented_reduce_implIS3_PKdPdPKldN6hipcub16HIPCUB_304000_NS6detail27convert_result_type_wrapperIS8_S9_N2at6native12_GLOBAL__N_19CustomMaxEEEEE10hipError_tPvRmT0_T1_jT2_SQ_T4_T3_P12ihipStream_tbEUlT_E_NS1_11comp_targetILNS1_3genE8ELNS1_11target_archE1030ELNS1_3gpuE2ELNS1_3repE0EEENS1_30default_config_static_selectorELNS0_4arch9wavefront6targetE0EEEvSP_.uses_vcc, 0
	.set _ZN7rocprim17ROCPRIM_400000_NS6detail17trampoline_kernelINS0_14default_configENS1_32segmented_reduce_config_selectorIdEEZNS1_21segmented_reduce_implIS3_PKdPdPKldN6hipcub16HIPCUB_304000_NS6detail27convert_result_type_wrapperIS8_S9_N2at6native12_GLOBAL__N_19CustomMaxEEEEE10hipError_tPvRmT0_T1_jT2_SQ_T4_T3_P12ihipStream_tbEUlT_E_NS1_11comp_targetILNS1_3genE8ELNS1_11target_archE1030ELNS1_3gpuE2ELNS1_3repE0EEENS1_30default_config_static_selectorELNS0_4arch9wavefront6targetE0EEEvSP_.uses_flat_scratch, 0
	.set _ZN7rocprim17ROCPRIM_400000_NS6detail17trampoline_kernelINS0_14default_configENS1_32segmented_reduce_config_selectorIdEEZNS1_21segmented_reduce_implIS3_PKdPdPKldN6hipcub16HIPCUB_304000_NS6detail27convert_result_type_wrapperIS8_S9_N2at6native12_GLOBAL__N_19CustomMaxEEEEE10hipError_tPvRmT0_T1_jT2_SQ_T4_T3_P12ihipStream_tbEUlT_E_NS1_11comp_targetILNS1_3genE8ELNS1_11target_archE1030ELNS1_3gpuE2ELNS1_3repE0EEENS1_30default_config_static_selectorELNS0_4arch9wavefront6targetE0EEEvSP_.has_dyn_sized_stack, 0
	.set _ZN7rocprim17ROCPRIM_400000_NS6detail17trampoline_kernelINS0_14default_configENS1_32segmented_reduce_config_selectorIdEEZNS1_21segmented_reduce_implIS3_PKdPdPKldN6hipcub16HIPCUB_304000_NS6detail27convert_result_type_wrapperIS8_S9_N2at6native12_GLOBAL__N_19CustomMaxEEEEE10hipError_tPvRmT0_T1_jT2_SQ_T4_T3_P12ihipStream_tbEUlT_E_NS1_11comp_targetILNS1_3genE8ELNS1_11target_archE1030ELNS1_3gpuE2ELNS1_3repE0EEENS1_30default_config_static_selectorELNS0_4arch9wavefront6targetE0EEEvSP_.has_recursion, 0
	.set _ZN7rocprim17ROCPRIM_400000_NS6detail17trampoline_kernelINS0_14default_configENS1_32segmented_reduce_config_selectorIdEEZNS1_21segmented_reduce_implIS3_PKdPdPKldN6hipcub16HIPCUB_304000_NS6detail27convert_result_type_wrapperIS8_S9_N2at6native12_GLOBAL__N_19CustomMaxEEEEE10hipError_tPvRmT0_T1_jT2_SQ_T4_T3_P12ihipStream_tbEUlT_E_NS1_11comp_targetILNS1_3genE8ELNS1_11target_archE1030ELNS1_3gpuE2ELNS1_3repE0EEENS1_30default_config_static_selectorELNS0_4arch9wavefront6targetE0EEEvSP_.has_indirect_call, 0
	.section	.AMDGPU.csdata,"",@progbits
; Kernel info:
; codeLenInByte = 0
; TotalNumSgprs: 0
; NumVgprs: 0
; ScratchSize: 0
; MemoryBound: 0
; FloatMode: 240
; IeeeMode: 1
; LDSByteSize: 0 bytes/workgroup (compile time only)
; SGPRBlocks: 0
; VGPRBlocks: 0
; NumSGPRsForWavesPerEU: 1
; NumVGPRsForWavesPerEU: 1
; NamedBarCnt: 0
; Occupancy: 16
; WaveLimiterHint : 0
; COMPUTE_PGM_RSRC2:SCRATCH_EN: 0
; COMPUTE_PGM_RSRC2:USER_SGPR: 2
; COMPUTE_PGM_RSRC2:TRAP_HANDLER: 0
; COMPUTE_PGM_RSRC2:TGID_X_EN: 1
; COMPUTE_PGM_RSRC2:TGID_Y_EN: 0
; COMPUTE_PGM_RSRC2:TGID_Z_EN: 0
; COMPUTE_PGM_RSRC2:TIDIG_COMP_CNT: 0
	.section	.text._ZN7rocprim17ROCPRIM_400000_NS6detail17trampoline_kernelINS0_14default_configENS1_32segmented_reduce_config_selectorIdEEZNS1_21segmented_reduce_implIS3_PKdPdPKldN6hipcub16HIPCUB_304000_NS6detail27convert_result_type_wrapperIS8_S9_N2at6native12_GLOBAL__N_19CustomSumEEEEE10hipError_tPvRmT0_T1_jT2_SQ_T4_T3_P12ihipStream_tbEUlT_E_NS1_11comp_targetILNS1_3genE0ELNS1_11target_archE4294967295ELNS1_3gpuE0ELNS1_3repE0EEENS1_30default_config_static_selectorELNS0_4arch9wavefront6targetE0EEEvSP_,"axG",@progbits,_ZN7rocprim17ROCPRIM_400000_NS6detail17trampoline_kernelINS0_14default_configENS1_32segmented_reduce_config_selectorIdEEZNS1_21segmented_reduce_implIS3_PKdPdPKldN6hipcub16HIPCUB_304000_NS6detail27convert_result_type_wrapperIS8_S9_N2at6native12_GLOBAL__N_19CustomSumEEEEE10hipError_tPvRmT0_T1_jT2_SQ_T4_T3_P12ihipStream_tbEUlT_E_NS1_11comp_targetILNS1_3genE0ELNS1_11target_archE4294967295ELNS1_3gpuE0ELNS1_3repE0EEENS1_30default_config_static_selectorELNS0_4arch9wavefront6targetE0EEEvSP_,comdat
	.globl	_ZN7rocprim17ROCPRIM_400000_NS6detail17trampoline_kernelINS0_14default_configENS1_32segmented_reduce_config_selectorIdEEZNS1_21segmented_reduce_implIS3_PKdPdPKldN6hipcub16HIPCUB_304000_NS6detail27convert_result_type_wrapperIS8_S9_N2at6native12_GLOBAL__N_19CustomSumEEEEE10hipError_tPvRmT0_T1_jT2_SQ_T4_T3_P12ihipStream_tbEUlT_E_NS1_11comp_targetILNS1_3genE0ELNS1_11target_archE4294967295ELNS1_3gpuE0ELNS1_3repE0EEENS1_30default_config_static_selectorELNS0_4arch9wavefront6targetE0EEEvSP_ ; -- Begin function _ZN7rocprim17ROCPRIM_400000_NS6detail17trampoline_kernelINS0_14default_configENS1_32segmented_reduce_config_selectorIdEEZNS1_21segmented_reduce_implIS3_PKdPdPKldN6hipcub16HIPCUB_304000_NS6detail27convert_result_type_wrapperIS8_S9_N2at6native12_GLOBAL__N_19CustomSumEEEEE10hipError_tPvRmT0_T1_jT2_SQ_T4_T3_P12ihipStream_tbEUlT_E_NS1_11comp_targetILNS1_3genE0ELNS1_11target_archE4294967295ELNS1_3gpuE0ELNS1_3repE0EEENS1_30default_config_static_selectorELNS0_4arch9wavefront6targetE0EEEvSP_
	.p2align	8
	.type	_ZN7rocprim17ROCPRIM_400000_NS6detail17trampoline_kernelINS0_14default_configENS1_32segmented_reduce_config_selectorIdEEZNS1_21segmented_reduce_implIS3_PKdPdPKldN6hipcub16HIPCUB_304000_NS6detail27convert_result_type_wrapperIS8_S9_N2at6native12_GLOBAL__N_19CustomSumEEEEE10hipError_tPvRmT0_T1_jT2_SQ_T4_T3_P12ihipStream_tbEUlT_E_NS1_11comp_targetILNS1_3genE0ELNS1_11target_archE4294967295ELNS1_3gpuE0ELNS1_3repE0EEENS1_30default_config_static_selectorELNS0_4arch9wavefront6targetE0EEEvSP_,@function
_ZN7rocprim17ROCPRIM_400000_NS6detail17trampoline_kernelINS0_14default_configENS1_32segmented_reduce_config_selectorIdEEZNS1_21segmented_reduce_implIS3_PKdPdPKldN6hipcub16HIPCUB_304000_NS6detail27convert_result_type_wrapperIS8_S9_N2at6native12_GLOBAL__N_19CustomSumEEEEE10hipError_tPvRmT0_T1_jT2_SQ_T4_T3_P12ihipStream_tbEUlT_E_NS1_11comp_targetILNS1_3genE0ELNS1_11target_archE4294967295ELNS1_3gpuE0ELNS1_3repE0EEENS1_30default_config_static_selectorELNS0_4arch9wavefront6targetE0EEEvSP_: ; @_ZN7rocprim17ROCPRIM_400000_NS6detail17trampoline_kernelINS0_14default_configENS1_32segmented_reduce_config_selectorIdEEZNS1_21segmented_reduce_implIS3_PKdPdPKldN6hipcub16HIPCUB_304000_NS6detail27convert_result_type_wrapperIS8_S9_N2at6native12_GLOBAL__N_19CustomSumEEEEE10hipError_tPvRmT0_T1_jT2_SQ_T4_T3_P12ihipStream_tbEUlT_E_NS1_11comp_targetILNS1_3genE0ELNS1_11target_archE4294967295ELNS1_3gpuE0ELNS1_3repE0EEENS1_30default_config_static_selectorELNS0_4arch9wavefront6targetE0EEEvSP_
; %bb.0:
	s_clause 0x1
	s_load_b256 s[8:15], s[0:1], 0x0
	s_load_b64 s[2:3], s[0:1], 0x20
	s_bfe_u32 s4, ttmp6, 0x4000c
	s_and_b32 s5, ttmp6, 15
	s_add_co_i32 s4, s4, 1
	s_getreg_b32 s6, hwreg(HW_REG_IB_STS2, 6, 4)
	s_mul_i32 s4, ttmp9, s4
	s_load_b64 s[18:19], s[0:1], 0x30
	s_add_co_i32 s5, s5, s4
	s_mov_b32 s7, 0
	s_wait_kmcnt 0x0
	s_lshl_b64 s[16:17], s[12:13], 3
	s_cmp_eq_u32 s6, 0
	s_add_nc_u64 s[0:1], s[14:15], s[16:17]
	s_cselect_b32 s12, ttmp9, s5
	s_add_nc_u64 s[2:3], s[2:3], s[16:17]
	s_load_b64 s[20:21], s[0:1], s12 offset:0x0 scale_offset
	s_load_b64 s[14:15], s[2:3], s12 offset:0x0 scale_offset
	s_mov_b32 s13, 0
	s_wait_xcnt 0x0
	s_mov_b32 s1, -1
	s_wait_kmcnt 0x0
	v_cmp_gt_i64_e64 s0, s[14:15], s[20:21]
	s_and_b32 vcc_lo, exec_lo, s0
	v_cmp_eq_u32_e64 s0, 0, v0
	s_cbranch_vccnz .LBB153_2
; %bb.1:
	s_mov_b32 s1, 0
	s_and_b32 s7, s0, exec_lo
.LBB153_2:
	s_and_not1_b32 vcc_lo, exec_lo, s1
	s_cbranch_vccnz .LBB153_28
; %bb.3:
	s_add_nc_u64 s[0:1], s[20:21], 0x800
	s_delay_alu instid0(SALU_CYCLE_1)
	v_cmp_le_i64_e64 s2, s[0:1], s[14:15]
	s_and_b32 vcc_lo, exec_lo, s2
	s_cbranch_vccz .LBB153_29
; %bb.4:
	s_lshl_b64 s[2:3], s[20:21], 3
	s_add_nc_u64 s[4:5], s[20:21], 0x1000
	s_add_nc_u64 s[2:3], s[8:9], s[2:3]
	v_cmp_ge_i64_e64 s4, s[4:5], s[14:15]
	s_clause 0x7
	global_load_b64 v[16:17], v0, s[2:3] scale_offset
	global_load_b64 v[14:15], v0, s[2:3] offset:2048 scale_offset
	global_load_b64 v[12:13], v0, s[2:3] offset:4096 scale_offset
	;; [unrolled: 1-line block ×7, first 2 shown]
	v_mov_b32_e32 v21, 0
	s_and_b32 vcc_lo, exec_lo, s4
	s_wait_loadcnt 0x6
	v_add_f64_e32 v[18:19], v[16:17], v[14:15]
	s_wait_loadcnt 0x5
	s_delay_alu instid0(VALU_DEP_1) | instskip(SKIP_1) | instid1(VALU_DEP_1)
	v_add_f64_e32 v[18:19], v[18:19], v[12:13]
	s_wait_loadcnt 0x4
	v_add_f64_e32 v[18:19], v[18:19], v[10:11]
	s_wait_loadcnt 0x3
	s_delay_alu instid0(VALU_DEP_1) | instskip(SKIP_1) | instid1(VALU_DEP_1)
	v_add_f64_e32 v[18:19], v[18:19], v[8:9]
	;; [unrolled: 5-line block ×3, first 2 shown]
	s_wait_loadcnt 0x0
	v_add_f64_e32 v[18:19], v[18:19], v[2:3]
	s_cbranch_vccnz .LBB153_7
; %bb.5:
	v_lshlrev_b32_e32 v20, 3, v0
	s_delay_alu instid0(VALU_DEP_1) | instskip(NEXT) | instid1(VALU_DEP_1)
	v_add_nc_u64_e32 v[2:3], s[2:3], v[20:21]
	v_add_nc_u64_e32 v[20:21], 0x4000, v[2:3]
.LBB153_6:                              ; =>This Inner Loop Header: Depth=1
	s_clause 0x7
	global_load_b64 v[16:17], v[20:21], off
	global_load_b64 v[14:15], v[20:21], off offset:2048
	global_load_b64 v[12:13], v[20:21], off offset:4096
	;; [unrolled: 1-line block ×7, first 2 shown]
	s_add_nc_u64 s[2:3], s[0:1], 0x1000
	s_wait_xcnt 0x0
	v_add_nc_u64_e32 v[20:21], 0x4000, v[20:21]
	v_cmp_lt_i64_e64 s2, s[2:3], s[14:15]
	s_add_nc_u64 s[0:1], s[0:1], 0x800
	s_and_b32 vcc_lo, exec_lo, s2
	s_wait_loadcnt 0x7
	v_add_f64_e32 v[18:19], v[18:19], v[16:17]
	s_wait_loadcnt 0x6
	s_delay_alu instid0(VALU_DEP_1) | instskip(SKIP_1) | instid1(VALU_DEP_1)
	v_add_f64_e32 v[18:19], v[18:19], v[14:15]
	s_wait_loadcnt 0x5
	v_add_f64_e32 v[18:19], v[18:19], v[12:13]
	s_wait_loadcnt 0x4
	s_delay_alu instid0(VALU_DEP_1) | instskip(SKIP_1) | instid1(VALU_DEP_1)
	v_add_f64_e32 v[18:19], v[18:19], v[10:11]
	;; [unrolled: 5-line block ×3, first 2 shown]
	s_wait_loadcnt 0x1
	v_add_f64_e32 v[18:19], v[18:19], v[4:5]
	s_wait_loadcnt 0x0
	s_delay_alu instid0(VALU_DEP_1)
	v_add_f64_e32 v[18:19], v[18:19], v[2:3]
	s_cbranch_vccnz .LBB153_6
.LBB153_7:
	s_sub_co_i32 s6, s14, s0
	s_lshl_b64 s[0:1], s[0:1], 3
	v_cmp_gt_u32_e32 vcc_lo, s6, v0
	s_add_nc_u64 s[22:23], s[8:9], s[0:1]
	s_and_saveexec_b32 s0, vcc_lo
	s_cbranch_execz .LBB153_9
; %bb.8:
	global_load_b64 v[16:17], v0, s[22:23] scale_offset
.LBB153_9:
	s_wait_xcnt 0x0
	s_or_b32 exec_lo, exec_lo, s0
	v_or_b32_e32 v1, 0x100, v0
	s_delay_alu instid0(VALU_DEP_1)
	v_cmp_gt_u32_e64 s0, s6, v1
	s_and_saveexec_b32 s1, s0
	s_cbranch_execz .LBB153_11
; %bb.10:
	global_load_b64 v[14:15], v0, s[22:23] offset:2048 scale_offset
.LBB153_11:
	s_wait_xcnt 0x0
	s_or_b32 exec_lo, exec_lo, s1
	v_or_b32_e32 v1, 0x200, v0
	s_delay_alu instid0(VALU_DEP_1)
	v_cmp_gt_u32_e64 s1, s6, v1
	s_and_saveexec_b32 s2, s1
	s_cbranch_execz .LBB153_13
; %bb.12:
	global_load_b64 v[12:13], v0, s[22:23] offset:4096 scale_offset
.LBB153_13:
	;; [unrolled: 10-line block ×7, first 2 shown]
	s_wait_xcnt 0x0
	s_or_b32 exec_lo, exec_lo, s24
	s_wait_loadcnt 0x0
	v_dual_add_f64 v[16:17], v[18:19], v[16:17] :: v_dual_mov_b32 v1, 0
	s_delay_alu instid0(VALU_DEP_1) | instskip(NEXT) | instid1(VALU_DEP_1)
	v_dual_cndmask_b32 v17, v19, v17 :: v_dual_cndmask_b32 v16, v18, v16
	v_add_f64_e32 v[14:15], v[14:15], v[16:17]
	s_delay_alu instid0(VALU_DEP_1) | instskip(SKIP_1) | instid1(VALU_DEP_1)
	v_dual_cndmask_b32 v15, v17, v15, s0 :: v_dual_cndmask_b32 v14, v16, v14, s0
	s_mov_b32 s0, exec_lo
	v_add_f64_e32 v[12:13], v[12:13], v[14:15]
	s_delay_alu instid0(VALU_DEP_1) | instskip(NEXT) | instid1(VALU_DEP_1)
	v_dual_cndmask_b32 v13, v15, v13, s1 :: v_dual_cndmask_b32 v12, v14, v12, s1
	v_add_f64_e32 v[10:11], v[10:11], v[12:13]
	s_delay_alu instid0(VALU_DEP_1) | instskip(NEXT) | instid1(VALU_DEP_1)
	v_dual_cndmask_b32 v11, v13, v11, s2 :: v_dual_cndmask_b32 v10, v12, v10, s2
	;; [unrolled: 3-line block ×6, first 2 shown]
	v_mov_b32_dpp v5, v3 quad_perm:[1,0,3,2] row_mask:0xf bank_mask:0xf
	s_delay_alu instid0(VALU_DEP_2) | instskip(NEXT) | instid1(VALU_DEP_1)
	v_mov_b32_dpp v4, v2 quad_perm:[1,0,3,2] row_mask:0xf bank_mask:0xf
	v_add_f64_e32 v[2:3], v[2:3], v[4:5]
	s_delay_alu instid0(VALU_DEP_1) | instskip(NEXT) | instid1(VALU_DEP_2)
	v_mov_b32_dpp v4, v2 quad_perm:[2,3,0,1] row_mask:0xf bank_mask:0xf
	v_mov_b32_dpp v5, v3 quad_perm:[2,3,0,1] row_mask:0xf bank_mask:0xf
	s_delay_alu instid0(VALU_DEP_1) | instskip(NEXT) | instid1(VALU_DEP_1)
	v_add_f64_e32 v[2:3], v[2:3], v[4:5]
	v_mov_b32_dpp v4, v2 row_ror:4 row_mask:0xf bank_mask:0xf
	s_delay_alu instid0(VALU_DEP_2) | instskip(NEXT) | instid1(VALU_DEP_1)
	v_mov_b32_dpp v5, v3 row_ror:4 row_mask:0xf bank_mask:0xf
	v_add_f64_e32 v[2:3], v[2:3], v[4:5]
	s_delay_alu instid0(VALU_DEP_1) | instskip(NEXT) | instid1(VALU_DEP_2)
	v_mov_b32_dpp v4, v2 row_ror:8 row_mask:0xf bank_mask:0xf
	v_mov_b32_dpp v5, v3 row_ror:8 row_mask:0xf bank_mask:0xf
	s_delay_alu instid0(VALU_DEP_1)
	v_add_f64_e32 v[2:3], v[2:3], v[4:5]
	ds_swizzle_b32 v4, v2 offset:swizzle(BROADCAST,32,15)
	ds_swizzle_b32 v5, v3 offset:swizzle(BROADCAST,32,15)
	s_wait_dscnt 0x0
	v_add_f64_e32 v[2:3], v[2:3], v[4:5]
	ds_bpermute_b32 v2, v1, v2 offset:124
	ds_bpermute_b32 v3, v1, v3 offset:124
	v_mbcnt_lo_u32_b32 v1, -1, 0
	s_delay_alu instid0(VALU_DEP_1)
	v_cmpx_eq_u32_e32 0, v1
	s_cbranch_execz .LBB153_25
; %bb.24:
	v_lshrrev_b32_e32 v4, 2, v0
	s_delay_alu instid0(VALU_DEP_1)
	v_and_b32_e32 v4, 56, v4
	s_wait_dscnt 0x0
	ds_store_b64 v4, v[2:3]
.LBB153_25:
	s_or_b32 exec_lo, exec_lo, s0
	s_delay_alu instid0(SALU_CYCLE_1)
	s_mov_b32 s0, exec_lo
	s_wait_dscnt 0x0
	s_barrier_signal -1
	s_barrier_wait -1
	v_cmpx_gt_u32_e32 32, v0
	s_cbranch_execz .LBB153_27
; %bb.26:
	v_and_b32_e32 v6, 7, v1
	s_delay_alu instid0(VALU_DEP_1) | instskip(SKIP_1) | instid1(VALU_DEP_1)
	v_cmp_ne_u32_e32 vcc_lo, 7, v6
	v_add_co_ci_u32_e64 v4, null, 0, v1, vcc_lo
	v_dual_lshlrev_b32 v5, 2, v4 :: v_dual_lshlrev_b32 v2, 3, v6
	v_cmp_gt_u32_e32 vcc_lo, 6, v6
	ds_load_b64 v[2:3], v2
	s_wait_dscnt 0x0
	ds_bpermute_b32 v4, v5, v2
	ds_bpermute_b32 v5, v5, v3
	s_wait_dscnt 0x0
	v_add_f64_e32 v[2:3], v[2:3], v[4:5]
	v_cndmask_b32_e64 v4, 0, 2, vcc_lo
	s_delay_alu instid0(VALU_DEP_1) | instskip(SKIP_1) | instid1(VALU_DEP_1)
	v_add_lshl_u32 v5, v4, v1, 2
	v_lshlrev_b32_e32 v1, 2, v1
	v_or_b32_e32 v1, 16, v1
	ds_bpermute_b32 v4, v5, v2
	ds_bpermute_b32 v5, v5, v3
	s_wait_dscnt 0x0
	v_add_f64_e32 v[2:3], v[2:3], v[4:5]
	ds_bpermute_b32 v4, v1, v2
	ds_bpermute_b32 v5, v1, v3
	s_wait_dscnt 0x0
	v_add_f64_e32 v[2:3], v[2:3], v[4:5]
.LBB153_27:
	s_or_b32 exec_lo, exec_lo, s0
	s_branch .LBB153_64
.LBB153_28:
	v_mov_b64_e32 v[4:5], s[18:19]
	s_and_saveexec_b32 s0, s7
	s_cbranch_execnz .LBB153_67
	s_branch .LBB153_68
.LBB153_29:
                                        ; implicit-def: $vgpr2_vgpr3
	s_cbranch_execz .LBB153_64
; %bb.30:
	s_sub_co_i32 s0, s14, s20
	s_mov_b32 s1, exec_lo
                                        ; implicit-def: $vgpr4_vgpr5
	v_cmpx_gt_u32_e64 s0, v0
	s_cbranch_execz .LBB153_36
; %bb.31:
	v_mov_b32_e32 v1, 0
	s_mov_b32 s2, exec_lo
	s_delay_alu instid0(VALU_DEP_1) | instskip(NEXT) | instid1(VALU_DEP_1)
	v_add_nc_u64_e32 v[2:3], s[20:21], v[0:1]
	v_lshl_add_u64 v[6:7], v[2:3], 3, s[8:9]
	v_add_nc_u64_e32 v[2:3], 0x100, v[2:3]
	global_load_b64 v[4:5], v[6:7], off
	s_wait_xcnt 0x0
	v_cmpx_gt_i64_e64 s[14:15], v[2:3]
	s_cbranch_execz .LBB153_35
; %bb.32:
	v_add_nc_u64_e32 v[6:7], 0x800, v[6:7]
	s_mov_b32 s3, 0
.LBB153_33:                             ; =>This Inner Loop Header: Depth=1
	global_load_b64 v[8:9], v[6:7], off
	v_add_nc_u64_e32 v[2:3], 0x100, v[2:3]
	s_wait_xcnt 0x0
	v_add_nc_u64_e32 v[6:7], 0x800, v[6:7]
	s_delay_alu instid0(VALU_DEP_2)
	v_cmp_le_i64_e32 vcc_lo, s[14:15], v[2:3]
	s_or_b32 s3, vcc_lo, s3
	s_wait_loadcnt 0x0
	v_add_f64_e32 v[4:5], v[4:5], v[8:9]
	s_and_not1_b32 exec_lo, exec_lo, s3
	s_cbranch_execnz .LBB153_33
; %bb.34:
	s_or_b32 exec_lo, exec_lo, s3
.LBB153_35:
	s_delay_alu instid0(SALU_CYCLE_1)
	s_or_b32 exec_lo, exec_lo, s2
.LBB153_36:
	s_delay_alu instid0(SALU_CYCLE_1)
	s_or_b32 exec_lo, exec_lo, s1
	v_mbcnt_lo_u32_b32 v1, -1, 0
	s_cmp_lt_u32 s0, 0x100
	s_cbranch_scc0 .LBB153_58
; %bb.37:
	s_delay_alu instid0(VALU_DEP_1) | instskip(SKIP_1) | instid1(VALU_DEP_3)
	v_cmp_ne_u32_e32 vcc_lo, 31, v1
	s_wait_loadcnt 0x0
	v_dual_mov_b32 v10, v5 :: v_dual_mov_b32 v11, v4
	v_add_co_ci_u32_e64 v2, null, 0, v1, vcc_lo
	s_delay_alu instid0(VALU_DEP_1) | instskip(SKIP_3) | instid1(VALU_DEP_1)
	v_lshlrev_b32_e32 v2, 2, v2
	ds_bpermute_b32 v6, v2, v4
	ds_bpermute_b32 v7, v2, v5
	v_and_b32_e32 v2, 0xe0, v0
	v_sub_nc_u32_e64 v8, s0, v2 clamp
	v_add_nc_u32_e32 v2, 1, v1
	s_delay_alu instid0(VALU_DEP_1)
	v_cmp_lt_u32_e32 vcc_lo, v2, v8
	v_mov_b64_e32 v[2:3], v[4:5]
	s_and_saveexec_b32 s1, vcc_lo
	s_cbranch_execz .LBB153_39
; %bb.38:
	s_wait_dscnt 0x0
	v_add_f64_e32 v[2:3], v[4:5], v[6:7]
	s_delay_alu instid0(VALU_DEP_1)
	v_dual_mov_b32 v10, v3 :: v_dual_mov_b32 v11, v2
.LBB153_39:
	s_or_b32 exec_lo, exec_lo, s1
	v_cmp_gt_u32_e32 vcc_lo, 30, v1
	v_add_nc_u32_e32 v9, 2, v1
	s_mov_b32 s1, exec_lo
	s_wait_dscnt 0x1
	v_cndmask_b32_e64 v6, 0, 2, vcc_lo
	s_wait_dscnt 0x0
	s_delay_alu instid0(VALU_DEP_1)
	v_add_lshl_u32 v7, v6, v1, 2
	ds_bpermute_b32 v6, v7, v11
	ds_bpermute_b32 v7, v7, v10
	v_cmpx_lt_u32_e64 v9, v8
	s_cbranch_execz .LBB153_41
; %bb.40:
	s_wait_dscnt 0x0
	v_add_f64_e32 v[2:3], v[2:3], v[6:7]
	s_delay_alu instid0(VALU_DEP_1)
	v_dual_mov_b32 v10, v3 :: v_dual_mov_b32 v11, v2
.LBB153_41:
	s_or_b32 exec_lo, exec_lo, s1
	v_cmp_gt_u32_e32 vcc_lo, 28, v1
	v_add_nc_u32_e32 v9, 4, v1
	s_mov_b32 s1, exec_lo
	s_wait_dscnt 0x1
	v_cndmask_b32_e64 v6, 0, 4, vcc_lo
	s_wait_dscnt 0x0
	s_delay_alu instid0(VALU_DEP_1)
	v_add_lshl_u32 v7, v6, v1, 2
	ds_bpermute_b32 v6, v7, v11
	ds_bpermute_b32 v7, v7, v10
	v_cmpx_lt_u32_e64 v9, v8
	;; [unrolled: 19-line block ×3, first 2 shown]
	s_cbranch_execz .LBB153_45
; %bb.44:
	s_wait_dscnt 0x0
	v_add_f64_e32 v[2:3], v[2:3], v[6:7]
	s_delay_alu instid0(VALU_DEP_1)
	v_dual_mov_b32 v10, v3 :: v_dual_mov_b32 v11, v2
.LBB153_45:
	s_or_b32 exec_lo, exec_lo, s1
	v_lshlrev_b32_e32 v9, 2, v1
	s_mov_b32 s1, exec_lo
	s_wait_dscnt 0x0
	s_delay_alu instid0(VALU_DEP_1) | instskip(SKIP_3) | instid1(VALU_DEP_1)
	v_or_b32_e32 v7, 64, v9
	ds_bpermute_b32 v6, v7, v11
	ds_bpermute_b32 v7, v7, v10
	v_add_nc_u32_e32 v10, 16, v1
	v_cmpx_lt_u32_e64 v10, v8
	s_cbranch_execz .LBB153_47
; %bb.46:
	s_wait_dscnt 0x0
	v_add_f64_e32 v[2:3], v[2:3], v[6:7]
.LBB153_47:
	s_or_b32 exec_lo, exec_lo, s1
	s_delay_alu instid0(SALU_CYCLE_1)
	s_mov_b32 s1, exec_lo
	v_cmpx_eq_u32_e32 0, v1
	s_cbranch_execz .LBB153_49
; %bb.48:
	s_wait_dscnt 0x1
	v_lshrrev_b32_e32 v6, 2, v0
	s_delay_alu instid0(VALU_DEP_1)
	v_and_b32_e32 v6, 56, v6
	ds_store_b64 v6, v[2:3]
.LBB153_49:
	s_or_b32 exec_lo, exec_lo, s1
	s_delay_alu instid0(SALU_CYCLE_1)
	s_mov_b32 s1, exec_lo
	s_wait_dscnt 0x0
	s_barrier_signal -1
	s_barrier_wait -1
	v_cmpx_gt_u32_e32 8, v0
	s_cbranch_execz .LBB153_57
; %bb.50:
	v_dual_lshlrev_b32 v2, 3, v1 :: v_dual_bitop2_b32 v8, 7, v1 bitop3:0x40
	s_add_co_i32 s0, s0, 31
	s_mov_b32 s2, exec_lo
	s_lshr_b32 s0, s0, 5
	ds_load_b64 v[2:3], v2
	v_cmp_ne_u32_e32 vcc_lo, 7, v8
	v_add_nc_u32_e32 v10, 1, v8
	v_add_co_ci_u32_e64 v6, null, 0, v1, vcc_lo
	s_delay_alu instid0(VALU_DEP_1)
	v_lshlrev_b32_e32 v7, 2, v6
	s_wait_dscnt 0x0
	ds_bpermute_b32 v6, v7, v2
	ds_bpermute_b32 v7, v7, v3
	v_cmpx_gt_u32_e64 s0, v10
	s_cbranch_execz .LBB153_52
; %bb.51:
	s_wait_dscnt 0x0
	v_add_f64_e32 v[2:3], v[2:3], v[6:7]
.LBB153_52:
	s_or_b32 exec_lo, exec_lo, s2
	v_cmp_gt_u32_e32 vcc_lo, 6, v8
	v_add_nc_u32_e32 v10, 2, v8
	s_mov_b32 s2, exec_lo
	s_wait_dscnt 0x1
	v_cndmask_b32_e64 v6, 0, 2, vcc_lo
	s_wait_dscnt 0x0
	s_delay_alu instid0(VALU_DEP_1)
	v_add_lshl_u32 v7, v6, v1, 2
	ds_bpermute_b32 v6, v7, v2
	ds_bpermute_b32 v7, v7, v3
	v_cmpx_gt_u32_e64 s0, v10
	s_cbranch_execz .LBB153_54
; %bb.53:
	s_wait_dscnt 0x0
	v_add_f64_e32 v[2:3], v[2:3], v[6:7]
.LBB153_54:
	s_or_b32 exec_lo, exec_lo, s2
	s_wait_dscnt 0x0
	v_dual_add_nc_u32 v8, 4, v8 :: v_dual_bitop2_b32 v7, 16, v9 bitop3:0x54
	ds_bpermute_b32 v6, v7, v2
	ds_bpermute_b32 v7, v7, v3
	v_cmp_gt_u32_e32 vcc_lo, s0, v8
	s_and_saveexec_b32 s0, vcc_lo
	s_cbranch_execz .LBB153_56
; %bb.55:
	s_wait_dscnt 0x0
	v_add_f64_e32 v[2:3], v[2:3], v[6:7]
.LBB153_56:
	s_or_b32 exec_lo, exec_lo, s0
.LBB153_57:
	s_delay_alu instid0(SALU_CYCLE_1)
	s_or_b32 exec_lo, exec_lo, s1
	s_branch .LBB153_64
.LBB153_58:
                                        ; implicit-def: $vgpr2_vgpr3
	s_cbranch_execz .LBB153_64
; %bb.59:
	s_wait_loadcnt 0x0
	s_delay_alu instid0(VALU_DEP_2) | instskip(NEXT) | instid1(VALU_DEP_3)
	v_mov_b32_dpp v2, v4 quad_perm:[1,0,3,2] row_mask:0xf bank_mask:0xf
	v_mov_b32_dpp v3, v5 quad_perm:[1,0,3,2] row_mask:0xf bank_mask:0xf
	s_mov_b32 s0, exec_lo
	s_delay_alu instid0(VALU_DEP_1) | instskip(NEXT) | instid1(VALU_DEP_1)
	v_add_f64_e32 v[2:3], v[4:5], v[2:3]
	v_mov_b32_dpp v4, v2 quad_perm:[2,3,0,1] row_mask:0xf bank_mask:0xf
	s_delay_alu instid0(VALU_DEP_2) | instskip(NEXT) | instid1(VALU_DEP_1)
	v_mov_b32_dpp v5, v3 quad_perm:[2,3,0,1] row_mask:0xf bank_mask:0xf
	v_add_f64_e32 v[2:3], v[2:3], v[4:5]
	s_delay_alu instid0(VALU_DEP_1) | instskip(NEXT) | instid1(VALU_DEP_2)
	v_mov_b32_dpp v4, v2 row_ror:4 row_mask:0xf bank_mask:0xf
	v_mov_b32_dpp v5, v3 row_ror:4 row_mask:0xf bank_mask:0xf
	s_delay_alu instid0(VALU_DEP_1) | instskip(NEXT) | instid1(VALU_DEP_1)
	v_add_f64_e32 v[2:3], v[2:3], v[4:5]
	v_mov_b32_dpp v4, v2 row_ror:8 row_mask:0xf bank_mask:0xf
	s_delay_alu instid0(VALU_DEP_2) | instskip(NEXT) | instid1(VALU_DEP_1)
	v_mov_b32_dpp v5, v3 row_ror:8 row_mask:0xf bank_mask:0xf
	v_add_f64_e32 v[2:3], v[2:3], v[4:5]
	ds_swizzle_b32 v4, v2 offset:swizzle(BROADCAST,32,15)
	ds_swizzle_b32 v5, v3 offset:swizzle(BROADCAST,32,15)
	s_wait_dscnt 0x0
	v_dual_add_f64 v[2:3], v[2:3], v[4:5] :: v_dual_mov_b32 v4, 0
	ds_bpermute_b32 v2, v4, v2 offset:124
	ds_bpermute_b32 v3, v4, v3 offset:124
	v_cmpx_eq_u32_e32 0, v1
	s_cbranch_execz .LBB153_61
; %bb.60:
	v_lshrrev_b32_e32 v4, 2, v0
	s_delay_alu instid0(VALU_DEP_1)
	v_and_b32_e32 v4, 56, v4
	s_wait_dscnt 0x0
	ds_store_b64 v4, v[2:3]
.LBB153_61:
	s_or_b32 exec_lo, exec_lo, s0
	s_delay_alu instid0(SALU_CYCLE_1)
	s_mov_b32 s0, exec_lo
	s_wait_dscnt 0x0
	s_barrier_signal -1
	s_barrier_wait -1
	v_cmpx_gt_u32_e32 32, v0
	s_cbranch_execz .LBB153_63
; %bb.62:
	v_and_b32_e32 v6, 7, v1
	s_delay_alu instid0(VALU_DEP_1) | instskip(SKIP_1) | instid1(VALU_DEP_1)
	v_cmp_ne_u32_e32 vcc_lo, 7, v6
	v_add_co_ci_u32_e64 v4, null, 0, v1, vcc_lo
	v_dual_lshlrev_b32 v5, 2, v4 :: v_dual_lshlrev_b32 v2, 3, v6
	v_cmp_gt_u32_e32 vcc_lo, 6, v6
	ds_load_b64 v[2:3], v2
	s_wait_dscnt 0x0
	ds_bpermute_b32 v4, v5, v2
	ds_bpermute_b32 v5, v5, v3
	s_wait_dscnt 0x0
	v_add_f64_e32 v[2:3], v[2:3], v[4:5]
	v_cndmask_b32_e64 v4, 0, 2, vcc_lo
	s_delay_alu instid0(VALU_DEP_1) | instskip(SKIP_1) | instid1(VALU_DEP_1)
	v_add_lshl_u32 v5, v4, v1, 2
	v_lshlrev_b32_e32 v1, 2, v1
	v_or_b32_e32 v1, 16, v1
	ds_bpermute_b32 v4, v5, v2
	ds_bpermute_b32 v5, v5, v3
	s_wait_dscnt 0x0
	v_add_f64_e32 v[2:3], v[2:3], v[4:5]
	ds_bpermute_b32 v4, v1, v2
	ds_bpermute_b32 v5, v1, v3
	s_wait_dscnt 0x0
	v_add_f64_e32 v[2:3], v[2:3], v[4:5]
.LBB153_63:
	s_or_b32 exec_lo, exec_lo, s0
.LBB153_64:
	s_delay_alu instid0(SALU_CYCLE_1)
	s_mov_b32 s0, exec_lo
                                        ; implicit-def: $vgpr4_vgpr5
	v_cmpx_eq_u32_e32 0, v0
	s_cbranch_execz .LBB153_66
; %bb.65:
	s_wait_loadcnt 0x0
	s_delay_alu instid0(VALU_DEP_2)
	v_add_f64_e32 v[4:5], s[18:19], v[2:3]
	s_or_b32 s7, s7, exec_lo
.LBB153_66:
	s_or_b32 exec_lo, exec_lo, s0
	s_and_saveexec_b32 s0, s7
	s_cbranch_execz .LBB153_68
.LBB153_67:
	v_mov_b32_e32 v0, 0
	s_add_nc_u64 s[0:1], s[10:11], s[16:17]
	s_lshl_b64 s[2:3], s[12:13], 3
	s_delay_alu instid0(SALU_CYCLE_1)
	s_add_nc_u64 s[0:1], s[0:1], s[2:3]
	s_wait_loadcnt 0x0
	global_store_b64 v0, v[4:5], s[0:1]
.LBB153_68:
	s_endpgm
	.section	.rodata,"a",@progbits
	.p2align	6, 0x0
	.amdhsa_kernel _ZN7rocprim17ROCPRIM_400000_NS6detail17trampoline_kernelINS0_14default_configENS1_32segmented_reduce_config_selectorIdEEZNS1_21segmented_reduce_implIS3_PKdPdPKldN6hipcub16HIPCUB_304000_NS6detail27convert_result_type_wrapperIS8_S9_N2at6native12_GLOBAL__N_19CustomSumEEEEE10hipError_tPvRmT0_T1_jT2_SQ_T4_T3_P12ihipStream_tbEUlT_E_NS1_11comp_targetILNS1_3genE0ELNS1_11target_archE4294967295ELNS1_3gpuE0ELNS1_3repE0EEENS1_30default_config_static_selectorELNS0_4arch9wavefront6targetE0EEEvSP_
		.amdhsa_group_segment_fixed_size 64
		.amdhsa_private_segment_fixed_size 0
		.amdhsa_kernarg_size 56
		.amdhsa_user_sgpr_count 2
		.amdhsa_user_sgpr_dispatch_ptr 0
		.amdhsa_user_sgpr_queue_ptr 0
		.amdhsa_user_sgpr_kernarg_segment_ptr 1
		.amdhsa_user_sgpr_dispatch_id 0
		.amdhsa_user_sgpr_kernarg_preload_length 0
		.amdhsa_user_sgpr_kernarg_preload_offset 0
		.amdhsa_user_sgpr_private_segment_size 0
		.amdhsa_wavefront_size32 1
		.amdhsa_uses_dynamic_stack 0
		.amdhsa_enable_private_segment 0
		.amdhsa_system_sgpr_workgroup_id_x 1
		.amdhsa_system_sgpr_workgroup_id_y 0
		.amdhsa_system_sgpr_workgroup_id_z 0
		.amdhsa_system_sgpr_workgroup_info 0
		.amdhsa_system_vgpr_workitem_id 0
		.amdhsa_next_free_vgpr 22
		.amdhsa_next_free_sgpr 25
		.amdhsa_named_barrier_count 0
		.amdhsa_reserve_vcc 1
		.amdhsa_float_round_mode_32 0
		.amdhsa_float_round_mode_16_64 0
		.amdhsa_float_denorm_mode_32 3
		.amdhsa_float_denorm_mode_16_64 3
		.amdhsa_fp16_overflow 0
		.amdhsa_memory_ordered 1
		.amdhsa_forward_progress 1
		.amdhsa_inst_pref_size 24
		.amdhsa_round_robin_scheduling 0
		.amdhsa_exception_fp_ieee_invalid_op 0
		.amdhsa_exception_fp_denorm_src 0
		.amdhsa_exception_fp_ieee_div_zero 0
		.amdhsa_exception_fp_ieee_overflow 0
		.amdhsa_exception_fp_ieee_underflow 0
		.amdhsa_exception_fp_ieee_inexact 0
		.amdhsa_exception_int_div_zero 0
	.end_amdhsa_kernel
	.section	.text._ZN7rocprim17ROCPRIM_400000_NS6detail17trampoline_kernelINS0_14default_configENS1_32segmented_reduce_config_selectorIdEEZNS1_21segmented_reduce_implIS3_PKdPdPKldN6hipcub16HIPCUB_304000_NS6detail27convert_result_type_wrapperIS8_S9_N2at6native12_GLOBAL__N_19CustomSumEEEEE10hipError_tPvRmT0_T1_jT2_SQ_T4_T3_P12ihipStream_tbEUlT_E_NS1_11comp_targetILNS1_3genE0ELNS1_11target_archE4294967295ELNS1_3gpuE0ELNS1_3repE0EEENS1_30default_config_static_selectorELNS0_4arch9wavefront6targetE0EEEvSP_,"axG",@progbits,_ZN7rocprim17ROCPRIM_400000_NS6detail17trampoline_kernelINS0_14default_configENS1_32segmented_reduce_config_selectorIdEEZNS1_21segmented_reduce_implIS3_PKdPdPKldN6hipcub16HIPCUB_304000_NS6detail27convert_result_type_wrapperIS8_S9_N2at6native12_GLOBAL__N_19CustomSumEEEEE10hipError_tPvRmT0_T1_jT2_SQ_T4_T3_P12ihipStream_tbEUlT_E_NS1_11comp_targetILNS1_3genE0ELNS1_11target_archE4294967295ELNS1_3gpuE0ELNS1_3repE0EEENS1_30default_config_static_selectorELNS0_4arch9wavefront6targetE0EEEvSP_,comdat
.Lfunc_end153:
	.size	_ZN7rocprim17ROCPRIM_400000_NS6detail17trampoline_kernelINS0_14default_configENS1_32segmented_reduce_config_selectorIdEEZNS1_21segmented_reduce_implIS3_PKdPdPKldN6hipcub16HIPCUB_304000_NS6detail27convert_result_type_wrapperIS8_S9_N2at6native12_GLOBAL__N_19CustomSumEEEEE10hipError_tPvRmT0_T1_jT2_SQ_T4_T3_P12ihipStream_tbEUlT_E_NS1_11comp_targetILNS1_3genE0ELNS1_11target_archE4294967295ELNS1_3gpuE0ELNS1_3repE0EEENS1_30default_config_static_selectorELNS0_4arch9wavefront6targetE0EEEvSP_, .Lfunc_end153-_ZN7rocprim17ROCPRIM_400000_NS6detail17trampoline_kernelINS0_14default_configENS1_32segmented_reduce_config_selectorIdEEZNS1_21segmented_reduce_implIS3_PKdPdPKldN6hipcub16HIPCUB_304000_NS6detail27convert_result_type_wrapperIS8_S9_N2at6native12_GLOBAL__N_19CustomSumEEEEE10hipError_tPvRmT0_T1_jT2_SQ_T4_T3_P12ihipStream_tbEUlT_E_NS1_11comp_targetILNS1_3genE0ELNS1_11target_archE4294967295ELNS1_3gpuE0ELNS1_3repE0EEENS1_30default_config_static_selectorELNS0_4arch9wavefront6targetE0EEEvSP_
                                        ; -- End function
	.set _ZN7rocprim17ROCPRIM_400000_NS6detail17trampoline_kernelINS0_14default_configENS1_32segmented_reduce_config_selectorIdEEZNS1_21segmented_reduce_implIS3_PKdPdPKldN6hipcub16HIPCUB_304000_NS6detail27convert_result_type_wrapperIS8_S9_N2at6native12_GLOBAL__N_19CustomSumEEEEE10hipError_tPvRmT0_T1_jT2_SQ_T4_T3_P12ihipStream_tbEUlT_E_NS1_11comp_targetILNS1_3genE0ELNS1_11target_archE4294967295ELNS1_3gpuE0ELNS1_3repE0EEENS1_30default_config_static_selectorELNS0_4arch9wavefront6targetE0EEEvSP_.num_vgpr, 22
	.set _ZN7rocprim17ROCPRIM_400000_NS6detail17trampoline_kernelINS0_14default_configENS1_32segmented_reduce_config_selectorIdEEZNS1_21segmented_reduce_implIS3_PKdPdPKldN6hipcub16HIPCUB_304000_NS6detail27convert_result_type_wrapperIS8_S9_N2at6native12_GLOBAL__N_19CustomSumEEEEE10hipError_tPvRmT0_T1_jT2_SQ_T4_T3_P12ihipStream_tbEUlT_E_NS1_11comp_targetILNS1_3genE0ELNS1_11target_archE4294967295ELNS1_3gpuE0ELNS1_3repE0EEENS1_30default_config_static_selectorELNS0_4arch9wavefront6targetE0EEEvSP_.num_agpr, 0
	.set _ZN7rocprim17ROCPRIM_400000_NS6detail17trampoline_kernelINS0_14default_configENS1_32segmented_reduce_config_selectorIdEEZNS1_21segmented_reduce_implIS3_PKdPdPKldN6hipcub16HIPCUB_304000_NS6detail27convert_result_type_wrapperIS8_S9_N2at6native12_GLOBAL__N_19CustomSumEEEEE10hipError_tPvRmT0_T1_jT2_SQ_T4_T3_P12ihipStream_tbEUlT_E_NS1_11comp_targetILNS1_3genE0ELNS1_11target_archE4294967295ELNS1_3gpuE0ELNS1_3repE0EEENS1_30default_config_static_selectorELNS0_4arch9wavefront6targetE0EEEvSP_.numbered_sgpr, 25
	.set _ZN7rocprim17ROCPRIM_400000_NS6detail17trampoline_kernelINS0_14default_configENS1_32segmented_reduce_config_selectorIdEEZNS1_21segmented_reduce_implIS3_PKdPdPKldN6hipcub16HIPCUB_304000_NS6detail27convert_result_type_wrapperIS8_S9_N2at6native12_GLOBAL__N_19CustomSumEEEEE10hipError_tPvRmT0_T1_jT2_SQ_T4_T3_P12ihipStream_tbEUlT_E_NS1_11comp_targetILNS1_3genE0ELNS1_11target_archE4294967295ELNS1_3gpuE0ELNS1_3repE0EEENS1_30default_config_static_selectorELNS0_4arch9wavefront6targetE0EEEvSP_.num_named_barrier, 0
	.set _ZN7rocprim17ROCPRIM_400000_NS6detail17trampoline_kernelINS0_14default_configENS1_32segmented_reduce_config_selectorIdEEZNS1_21segmented_reduce_implIS3_PKdPdPKldN6hipcub16HIPCUB_304000_NS6detail27convert_result_type_wrapperIS8_S9_N2at6native12_GLOBAL__N_19CustomSumEEEEE10hipError_tPvRmT0_T1_jT2_SQ_T4_T3_P12ihipStream_tbEUlT_E_NS1_11comp_targetILNS1_3genE0ELNS1_11target_archE4294967295ELNS1_3gpuE0ELNS1_3repE0EEENS1_30default_config_static_selectorELNS0_4arch9wavefront6targetE0EEEvSP_.private_seg_size, 0
	.set _ZN7rocprim17ROCPRIM_400000_NS6detail17trampoline_kernelINS0_14default_configENS1_32segmented_reduce_config_selectorIdEEZNS1_21segmented_reduce_implIS3_PKdPdPKldN6hipcub16HIPCUB_304000_NS6detail27convert_result_type_wrapperIS8_S9_N2at6native12_GLOBAL__N_19CustomSumEEEEE10hipError_tPvRmT0_T1_jT2_SQ_T4_T3_P12ihipStream_tbEUlT_E_NS1_11comp_targetILNS1_3genE0ELNS1_11target_archE4294967295ELNS1_3gpuE0ELNS1_3repE0EEENS1_30default_config_static_selectorELNS0_4arch9wavefront6targetE0EEEvSP_.uses_vcc, 1
	.set _ZN7rocprim17ROCPRIM_400000_NS6detail17trampoline_kernelINS0_14default_configENS1_32segmented_reduce_config_selectorIdEEZNS1_21segmented_reduce_implIS3_PKdPdPKldN6hipcub16HIPCUB_304000_NS6detail27convert_result_type_wrapperIS8_S9_N2at6native12_GLOBAL__N_19CustomSumEEEEE10hipError_tPvRmT0_T1_jT2_SQ_T4_T3_P12ihipStream_tbEUlT_E_NS1_11comp_targetILNS1_3genE0ELNS1_11target_archE4294967295ELNS1_3gpuE0ELNS1_3repE0EEENS1_30default_config_static_selectorELNS0_4arch9wavefront6targetE0EEEvSP_.uses_flat_scratch, 0
	.set _ZN7rocprim17ROCPRIM_400000_NS6detail17trampoline_kernelINS0_14default_configENS1_32segmented_reduce_config_selectorIdEEZNS1_21segmented_reduce_implIS3_PKdPdPKldN6hipcub16HIPCUB_304000_NS6detail27convert_result_type_wrapperIS8_S9_N2at6native12_GLOBAL__N_19CustomSumEEEEE10hipError_tPvRmT0_T1_jT2_SQ_T4_T3_P12ihipStream_tbEUlT_E_NS1_11comp_targetILNS1_3genE0ELNS1_11target_archE4294967295ELNS1_3gpuE0ELNS1_3repE0EEENS1_30default_config_static_selectorELNS0_4arch9wavefront6targetE0EEEvSP_.has_dyn_sized_stack, 0
	.set _ZN7rocprim17ROCPRIM_400000_NS6detail17trampoline_kernelINS0_14default_configENS1_32segmented_reduce_config_selectorIdEEZNS1_21segmented_reduce_implIS3_PKdPdPKldN6hipcub16HIPCUB_304000_NS6detail27convert_result_type_wrapperIS8_S9_N2at6native12_GLOBAL__N_19CustomSumEEEEE10hipError_tPvRmT0_T1_jT2_SQ_T4_T3_P12ihipStream_tbEUlT_E_NS1_11comp_targetILNS1_3genE0ELNS1_11target_archE4294967295ELNS1_3gpuE0ELNS1_3repE0EEENS1_30default_config_static_selectorELNS0_4arch9wavefront6targetE0EEEvSP_.has_recursion, 0
	.set _ZN7rocprim17ROCPRIM_400000_NS6detail17trampoline_kernelINS0_14default_configENS1_32segmented_reduce_config_selectorIdEEZNS1_21segmented_reduce_implIS3_PKdPdPKldN6hipcub16HIPCUB_304000_NS6detail27convert_result_type_wrapperIS8_S9_N2at6native12_GLOBAL__N_19CustomSumEEEEE10hipError_tPvRmT0_T1_jT2_SQ_T4_T3_P12ihipStream_tbEUlT_E_NS1_11comp_targetILNS1_3genE0ELNS1_11target_archE4294967295ELNS1_3gpuE0ELNS1_3repE0EEENS1_30default_config_static_selectorELNS0_4arch9wavefront6targetE0EEEvSP_.has_indirect_call, 0
	.section	.AMDGPU.csdata,"",@progbits
; Kernel info:
; codeLenInByte = 3012
; TotalNumSgprs: 27
; NumVgprs: 22
; ScratchSize: 0
; MemoryBound: 1
; FloatMode: 240
; IeeeMode: 1
; LDSByteSize: 64 bytes/workgroup (compile time only)
; SGPRBlocks: 0
; VGPRBlocks: 1
; NumSGPRsForWavesPerEU: 27
; NumVGPRsForWavesPerEU: 22
; NamedBarCnt: 0
; Occupancy: 16
; WaveLimiterHint : 1
; COMPUTE_PGM_RSRC2:SCRATCH_EN: 0
; COMPUTE_PGM_RSRC2:USER_SGPR: 2
; COMPUTE_PGM_RSRC2:TRAP_HANDLER: 0
; COMPUTE_PGM_RSRC2:TGID_X_EN: 1
; COMPUTE_PGM_RSRC2:TGID_Y_EN: 0
; COMPUTE_PGM_RSRC2:TGID_Z_EN: 0
; COMPUTE_PGM_RSRC2:TIDIG_COMP_CNT: 0
	.section	.text._ZN7rocprim17ROCPRIM_400000_NS6detail17trampoline_kernelINS0_14default_configENS1_32segmented_reduce_config_selectorIdEEZNS1_21segmented_reduce_implIS3_PKdPdPKldN6hipcub16HIPCUB_304000_NS6detail27convert_result_type_wrapperIS8_S9_N2at6native12_GLOBAL__N_19CustomSumEEEEE10hipError_tPvRmT0_T1_jT2_SQ_T4_T3_P12ihipStream_tbEUlT_E_NS1_11comp_targetILNS1_3genE5ELNS1_11target_archE942ELNS1_3gpuE9ELNS1_3repE0EEENS1_30default_config_static_selectorELNS0_4arch9wavefront6targetE0EEEvSP_,"axG",@progbits,_ZN7rocprim17ROCPRIM_400000_NS6detail17trampoline_kernelINS0_14default_configENS1_32segmented_reduce_config_selectorIdEEZNS1_21segmented_reduce_implIS3_PKdPdPKldN6hipcub16HIPCUB_304000_NS6detail27convert_result_type_wrapperIS8_S9_N2at6native12_GLOBAL__N_19CustomSumEEEEE10hipError_tPvRmT0_T1_jT2_SQ_T4_T3_P12ihipStream_tbEUlT_E_NS1_11comp_targetILNS1_3genE5ELNS1_11target_archE942ELNS1_3gpuE9ELNS1_3repE0EEENS1_30default_config_static_selectorELNS0_4arch9wavefront6targetE0EEEvSP_,comdat
	.globl	_ZN7rocprim17ROCPRIM_400000_NS6detail17trampoline_kernelINS0_14default_configENS1_32segmented_reduce_config_selectorIdEEZNS1_21segmented_reduce_implIS3_PKdPdPKldN6hipcub16HIPCUB_304000_NS6detail27convert_result_type_wrapperIS8_S9_N2at6native12_GLOBAL__N_19CustomSumEEEEE10hipError_tPvRmT0_T1_jT2_SQ_T4_T3_P12ihipStream_tbEUlT_E_NS1_11comp_targetILNS1_3genE5ELNS1_11target_archE942ELNS1_3gpuE9ELNS1_3repE0EEENS1_30default_config_static_selectorELNS0_4arch9wavefront6targetE0EEEvSP_ ; -- Begin function _ZN7rocprim17ROCPRIM_400000_NS6detail17trampoline_kernelINS0_14default_configENS1_32segmented_reduce_config_selectorIdEEZNS1_21segmented_reduce_implIS3_PKdPdPKldN6hipcub16HIPCUB_304000_NS6detail27convert_result_type_wrapperIS8_S9_N2at6native12_GLOBAL__N_19CustomSumEEEEE10hipError_tPvRmT0_T1_jT2_SQ_T4_T3_P12ihipStream_tbEUlT_E_NS1_11comp_targetILNS1_3genE5ELNS1_11target_archE942ELNS1_3gpuE9ELNS1_3repE0EEENS1_30default_config_static_selectorELNS0_4arch9wavefront6targetE0EEEvSP_
	.p2align	8
	.type	_ZN7rocprim17ROCPRIM_400000_NS6detail17trampoline_kernelINS0_14default_configENS1_32segmented_reduce_config_selectorIdEEZNS1_21segmented_reduce_implIS3_PKdPdPKldN6hipcub16HIPCUB_304000_NS6detail27convert_result_type_wrapperIS8_S9_N2at6native12_GLOBAL__N_19CustomSumEEEEE10hipError_tPvRmT0_T1_jT2_SQ_T4_T3_P12ihipStream_tbEUlT_E_NS1_11comp_targetILNS1_3genE5ELNS1_11target_archE942ELNS1_3gpuE9ELNS1_3repE0EEENS1_30default_config_static_selectorELNS0_4arch9wavefront6targetE0EEEvSP_,@function
_ZN7rocprim17ROCPRIM_400000_NS6detail17trampoline_kernelINS0_14default_configENS1_32segmented_reduce_config_selectorIdEEZNS1_21segmented_reduce_implIS3_PKdPdPKldN6hipcub16HIPCUB_304000_NS6detail27convert_result_type_wrapperIS8_S9_N2at6native12_GLOBAL__N_19CustomSumEEEEE10hipError_tPvRmT0_T1_jT2_SQ_T4_T3_P12ihipStream_tbEUlT_E_NS1_11comp_targetILNS1_3genE5ELNS1_11target_archE942ELNS1_3gpuE9ELNS1_3repE0EEENS1_30default_config_static_selectorELNS0_4arch9wavefront6targetE0EEEvSP_: ; @_ZN7rocprim17ROCPRIM_400000_NS6detail17trampoline_kernelINS0_14default_configENS1_32segmented_reduce_config_selectorIdEEZNS1_21segmented_reduce_implIS3_PKdPdPKldN6hipcub16HIPCUB_304000_NS6detail27convert_result_type_wrapperIS8_S9_N2at6native12_GLOBAL__N_19CustomSumEEEEE10hipError_tPvRmT0_T1_jT2_SQ_T4_T3_P12ihipStream_tbEUlT_E_NS1_11comp_targetILNS1_3genE5ELNS1_11target_archE942ELNS1_3gpuE9ELNS1_3repE0EEENS1_30default_config_static_selectorELNS0_4arch9wavefront6targetE0EEEvSP_
; %bb.0:
	.section	.rodata,"a",@progbits
	.p2align	6, 0x0
	.amdhsa_kernel _ZN7rocprim17ROCPRIM_400000_NS6detail17trampoline_kernelINS0_14default_configENS1_32segmented_reduce_config_selectorIdEEZNS1_21segmented_reduce_implIS3_PKdPdPKldN6hipcub16HIPCUB_304000_NS6detail27convert_result_type_wrapperIS8_S9_N2at6native12_GLOBAL__N_19CustomSumEEEEE10hipError_tPvRmT0_T1_jT2_SQ_T4_T3_P12ihipStream_tbEUlT_E_NS1_11comp_targetILNS1_3genE5ELNS1_11target_archE942ELNS1_3gpuE9ELNS1_3repE0EEENS1_30default_config_static_selectorELNS0_4arch9wavefront6targetE0EEEvSP_
		.amdhsa_group_segment_fixed_size 0
		.amdhsa_private_segment_fixed_size 0
		.amdhsa_kernarg_size 56
		.amdhsa_user_sgpr_count 2
		.amdhsa_user_sgpr_dispatch_ptr 0
		.amdhsa_user_sgpr_queue_ptr 0
		.amdhsa_user_sgpr_kernarg_segment_ptr 1
		.amdhsa_user_sgpr_dispatch_id 0
		.amdhsa_user_sgpr_kernarg_preload_length 0
		.amdhsa_user_sgpr_kernarg_preload_offset 0
		.amdhsa_user_sgpr_private_segment_size 0
		.amdhsa_wavefront_size32 1
		.amdhsa_uses_dynamic_stack 0
		.amdhsa_enable_private_segment 0
		.amdhsa_system_sgpr_workgroup_id_x 1
		.amdhsa_system_sgpr_workgroup_id_y 0
		.amdhsa_system_sgpr_workgroup_id_z 0
		.amdhsa_system_sgpr_workgroup_info 0
		.amdhsa_system_vgpr_workitem_id 0
		.amdhsa_next_free_vgpr 1
		.amdhsa_next_free_sgpr 1
		.amdhsa_named_barrier_count 0
		.amdhsa_reserve_vcc 0
		.amdhsa_float_round_mode_32 0
		.amdhsa_float_round_mode_16_64 0
		.amdhsa_float_denorm_mode_32 3
		.amdhsa_float_denorm_mode_16_64 3
		.amdhsa_fp16_overflow 0
		.amdhsa_memory_ordered 1
		.amdhsa_forward_progress 1
		.amdhsa_inst_pref_size 0
		.amdhsa_round_robin_scheduling 0
		.amdhsa_exception_fp_ieee_invalid_op 0
		.amdhsa_exception_fp_denorm_src 0
		.amdhsa_exception_fp_ieee_div_zero 0
		.amdhsa_exception_fp_ieee_overflow 0
		.amdhsa_exception_fp_ieee_underflow 0
		.amdhsa_exception_fp_ieee_inexact 0
		.amdhsa_exception_int_div_zero 0
	.end_amdhsa_kernel
	.section	.text._ZN7rocprim17ROCPRIM_400000_NS6detail17trampoline_kernelINS0_14default_configENS1_32segmented_reduce_config_selectorIdEEZNS1_21segmented_reduce_implIS3_PKdPdPKldN6hipcub16HIPCUB_304000_NS6detail27convert_result_type_wrapperIS8_S9_N2at6native12_GLOBAL__N_19CustomSumEEEEE10hipError_tPvRmT0_T1_jT2_SQ_T4_T3_P12ihipStream_tbEUlT_E_NS1_11comp_targetILNS1_3genE5ELNS1_11target_archE942ELNS1_3gpuE9ELNS1_3repE0EEENS1_30default_config_static_selectorELNS0_4arch9wavefront6targetE0EEEvSP_,"axG",@progbits,_ZN7rocprim17ROCPRIM_400000_NS6detail17trampoline_kernelINS0_14default_configENS1_32segmented_reduce_config_selectorIdEEZNS1_21segmented_reduce_implIS3_PKdPdPKldN6hipcub16HIPCUB_304000_NS6detail27convert_result_type_wrapperIS8_S9_N2at6native12_GLOBAL__N_19CustomSumEEEEE10hipError_tPvRmT0_T1_jT2_SQ_T4_T3_P12ihipStream_tbEUlT_E_NS1_11comp_targetILNS1_3genE5ELNS1_11target_archE942ELNS1_3gpuE9ELNS1_3repE0EEENS1_30default_config_static_selectorELNS0_4arch9wavefront6targetE0EEEvSP_,comdat
.Lfunc_end154:
	.size	_ZN7rocprim17ROCPRIM_400000_NS6detail17trampoline_kernelINS0_14default_configENS1_32segmented_reduce_config_selectorIdEEZNS1_21segmented_reduce_implIS3_PKdPdPKldN6hipcub16HIPCUB_304000_NS6detail27convert_result_type_wrapperIS8_S9_N2at6native12_GLOBAL__N_19CustomSumEEEEE10hipError_tPvRmT0_T1_jT2_SQ_T4_T3_P12ihipStream_tbEUlT_E_NS1_11comp_targetILNS1_3genE5ELNS1_11target_archE942ELNS1_3gpuE9ELNS1_3repE0EEENS1_30default_config_static_selectorELNS0_4arch9wavefront6targetE0EEEvSP_, .Lfunc_end154-_ZN7rocprim17ROCPRIM_400000_NS6detail17trampoline_kernelINS0_14default_configENS1_32segmented_reduce_config_selectorIdEEZNS1_21segmented_reduce_implIS3_PKdPdPKldN6hipcub16HIPCUB_304000_NS6detail27convert_result_type_wrapperIS8_S9_N2at6native12_GLOBAL__N_19CustomSumEEEEE10hipError_tPvRmT0_T1_jT2_SQ_T4_T3_P12ihipStream_tbEUlT_E_NS1_11comp_targetILNS1_3genE5ELNS1_11target_archE942ELNS1_3gpuE9ELNS1_3repE0EEENS1_30default_config_static_selectorELNS0_4arch9wavefront6targetE0EEEvSP_
                                        ; -- End function
	.set _ZN7rocprim17ROCPRIM_400000_NS6detail17trampoline_kernelINS0_14default_configENS1_32segmented_reduce_config_selectorIdEEZNS1_21segmented_reduce_implIS3_PKdPdPKldN6hipcub16HIPCUB_304000_NS6detail27convert_result_type_wrapperIS8_S9_N2at6native12_GLOBAL__N_19CustomSumEEEEE10hipError_tPvRmT0_T1_jT2_SQ_T4_T3_P12ihipStream_tbEUlT_E_NS1_11comp_targetILNS1_3genE5ELNS1_11target_archE942ELNS1_3gpuE9ELNS1_3repE0EEENS1_30default_config_static_selectorELNS0_4arch9wavefront6targetE0EEEvSP_.num_vgpr, 0
	.set _ZN7rocprim17ROCPRIM_400000_NS6detail17trampoline_kernelINS0_14default_configENS1_32segmented_reduce_config_selectorIdEEZNS1_21segmented_reduce_implIS3_PKdPdPKldN6hipcub16HIPCUB_304000_NS6detail27convert_result_type_wrapperIS8_S9_N2at6native12_GLOBAL__N_19CustomSumEEEEE10hipError_tPvRmT0_T1_jT2_SQ_T4_T3_P12ihipStream_tbEUlT_E_NS1_11comp_targetILNS1_3genE5ELNS1_11target_archE942ELNS1_3gpuE9ELNS1_3repE0EEENS1_30default_config_static_selectorELNS0_4arch9wavefront6targetE0EEEvSP_.num_agpr, 0
	.set _ZN7rocprim17ROCPRIM_400000_NS6detail17trampoline_kernelINS0_14default_configENS1_32segmented_reduce_config_selectorIdEEZNS1_21segmented_reduce_implIS3_PKdPdPKldN6hipcub16HIPCUB_304000_NS6detail27convert_result_type_wrapperIS8_S9_N2at6native12_GLOBAL__N_19CustomSumEEEEE10hipError_tPvRmT0_T1_jT2_SQ_T4_T3_P12ihipStream_tbEUlT_E_NS1_11comp_targetILNS1_3genE5ELNS1_11target_archE942ELNS1_3gpuE9ELNS1_3repE0EEENS1_30default_config_static_selectorELNS0_4arch9wavefront6targetE0EEEvSP_.numbered_sgpr, 0
	.set _ZN7rocprim17ROCPRIM_400000_NS6detail17trampoline_kernelINS0_14default_configENS1_32segmented_reduce_config_selectorIdEEZNS1_21segmented_reduce_implIS3_PKdPdPKldN6hipcub16HIPCUB_304000_NS6detail27convert_result_type_wrapperIS8_S9_N2at6native12_GLOBAL__N_19CustomSumEEEEE10hipError_tPvRmT0_T1_jT2_SQ_T4_T3_P12ihipStream_tbEUlT_E_NS1_11comp_targetILNS1_3genE5ELNS1_11target_archE942ELNS1_3gpuE9ELNS1_3repE0EEENS1_30default_config_static_selectorELNS0_4arch9wavefront6targetE0EEEvSP_.num_named_barrier, 0
	.set _ZN7rocprim17ROCPRIM_400000_NS6detail17trampoline_kernelINS0_14default_configENS1_32segmented_reduce_config_selectorIdEEZNS1_21segmented_reduce_implIS3_PKdPdPKldN6hipcub16HIPCUB_304000_NS6detail27convert_result_type_wrapperIS8_S9_N2at6native12_GLOBAL__N_19CustomSumEEEEE10hipError_tPvRmT0_T1_jT2_SQ_T4_T3_P12ihipStream_tbEUlT_E_NS1_11comp_targetILNS1_3genE5ELNS1_11target_archE942ELNS1_3gpuE9ELNS1_3repE0EEENS1_30default_config_static_selectorELNS0_4arch9wavefront6targetE0EEEvSP_.private_seg_size, 0
	.set _ZN7rocprim17ROCPRIM_400000_NS6detail17trampoline_kernelINS0_14default_configENS1_32segmented_reduce_config_selectorIdEEZNS1_21segmented_reduce_implIS3_PKdPdPKldN6hipcub16HIPCUB_304000_NS6detail27convert_result_type_wrapperIS8_S9_N2at6native12_GLOBAL__N_19CustomSumEEEEE10hipError_tPvRmT0_T1_jT2_SQ_T4_T3_P12ihipStream_tbEUlT_E_NS1_11comp_targetILNS1_3genE5ELNS1_11target_archE942ELNS1_3gpuE9ELNS1_3repE0EEENS1_30default_config_static_selectorELNS0_4arch9wavefront6targetE0EEEvSP_.uses_vcc, 0
	.set _ZN7rocprim17ROCPRIM_400000_NS6detail17trampoline_kernelINS0_14default_configENS1_32segmented_reduce_config_selectorIdEEZNS1_21segmented_reduce_implIS3_PKdPdPKldN6hipcub16HIPCUB_304000_NS6detail27convert_result_type_wrapperIS8_S9_N2at6native12_GLOBAL__N_19CustomSumEEEEE10hipError_tPvRmT0_T1_jT2_SQ_T4_T3_P12ihipStream_tbEUlT_E_NS1_11comp_targetILNS1_3genE5ELNS1_11target_archE942ELNS1_3gpuE9ELNS1_3repE0EEENS1_30default_config_static_selectorELNS0_4arch9wavefront6targetE0EEEvSP_.uses_flat_scratch, 0
	.set _ZN7rocprim17ROCPRIM_400000_NS6detail17trampoline_kernelINS0_14default_configENS1_32segmented_reduce_config_selectorIdEEZNS1_21segmented_reduce_implIS3_PKdPdPKldN6hipcub16HIPCUB_304000_NS6detail27convert_result_type_wrapperIS8_S9_N2at6native12_GLOBAL__N_19CustomSumEEEEE10hipError_tPvRmT0_T1_jT2_SQ_T4_T3_P12ihipStream_tbEUlT_E_NS1_11comp_targetILNS1_3genE5ELNS1_11target_archE942ELNS1_3gpuE9ELNS1_3repE0EEENS1_30default_config_static_selectorELNS0_4arch9wavefront6targetE0EEEvSP_.has_dyn_sized_stack, 0
	.set _ZN7rocprim17ROCPRIM_400000_NS6detail17trampoline_kernelINS0_14default_configENS1_32segmented_reduce_config_selectorIdEEZNS1_21segmented_reduce_implIS3_PKdPdPKldN6hipcub16HIPCUB_304000_NS6detail27convert_result_type_wrapperIS8_S9_N2at6native12_GLOBAL__N_19CustomSumEEEEE10hipError_tPvRmT0_T1_jT2_SQ_T4_T3_P12ihipStream_tbEUlT_E_NS1_11comp_targetILNS1_3genE5ELNS1_11target_archE942ELNS1_3gpuE9ELNS1_3repE0EEENS1_30default_config_static_selectorELNS0_4arch9wavefront6targetE0EEEvSP_.has_recursion, 0
	.set _ZN7rocprim17ROCPRIM_400000_NS6detail17trampoline_kernelINS0_14default_configENS1_32segmented_reduce_config_selectorIdEEZNS1_21segmented_reduce_implIS3_PKdPdPKldN6hipcub16HIPCUB_304000_NS6detail27convert_result_type_wrapperIS8_S9_N2at6native12_GLOBAL__N_19CustomSumEEEEE10hipError_tPvRmT0_T1_jT2_SQ_T4_T3_P12ihipStream_tbEUlT_E_NS1_11comp_targetILNS1_3genE5ELNS1_11target_archE942ELNS1_3gpuE9ELNS1_3repE0EEENS1_30default_config_static_selectorELNS0_4arch9wavefront6targetE0EEEvSP_.has_indirect_call, 0
	.section	.AMDGPU.csdata,"",@progbits
; Kernel info:
; codeLenInByte = 0
; TotalNumSgprs: 0
; NumVgprs: 0
; ScratchSize: 0
; MemoryBound: 0
; FloatMode: 240
; IeeeMode: 1
; LDSByteSize: 0 bytes/workgroup (compile time only)
; SGPRBlocks: 0
; VGPRBlocks: 0
; NumSGPRsForWavesPerEU: 1
; NumVGPRsForWavesPerEU: 1
; NamedBarCnt: 0
; Occupancy: 16
; WaveLimiterHint : 0
; COMPUTE_PGM_RSRC2:SCRATCH_EN: 0
; COMPUTE_PGM_RSRC2:USER_SGPR: 2
; COMPUTE_PGM_RSRC2:TRAP_HANDLER: 0
; COMPUTE_PGM_RSRC2:TGID_X_EN: 1
; COMPUTE_PGM_RSRC2:TGID_Y_EN: 0
; COMPUTE_PGM_RSRC2:TGID_Z_EN: 0
; COMPUTE_PGM_RSRC2:TIDIG_COMP_CNT: 0
	.section	.text._ZN7rocprim17ROCPRIM_400000_NS6detail17trampoline_kernelINS0_14default_configENS1_32segmented_reduce_config_selectorIdEEZNS1_21segmented_reduce_implIS3_PKdPdPKldN6hipcub16HIPCUB_304000_NS6detail27convert_result_type_wrapperIS8_S9_N2at6native12_GLOBAL__N_19CustomSumEEEEE10hipError_tPvRmT0_T1_jT2_SQ_T4_T3_P12ihipStream_tbEUlT_E_NS1_11comp_targetILNS1_3genE10ELNS1_11target_archE1201ELNS1_3gpuE5ELNS1_3repE0EEENS1_30default_config_static_selectorELNS0_4arch9wavefront6targetE0EEEvSP_,"axG",@progbits,_ZN7rocprim17ROCPRIM_400000_NS6detail17trampoline_kernelINS0_14default_configENS1_32segmented_reduce_config_selectorIdEEZNS1_21segmented_reduce_implIS3_PKdPdPKldN6hipcub16HIPCUB_304000_NS6detail27convert_result_type_wrapperIS8_S9_N2at6native12_GLOBAL__N_19CustomSumEEEEE10hipError_tPvRmT0_T1_jT2_SQ_T4_T3_P12ihipStream_tbEUlT_E_NS1_11comp_targetILNS1_3genE10ELNS1_11target_archE1201ELNS1_3gpuE5ELNS1_3repE0EEENS1_30default_config_static_selectorELNS0_4arch9wavefront6targetE0EEEvSP_,comdat
	.globl	_ZN7rocprim17ROCPRIM_400000_NS6detail17trampoline_kernelINS0_14default_configENS1_32segmented_reduce_config_selectorIdEEZNS1_21segmented_reduce_implIS3_PKdPdPKldN6hipcub16HIPCUB_304000_NS6detail27convert_result_type_wrapperIS8_S9_N2at6native12_GLOBAL__N_19CustomSumEEEEE10hipError_tPvRmT0_T1_jT2_SQ_T4_T3_P12ihipStream_tbEUlT_E_NS1_11comp_targetILNS1_3genE10ELNS1_11target_archE1201ELNS1_3gpuE5ELNS1_3repE0EEENS1_30default_config_static_selectorELNS0_4arch9wavefront6targetE0EEEvSP_ ; -- Begin function _ZN7rocprim17ROCPRIM_400000_NS6detail17trampoline_kernelINS0_14default_configENS1_32segmented_reduce_config_selectorIdEEZNS1_21segmented_reduce_implIS3_PKdPdPKldN6hipcub16HIPCUB_304000_NS6detail27convert_result_type_wrapperIS8_S9_N2at6native12_GLOBAL__N_19CustomSumEEEEE10hipError_tPvRmT0_T1_jT2_SQ_T4_T3_P12ihipStream_tbEUlT_E_NS1_11comp_targetILNS1_3genE10ELNS1_11target_archE1201ELNS1_3gpuE5ELNS1_3repE0EEENS1_30default_config_static_selectorELNS0_4arch9wavefront6targetE0EEEvSP_
	.p2align	8
	.type	_ZN7rocprim17ROCPRIM_400000_NS6detail17trampoline_kernelINS0_14default_configENS1_32segmented_reduce_config_selectorIdEEZNS1_21segmented_reduce_implIS3_PKdPdPKldN6hipcub16HIPCUB_304000_NS6detail27convert_result_type_wrapperIS8_S9_N2at6native12_GLOBAL__N_19CustomSumEEEEE10hipError_tPvRmT0_T1_jT2_SQ_T4_T3_P12ihipStream_tbEUlT_E_NS1_11comp_targetILNS1_3genE10ELNS1_11target_archE1201ELNS1_3gpuE5ELNS1_3repE0EEENS1_30default_config_static_selectorELNS0_4arch9wavefront6targetE0EEEvSP_,@function
_ZN7rocprim17ROCPRIM_400000_NS6detail17trampoline_kernelINS0_14default_configENS1_32segmented_reduce_config_selectorIdEEZNS1_21segmented_reduce_implIS3_PKdPdPKldN6hipcub16HIPCUB_304000_NS6detail27convert_result_type_wrapperIS8_S9_N2at6native12_GLOBAL__N_19CustomSumEEEEE10hipError_tPvRmT0_T1_jT2_SQ_T4_T3_P12ihipStream_tbEUlT_E_NS1_11comp_targetILNS1_3genE10ELNS1_11target_archE1201ELNS1_3gpuE5ELNS1_3repE0EEENS1_30default_config_static_selectorELNS0_4arch9wavefront6targetE0EEEvSP_: ; @_ZN7rocprim17ROCPRIM_400000_NS6detail17trampoline_kernelINS0_14default_configENS1_32segmented_reduce_config_selectorIdEEZNS1_21segmented_reduce_implIS3_PKdPdPKldN6hipcub16HIPCUB_304000_NS6detail27convert_result_type_wrapperIS8_S9_N2at6native12_GLOBAL__N_19CustomSumEEEEE10hipError_tPvRmT0_T1_jT2_SQ_T4_T3_P12ihipStream_tbEUlT_E_NS1_11comp_targetILNS1_3genE10ELNS1_11target_archE1201ELNS1_3gpuE5ELNS1_3repE0EEENS1_30default_config_static_selectorELNS0_4arch9wavefront6targetE0EEEvSP_
; %bb.0:
	.section	.rodata,"a",@progbits
	.p2align	6, 0x0
	.amdhsa_kernel _ZN7rocprim17ROCPRIM_400000_NS6detail17trampoline_kernelINS0_14default_configENS1_32segmented_reduce_config_selectorIdEEZNS1_21segmented_reduce_implIS3_PKdPdPKldN6hipcub16HIPCUB_304000_NS6detail27convert_result_type_wrapperIS8_S9_N2at6native12_GLOBAL__N_19CustomSumEEEEE10hipError_tPvRmT0_T1_jT2_SQ_T4_T3_P12ihipStream_tbEUlT_E_NS1_11comp_targetILNS1_3genE10ELNS1_11target_archE1201ELNS1_3gpuE5ELNS1_3repE0EEENS1_30default_config_static_selectorELNS0_4arch9wavefront6targetE0EEEvSP_
		.amdhsa_group_segment_fixed_size 0
		.amdhsa_private_segment_fixed_size 0
		.amdhsa_kernarg_size 56
		.amdhsa_user_sgpr_count 2
		.amdhsa_user_sgpr_dispatch_ptr 0
		.amdhsa_user_sgpr_queue_ptr 0
		.amdhsa_user_sgpr_kernarg_segment_ptr 1
		.amdhsa_user_sgpr_dispatch_id 0
		.amdhsa_user_sgpr_kernarg_preload_length 0
		.amdhsa_user_sgpr_kernarg_preload_offset 0
		.amdhsa_user_sgpr_private_segment_size 0
		.amdhsa_wavefront_size32 1
		.amdhsa_uses_dynamic_stack 0
		.amdhsa_enable_private_segment 0
		.amdhsa_system_sgpr_workgroup_id_x 1
		.amdhsa_system_sgpr_workgroup_id_y 0
		.amdhsa_system_sgpr_workgroup_id_z 0
		.amdhsa_system_sgpr_workgroup_info 0
		.amdhsa_system_vgpr_workitem_id 0
		.amdhsa_next_free_vgpr 1
		.amdhsa_next_free_sgpr 1
		.amdhsa_named_barrier_count 0
		.amdhsa_reserve_vcc 0
		.amdhsa_float_round_mode_32 0
		.amdhsa_float_round_mode_16_64 0
		.amdhsa_float_denorm_mode_32 3
		.amdhsa_float_denorm_mode_16_64 3
		.amdhsa_fp16_overflow 0
		.amdhsa_memory_ordered 1
		.amdhsa_forward_progress 1
		.amdhsa_inst_pref_size 0
		.amdhsa_round_robin_scheduling 0
		.amdhsa_exception_fp_ieee_invalid_op 0
		.amdhsa_exception_fp_denorm_src 0
		.amdhsa_exception_fp_ieee_div_zero 0
		.amdhsa_exception_fp_ieee_overflow 0
		.amdhsa_exception_fp_ieee_underflow 0
		.amdhsa_exception_fp_ieee_inexact 0
		.amdhsa_exception_int_div_zero 0
	.end_amdhsa_kernel
	.section	.text._ZN7rocprim17ROCPRIM_400000_NS6detail17trampoline_kernelINS0_14default_configENS1_32segmented_reduce_config_selectorIdEEZNS1_21segmented_reduce_implIS3_PKdPdPKldN6hipcub16HIPCUB_304000_NS6detail27convert_result_type_wrapperIS8_S9_N2at6native12_GLOBAL__N_19CustomSumEEEEE10hipError_tPvRmT0_T1_jT2_SQ_T4_T3_P12ihipStream_tbEUlT_E_NS1_11comp_targetILNS1_3genE10ELNS1_11target_archE1201ELNS1_3gpuE5ELNS1_3repE0EEENS1_30default_config_static_selectorELNS0_4arch9wavefront6targetE0EEEvSP_,"axG",@progbits,_ZN7rocprim17ROCPRIM_400000_NS6detail17trampoline_kernelINS0_14default_configENS1_32segmented_reduce_config_selectorIdEEZNS1_21segmented_reduce_implIS3_PKdPdPKldN6hipcub16HIPCUB_304000_NS6detail27convert_result_type_wrapperIS8_S9_N2at6native12_GLOBAL__N_19CustomSumEEEEE10hipError_tPvRmT0_T1_jT2_SQ_T4_T3_P12ihipStream_tbEUlT_E_NS1_11comp_targetILNS1_3genE10ELNS1_11target_archE1201ELNS1_3gpuE5ELNS1_3repE0EEENS1_30default_config_static_selectorELNS0_4arch9wavefront6targetE0EEEvSP_,comdat
.Lfunc_end155:
	.size	_ZN7rocprim17ROCPRIM_400000_NS6detail17trampoline_kernelINS0_14default_configENS1_32segmented_reduce_config_selectorIdEEZNS1_21segmented_reduce_implIS3_PKdPdPKldN6hipcub16HIPCUB_304000_NS6detail27convert_result_type_wrapperIS8_S9_N2at6native12_GLOBAL__N_19CustomSumEEEEE10hipError_tPvRmT0_T1_jT2_SQ_T4_T3_P12ihipStream_tbEUlT_E_NS1_11comp_targetILNS1_3genE10ELNS1_11target_archE1201ELNS1_3gpuE5ELNS1_3repE0EEENS1_30default_config_static_selectorELNS0_4arch9wavefront6targetE0EEEvSP_, .Lfunc_end155-_ZN7rocprim17ROCPRIM_400000_NS6detail17trampoline_kernelINS0_14default_configENS1_32segmented_reduce_config_selectorIdEEZNS1_21segmented_reduce_implIS3_PKdPdPKldN6hipcub16HIPCUB_304000_NS6detail27convert_result_type_wrapperIS8_S9_N2at6native12_GLOBAL__N_19CustomSumEEEEE10hipError_tPvRmT0_T1_jT2_SQ_T4_T3_P12ihipStream_tbEUlT_E_NS1_11comp_targetILNS1_3genE10ELNS1_11target_archE1201ELNS1_3gpuE5ELNS1_3repE0EEENS1_30default_config_static_selectorELNS0_4arch9wavefront6targetE0EEEvSP_
                                        ; -- End function
	.set _ZN7rocprim17ROCPRIM_400000_NS6detail17trampoline_kernelINS0_14default_configENS1_32segmented_reduce_config_selectorIdEEZNS1_21segmented_reduce_implIS3_PKdPdPKldN6hipcub16HIPCUB_304000_NS6detail27convert_result_type_wrapperIS8_S9_N2at6native12_GLOBAL__N_19CustomSumEEEEE10hipError_tPvRmT0_T1_jT2_SQ_T4_T3_P12ihipStream_tbEUlT_E_NS1_11comp_targetILNS1_3genE10ELNS1_11target_archE1201ELNS1_3gpuE5ELNS1_3repE0EEENS1_30default_config_static_selectorELNS0_4arch9wavefront6targetE0EEEvSP_.num_vgpr, 0
	.set _ZN7rocprim17ROCPRIM_400000_NS6detail17trampoline_kernelINS0_14default_configENS1_32segmented_reduce_config_selectorIdEEZNS1_21segmented_reduce_implIS3_PKdPdPKldN6hipcub16HIPCUB_304000_NS6detail27convert_result_type_wrapperIS8_S9_N2at6native12_GLOBAL__N_19CustomSumEEEEE10hipError_tPvRmT0_T1_jT2_SQ_T4_T3_P12ihipStream_tbEUlT_E_NS1_11comp_targetILNS1_3genE10ELNS1_11target_archE1201ELNS1_3gpuE5ELNS1_3repE0EEENS1_30default_config_static_selectorELNS0_4arch9wavefront6targetE0EEEvSP_.num_agpr, 0
	.set _ZN7rocprim17ROCPRIM_400000_NS6detail17trampoline_kernelINS0_14default_configENS1_32segmented_reduce_config_selectorIdEEZNS1_21segmented_reduce_implIS3_PKdPdPKldN6hipcub16HIPCUB_304000_NS6detail27convert_result_type_wrapperIS8_S9_N2at6native12_GLOBAL__N_19CustomSumEEEEE10hipError_tPvRmT0_T1_jT2_SQ_T4_T3_P12ihipStream_tbEUlT_E_NS1_11comp_targetILNS1_3genE10ELNS1_11target_archE1201ELNS1_3gpuE5ELNS1_3repE0EEENS1_30default_config_static_selectorELNS0_4arch9wavefront6targetE0EEEvSP_.numbered_sgpr, 0
	.set _ZN7rocprim17ROCPRIM_400000_NS6detail17trampoline_kernelINS0_14default_configENS1_32segmented_reduce_config_selectorIdEEZNS1_21segmented_reduce_implIS3_PKdPdPKldN6hipcub16HIPCUB_304000_NS6detail27convert_result_type_wrapperIS8_S9_N2at6native12_GLOBAL__N_19CustomSumEEEEE10hipError_tPvRmT0_T1_jT2_SQ_T4_T3_P12ihipStream_tbEUlT_E_NS1_11comp_targetILNS1_3genE10ELNS1_11target_archE1201ELNS1_3gpuE5ELNS1_3repE0EEENS1_30default_config_static_selectorELNS0_4arch9wavefront6targetE0EEEvSP_.num_named_barrier, 0
	.set _ZN7rocprim17ROCPRIM_400000_NS6detail17trampoline_kernelINS0_14default_configENS1_32segmented_reduce_config_selectorIdEEZNS1_21segmented_reduce_implIS3_PKdPdPKldN6hipcub16HIPCUB_304000_NS6detail27convert_result_type_wrapperIS8_S9_N2at6native12_GLOBAL__N_19CustomSumEEEEE10hipError_tPvRmT0_T1_jT2_SQ_T4_T3_P12ihipStream_tbEUlT_E_NS1_11comp_targetILNS1_3genE10ELNS1_11target_archE1201ELNS1_3gpuE5ELNS1_3repE0EEENS1_30default_config_static_selectorELNS0_4arch9wavefront6targetE0EEEvSP_.private_seg_size, 0
	.set _ZN7rocprim17ROCPRIM_400000_NS6detail17trampoline_kernelINS0_14default_configENS1_32segmented_reduce_config_selectorIdEEZNS1_21segmented_reduce_implIS3_PKdPdPKldN6hipcub16HIPCUB_304000_NS6detail27convert_result_type_wrapperIS8_S9_N2at6native12_GLOBAL__N_19CustomSumEEEEE10hipError_tPvRmT0_T1_jT2_SQ_T4_T3_P12ihipStream_tbEUlT_E_NS1_11comp_targetILNS1_3genE10ELNS1_11target_archE1201ELNS1_3gpuE5ELNS1_3repE0EEENS1_30default_config_static_selectorELNS0_4arch9wavefront6targetE0EEEvSP_.uses_vcc, 0
	.set _ZN7rocprim17ROCPRIM_400000_NS6detail17trampoline_kernelINS0_14default_configENS1_32segmented_reduce_config_selectorIdEEZNS1_21segmented_reduce_implIS3_PKdPdPKldN6hipcub16HIPCUB_304000_NS6detail27convert_result_type_wrapperIS8_S9_N2at6native12_GLOBAL__N_19CustomSumEEEEE10hipError_tPvRmT0_T1_jT2_SQ_T4_T3_P12ihipStream_tbEUlT_E_NS1_11comp_targetILNS1_3genE10ELNS1_11target_archE1201ELNS1_3gpuE5ELNS1_3repE0EEENS1_30default_config_static_selectorELNS0_4arch9wavefront6targetE0EEEvSP_.uses_flat_scratch, 0
	.set _ZN7rocprim17ROCPRIM_400000_NS6detail17trampoline_kernelINS0_14default_configENS1_32segmented_reduce_config_selectorIdEEZNS1_21segmented_reduce_implIS3_PKdPdPKldN6hipcub16HIPCUB_304000_NS6detail27convert_result_type_wrapperIS8_S9_N2at6native12_GLOBAL__N_19CustomSumEEEEE10hipError_tPvRmT0_T1_jT2_SQ_T4_T3_P12ihipStream_tbEUlT_E_NS1_11comp_targetILNS1_3genE10ELNS1_11target_archE1201ELNS1_3gpuE5ELNS1_3repE0EEENS1_30default_config_static_selectorELNS0_4arch9wavefront6targetE0EEEvSP_.has_dyn_sized_stack, 0
	.set _ZN7rocprim17ROCPRIM_400000_NS6detail17trampoline_kernelINS0_14default_configENS1_32segmented_reduce_config_selectorIdEEZNS1_21segmented_reduce_implIS3_PKdPdPKldN6hipcub16HIPCUB_304000_NS6detail27convert_result_type_wrapperIS8_S9_N2at6native12_GLOBAL__N_19CustomSumEEEEE10hipError_tPvRmT0_T1_jT2_SQ_T4_T3_P12ihipStream_tbEUlT_E_NS1_11comp_targetILNS1_3genE10ELNS1_11target_archE1201ELNS1_3gpuE5ELNS1_3repE0EEENS1_30default_config_static_selectorELNS0_4arch9wavefront6targetE0EEEvSP_.has_recursion, 0
	.set _ZN7rocprim17ROCPRIM_400000_NS6detail17trampoline_kernelINS0_14default_configENS1_32segmented_reduce_config_selectorIdEEZNS1_21segmented_reduce_implIS3_PKdPdPKldN6hipcub16HIPCUB_304000_NS6detail27convert_result_type_wrapperIS8_S9_N2at6native12_GLOBAL__N_19CustomSumEEEEE10hipError_tPvRmT0_T1_jT2_SQ_T4_T3_P12ihipStream_tbEUlT_E_NS1_11comp_targetILNS1_3genE10ELNS1_11target_archE1201ELNS1_3gpuE5ELNS1_3repE0EEENS1_30default_config_static_selectorELNS0_4arch9wavefront6targetE0EEEvSP_.has_indirect_call, 0
	.section	.AMDGPU.csdata,"",@progbits
; Kernel info:
; codeLenInByte = 0
; TotalNumSgprs: 0
; NumVgprs: 0
; ScratchSize: 0
; MemoryBound: 0
; FloatMode: 240
; IeeeMode: 1
; LDSByteSize: 0 bytes/workgroup (compile time only)
; SGPRBlocks: 0
; VGPRBlocks: 0
; NumSGPRsForWavesPerEU: 1
; NumVGPRsForWavesPerEU: 1
; NamedBarCnt: 0
; Occupancy: 16
; WaveLimiterHint : 0
; COMPUTE_PGM_RSRC2:SCRATCH_EN: 0
; COMPUTE_PGM_RSRC2:USER_SGPR: 2
; COMPUTE_PGM_RSRC2:TRAP_HANDLER: 0
; COMPUTE_PGM_RSRC2:TGID_X_EN: 1
; COMPUTE_PGM_RSRC2:TGID_Y_EN: 0
; COMPUTE_PGM_RSRC2:TGID_Z_EN: 0
; COMPUTE_PGM_RSRC2:TIDIG_COMP_CNT: 0
	.section	.text._ZN7rocprim17ROCPRIM_400000_NS6detail17trampoline_kernelINS0_14default_configENS1_32segmented_reduce_config_selectorIdEEZNS1_21segmented_reduce_implIS3_PKdPdPKldN6hipcub16HIPCUB_304000_NS6detail27convert_result_type_wrapperIS8_S9_N2at6native12_GLOBAL__N_19CustomSumEEEEE10hipError_tPvRmT0_T1_jT2_SQ_T4_T3_P12ihipStream_tbEUlT_E_NS1_11comp_targetILNS1_3genE4ELNS1_11target_archE910ELNS1_3gpuE8ELNS1_3repE0EEENS1_30default_config_static_selectorELNS0_4arch9wavefront6targetE0EEEvSP_,"axG",@progbits,_ZN7rocprim17ROCPRIM_400000_NS6detail17trampoline_kernelINS0_14default_configENS1_32segmented_reduce_config_selectorIdEEZNS1_21segmented_reduce_implIS3_PKdPdPKldN6hipcub16HIPCUB_304000_NS6detail27convert_result_type_wrapperIS8_S9_N2at6native12_GLOBAL__N_19CustomSumEEEEE10hipError_tPvRmT0_T1_jT2_SQ_T4_T3_P12ihipStream_tbEUlT_E_NS1_11comp_targetILNS1_3genE4ELNS1_11target_archE910ELNS1_3gpuE8ELNS1_3repE0EEENS1_30default_config_static_selectorELNS0_4arch9wavefront6targetE0EEEvSP_,comdat
	.globl	_ZN7rocprim17ROCPRIM_400000_NS6detail17trampoline_kernelINS0_14default_configENS1_32segmented_reduce_config_selectorIdEEZNS1_21segmented_reduce_implIS3_PKdPdPKldN6hipcub16HIPCUB_304000_NS6detail27convert_result_type_wrapperIS8_S9_N2at6native12_GLOBAL__N_19CustomSumEEEEE10hipError_tPvRmT0_T1_jT2_SQ_T4_T3_P12ihipStream_tbEUlT_E_NS1_11comp_targetILNS1_3genE4ELNS1_11target_archE910ELNS1_3gpuE8ELNS1_3repE0EEENS1_30default_config_static_selectorELNS0_4arch9wavefront6targetE0EEEvSP_ ; -- Begin function _ZN7rocprim17ROCPRIM_400000_NS6detail17trampoline_kernelINS0_14default_configENS1_32segmented_reduce_config_selectorIdEEZNS1_21segmented_reduce_implIS3_PKdPdPKldN6hipcub16HIPCUB_304000_NS6detail27convert_result_type_wrapperIS8_S9_N2at6native12_GLOBAL__N_19CustomSumEEEEE10hipError_tPvRmT0_T1_jT2_SQ_T4_T3_P12ihipStream_tbEUlT_E_NS1_11comp_targetILNS1_3genE4ELNS1_11target_archE910ELNS1_3gpuE8ELNS1_3repE0EEENS1_30default_config_static_selectorELNS0_4arch9wavefront6targetE0EEEvSP_
	.p2align	8
	.type	_ZN7rocprim17ROCPRIM_400000_NS6detail17trampoline_kernelINS0_14default_configENS1_32segmented_reduce_config_selectorIdEEZNS1_21segmented_reduce_implIS3_PKdPdPKldN6hipcub16HIPCUB_304000_NS6detail27convert_result_type_wrapperIS8_S9_N2at6native12_GLOBAL__N_19CustomSumEEEEE10hipError_tPvRmT0_T1_jT2_SQ_T4_T3_P12ihipStream_tbEUlT_E_NS1_11comp_targetILNS1_3genE4ELNS1_11target_archE910ELNS1_3gpuE8ELNS1_3repE0EEENS1_30default_config_static_selectorELNS0_4arch9wavefront6targetE0EEEvSP_,@function
_ZN7rocprim17ROCPRIM_400000_NS6detail17trampoline_kernelINS0_14default_configENS1_32segmented_reduce_config_selectorIdEEZNS1_21segmented_reduce_implIS3_PKdPdPKldN6hipcub16HIPCUB_304000_NS6detail27convert_result_type_wrapperIS8_S9_N2at6native12_GLOBAL__N_19CustomSumEEEEE10hipError_tPvRmT0_T1_jT2_SQ_T4_T3_P12ihipStream_tbEUlT_E_NS1_11comp_targetILNS1_3genE4ELNS1_11target_archE910ELNS1_3gpuE8ELNS1_3repE0EEENS1_30default_config_static_selectorELNS0_4arch9wavefront6targetE0EEEvSP_: ; @_ZN7rocprim17ROCPRIM_400000_NS6detail17trampoline_kernelINS0_14default_configENS1_32segmented_reduce_config_selectorIdEEZNS1_21segmented_reduce_implIS3_PKdPdPKldN6hipcub16HIPCUB_304000_NS6detail27convert_result_type_wrapperIS8_S9_N2at6native12_GLOBAL__N_19CustomSumEEEEE10hipError_tPvRmT0_T1_jT2_SQ_T4_T3_P12ihipStream_tbEUlT_E_NS1_11comp_targetILNS1_3genE4ELNS1_11target_archE910ELNS1_3gpuE8ELNS1_3repE0EEENS1_30default_config_static_selectorELNS0_4arch9wavefront6targetE0EEEvSP_
; %bb.0:
	.section	.rodata,"a",@progbits
	.p2align	6, 0x0
	.amdhsa_kernel _ZN7rocprim17ROCPRIM_400000_NS6detail17trampoline_kernelINS0_14default_configENS1_32segmented_reduce_config_selectorIdEEZNS1_21segmented_reduce_implIS3_PKdPdPKldN6hipcub16HIPCUB_304000_NS6detail27convert_result_type_wrapperIS8_S9_N2at6native12_GLOBAL__N_19CustomSumEEEEE10hipError_tPvRmT0_T1_jT2_SQ_T4_T3_P12ihipStream_tbEUlT_E_NS1_11comp_targetILNS1_3genE4ELNS1_11target_archE910ELNS1_3gpuE8ELNS1_3repE0EEENS1_30default_config_static_selectorELNS0_4arch9wavefront6targetE0EEEvSP_
		.amdhsa_group_segment_fixed_size 0
		.amdhsa_private_segment_fixed_size 0
		.amdhsa_kernarg_size 56
		.amdhsa_user_sgpr_count 2
		.amdhsa_user_sgpr_dispatch_ptr 0
		.amdhsa_user_sgpr_queue_ptr 0
		.amdhsa_user_sgpr_kernarg_segment_ptr 1
		.amdhsa_user_sgpr_dispatch_id 0
		.amdhsa_user_sgpr_kernarg_preload_length 0
		.amdhsa_user_sgpr_kernarg_preload_offset 0
		.amdhsa_user_sgpr_private_segment_size 0
		.amdhsa_wavefront_size32 1
		.amdhsa_uses_dynamic_stack 0
		.amdhsa_enable_private_segment 0
		.amdhsa_system_sgpr_workgroup_id_x 1
		.amdhsa_system_sgpr_workgroup_id_y 0
		.amdhsa_system_sgpr_workgroup_id_z 0
		.amdhsa_system_sgpr_workgroup_info 0
		.amdhsa_system_vgpr_workitem_id 0
		.amdhsa_next_free_vgpr 1
		.amdhsa_next_free_sgpr 1
		.amdhsa_named_barrier_count 0
		.amdhsa_reserve_vcc 0
		.amdhsa_float_round_mode_32 0
		.amdhsa_float_round_mode_16_64 0
		.amdhsa_float_denorm_mode_32 3
		.amdhsa_float_denorm_mode_16_64 3
		.amdhsa_fp16_overflow 0
		.amdhsa_memory_ordered 1
		.amdhsa_forward_progress 1
		.amdhsa_inst_pref_size 0
		.amdhsa_round_robin_scheduling 0
		.amdhsa_exception_fp_ieee_invalid_op 0
		.amdhsa_exception_fp_denorm_src 0
		.amdhsa_exception_fp_ieee_div_zero 0
		.amdhsa_exception_fp_ieee_overflow 0
		.amdhsa_exception_fp_ieee_underflow 0
		.amdhsa_exception_fp_ieee_inexact 0
		.amdhsa_exception_int_div_zero 0
	.end_amdhsa_kernel
	.section	.text._ZN7rocprim17ROCPRIM_400000_NS6detail17trampoline_kernelINS0_14default_configENS1_32segmented_reduce_config_selectorIdEEZNS1_21segmented_reduce_implIS3_PKdPdPKldN6hipcub16HIPCUB_304000_NS6detail27convert_result_type_wrapperIS8_S9_N2at6native12_GLOBAL__N_19CustomSumEEEEE10hipError_tPvRmT0_T1_jT2_SQ_T4_T3_P12ihipStream_tbEUlT_E_NS1_11comp_targetILNS1_3genE4ELNS1_11target_archE910ELNS1_3gpuE8ELNS1_3repE0EEENS1_30default_config_static_selectorELNS0_4arch9wavefront6targetE0EEEvSP_,"axG",@progbits,_ZN7rocprim17ROCPRIM_400000_NS6detail17trampoline_kernelINS0_14default_configENS1_32segmented_reduce_config_selectorIdEEZNS1_21segmented_reduce_implIS3_PKdPdPKldN6hipcub16HIPCUB_304000_NS6detail27convert_result_type_wrapperIS8_S9_N2at6native12_GLOBAL__N_19CustomSumEEEEE10hipError_tPvRmT0_T1_jT2_SQ_T4_T3_P12ihipStream_tbEUlT_E_NS1_11comp_targetILNS1_3genE4ELNS1_11target_archE910ELNS1_3gpuE8ELNS1_3repE0EEENS1_30default_config_static_selectorELNS0_4arch9wavefront6targetE0EEEvSP_,comdat
.Lfunc_end156:
	.size	_ZN7rocprim17ROCPRIM_400000_NS6detail17trampoline_kernelINS0_14default_configENS1_32segmented_reduce_config_selectorIdEEZNS1_21segmented_reduce_implIS3_PKdPdPKldN6hipcub16HIPCUB_304000_NS6detail27convert_result_type_wrapperIS8_S9_N2at6native12_GLOBAL__N_19CustomSumEEEEE10hipError_tPvRmT0_T1_jT2_SQ_T4_T3_P12ihipStream_tbEUlT_E_NS1_11comp_targetILNS1_3genE4ELNS1_11target_archE910ELNS1_3gpuE8ELNS1_3repE0EEENS1_30default_config_static_selectorELNS0_4arch9wavefront6targetE0EEEvSP_, .Lfunc_end156-_ZN7rocprim17ROCPRIM_400000_NS6detail17trampoline_kernelINS0_14default_configENS1_32segmented_reduce_config_selectorIdEEZNS1_21segmented_reduce_implIS3_PKdPdPKldN6hipcub16HIPCUB_304000_NS6detail27convert_result_type_wrapperIS8_S9_N2at6native12_GLOBAL__N_19CustomSumEEEEE10hipError_tPvRmT0_T1_jT2_SQ_T4_T3_P12ihipStream_tbEUlT_E_NS1_11comp_targetILNS1_3genE4ELNS1_11target_archE910ELNS1_3gpuE8ELNS1_3repE0EEENS1_30default_config_static_selectorELNS0_4arch9wavefront6targetE0EEEvSP_
                                        ; -- End function
	.set _ZN7rocprim17ROCPRIM_400000_NS6detail17trampoline_kernelINS0_14default_configENS1_32segmented_reduce_config_selectorIdEEZNS1_21segmented_reduce_implIS3_PKdPdPKldN6hipcub16HIPCUB_304000_NS6detail27convert_result_type_wrapperIS8_S9_N2at6native12_GLOBAL__N_19CustomSumEEEEE10hipError_tPvRmT0_T1_jT2_SQ_T4_T3_P12ihipStream_tbEUlT_E_NS1_11comp_targetILNS1_3genE4ELNS1_11target_archE910ELNS1_3gpuE8ELNS1_3repE0EEENS1_30default_config_static_selectorELNS0_4arch9wavefront6targetE0EEEvSP_.num_vgpr, 0
	.set _ZN7rocprim17ROCPRIM_400000_NS6detail17trampoline_kernelINS0_14default_configENS1_32segmented_reduce_config_selectorIdEEZNS1_21segmented_reduce_implIS3_PKdPdPKldN6hipcub16HIPCUB_304000_NS6detail27convert_result_type_wrapperIS8_S9_N2at6native12_GLOBAL__N_19CustomSumEEEEE10hipError_tPvRmT0_T1_jT2_SQ_T4_T3_P12ihipStream_tbEUlT_E_NS1_11comp_targetILNS1_3genE4ELNS1_11target_archE910ELNS1_3gpuE8ELNS1_3repE0EEENS1_30default_config_static_selectorELNS0_4arch9wavefront6targetE0EEEvSP_.num_agpr, 0
	.set _ZN7rocprim17ROCPRIM_400000_NS6detail17trampoline_kernelINS0_14default_configENS1_32segmented_reduce_config_selectorIdEEZNS1_21segmented_reduce_implIS3_PKdPdPKldN6hipcub16HIPCUB_304000_NS6detail27convert_result_type_wrapperIS8_S9_N2at6native12_GLOBAL__N_19CustomSumEEEEE10hipError_tPvRmT0_T1_jT2_SQ_T4_T3_P12ihipStream_tbEUlT_E_NS1_11comp_targetILNS1_3genE4ELNS1_11target_archE910ELNS1_3gpuE8ELNS1_3repE0EEENS1_30default_config_static_selectorELNS0_4arch9wavefront6targetE0EEEvSP_.numbered_sgpr, 0
	.set _ZN7rocprim17ROCPRIM_400000_NS6detail17trampoline_kernelINS0_14default_configENS1_32segmented_reduce_config_selectorIdEEZNS1_21segmented_reduce_implIS3_PKdPdPKldN6hipcub16HIPCUB_304000_NS6detail27convert_result_type_wrapperIS8_S9_N2at6native12_GLOBAL__N_19CustomSumEEEEE10hipError_tPvRmT0_T1_jT2_SQ_T4_T3_P12ihipStream_tbEUlT_E_NS1_11comp_targetILNS1_3genE4ELNS1_11target_archE910ELNS1_3gpuE8ELNS1_3repE0EEENS1_30default_config_static_selectorELNS0_4arch9wavefront6targetE0EEEvSP_.num_named_barrier, 0
	.set _ZN7rocprim17ROCPRIM_400000_NS6detail17trampoline_kernelINS0_14default_configENS1_32segmented_reduce_config_selectorIdEEZNS1_21segmented_reduce_implIS3_PKdPdPKldN6hipcub16HIPCUB_304000_NS6detail27convert_result_type_wrapperIS8_S9_N2at6native12_GLOBAL__N_19CustomSumEEEEE10hipError_tPvRmT0_T1_jT2_SQ_T4_T3_P12ihipStream_tbEUlT_E_NS1_11comp_targetILNS1_3genE4ELNS1_11target_archE910ELNS1_3gpuE8ELNS1_3repE0EEENS1_30default_config_static_selectorELNS0_4arch9wavefront6targetE0EEEvSP_.private_seg_size, 0
	.set _ZN7rocprim17ROCPRIM_400000_NS6detail17trampoline_kernelINS0_14default_configENS1_32segmented_reduce_config_selectorIdEEZNS1_21segmented_reduce_implIS3_PKdPdPKldN6hipcub16HIPCUB_304000_NS6detail27convert_result_type_wrapperIS8_S9_N2at6native12_GLOBAL__N_19CustomSumEEEEE10hipError_tPvRmT0_T1_jT2_SQ_T4_T3_P12ihipStream_tbEUlT_E_NS1_11comp_targetILNS1_3genE4ELNS1_11target_archE910ELNS1_3gpuE8ELNS1_3repE0EEENS1_30default_config_static_selectorELNS0_4arch9wavefront6targetE0EEEvSP_.uses_vcc, 0
	.set _ZN7rocprim17ROCPRIM_400000_NS6detail17trampoline_kernelINS0_14default_configENS1_32segmented_reduce_config_selectorIdEEZNS1_21segmented_reduce_implIS3_PKdPdPKldN6hipcub16HIPCUB_304000_NS6detail27convert_result_type_wrapperIS8_S9_N2at6native12_GLOBAL__N_19CustomSumEEEEE10hipError_tPvRmT0_T1_jT2_SQ_T4_T3_P12ihipStream_tbEUlT_E_NS1_11comp_targetILNS1_3genE4ELNS1_11target_archE910ELNS1_3gpuE8ELNS1_3repE0EEENS1_30default_config_static_selectorELNS0_4arch9wavefront6targetE0EEEvSP_.uses_flat_scratch, 0
	.set _ZN7rocprim17ROCPRIM_400000_NS6detail17trampoline_kernelINS0_14default_configENS1_32segmented_reduce_config_selectorIdEEZNS1_21segmented_reduce_implIS3_PKdPdPKldN6hipcub16HIPCUB_304000_NS6detail27convert_result_type_wrapperIS8_S9_N2at6native12_GLOBAL__N_19CustomSumEEEEE10hipError_tPvRmT0_T1_jT2_SQ_T4_T3_P12ihipStream_tbEUlT_E_NS1_11comp_targetILNS1_3genE4ELNS1_11target_archE910ELNS1_3gpuE8ELNS1_3repE0EEENS1_30default_config_static_selectorELNS0_4arch9wavefront6targetE0EEEvSP_.has_dyn_sized_stack, 0
	.set _ZN7rocprim17ROCPRIM_400000_NS6detail17trampoline_kernelINS0_14default_configENS1_32segmented_reduce_config_selectorIdEEZNS1_21segmented_reduce_implIS3_PKdPdPKldN6hipcub16HIPCUB_304000_NS6detail27convert_result_type_wrapperIS8_S9_N2at6native12_GLOBAL__N_19CustomSumEEEEE10hipError_tPvRmT0_T1_jT2_SQ_T4_T3_P12ihipStream_tbEUlT_E_NS1_11comp_targetILNS1_3genE4ELNS1_11target_archE910ELNS1_3gpuE8ELNS1_3repE0EEENS1_30default_config_static_selectorELNS0_4arch9wavefront6targetE0EEEvSP_.has_recursion, 0
	.set _ZN7rocprim17ROCPRIM_400000_NS6detail17trampoline_kernelINS0_14default_configENS1_32segmented_reduce_config_selectorIdEEZNS1_21segmented_reduce_implIS3_PKdPdPKldN6hipcub16HIPCUB_304000_NS6detail27convert_result_type_wrapperIS8_S9_N2at6native12_GLOBAL__N_19CustomSumEEEEE10hipError_tPvRmT0_T1_jT2_SQ_T4_T3_P12ihipStream_tbEUlT_E_NS1_11comp_targetILNS1_3genE4ELNS1_11target_archE910ELNS1_3gpuE8ELNS1_3repE0EEENS1_30default_config_static_selectorELNS0_4arch9wavefront6targetE0EEEvSP_.has_indirect_call, 0
	.section	.AMDGPU.csdata,"",@progbits
; Kernel info:
; codeLenInByte = 0
; TotalNumSgprs: 0
; NumVgprs: 0
; ScratchSize: 0
; MemoryBound: 0
; FloatMode: 240
; IeeeMode: 1
; LDSByteSize: 0 bytes/workgroup (compile time only)
; SGPRBlocks: 0
; VGPRBlocks: 0
; NumSGPRsForWavesPerEU: 1
; NumVGPRsForWavesPerEU: 1
; NamedBarCnt: 0
; Occupancy: 16
; WaveLimiterHint : 0
; COMPUTE_PGM_RSRC2:SCRATCH_EN: 0
; COMPUTE_PGM_RSRC2:USER_SGPR: 2
; COMPUTE_PGM_RSRC2:TRAP_HANDLER: 0
; COMPUTE_PGM_RSRC2:TGID_X_EN: 1
; COMPUTE_PGM_RSRC2:TGID_Y_EN: 0
; COMPUTE_PGM_RSRC2:TGID_Z_EN: 0
; COMPUTE_PGM_RSRC2:TIDIG_COMP_CNT: 0
	.section	.text._ZN7rocprim17ROCPRIM_400000_NS6detail17trampoline_kernelINS0_14default_configENS1_32segmented_reduce_config_selectorIdEEZNS1_21segmented_reduce_implIS3_PKdPdPKldN6hipcub16HIPCUB_304000_NS6detail27convert_result_type_wrapperIS8_S9_N2at6native12_GLOBAL__N_19CustomSumEEEEE10hipError_tPvRmT0_T1_jT2_SQ_T4_T3_P12ihipStream_tbEUlT_E_NS1_11comp_targetILNS1_3genE3ELNS1_11target_archE908ELNS1_3gpuE7ELNS1_3repE0EEENS1_30default_config_static_selectorELNS0_4arch9wavefront6targetE0EEEvSP_,"axG",@progbits,_ZN7rocprim17ROCPRIM_400000_NS6detail17trampoline_kernelINS0_14default_configENS1_32segmented_reduce_config_selectorIdEEZNS1_21segmented_reduce_implIS3_PKdPdPKldN6hipcub16HIPCUB_304000_NS6detail27convert_result_type_wrapperIS8_S9_N2at6native12_GLOBAL__N_19CustomSumEEEEE10hipError_tPvRmT0_T1_jT2_SQ_T4_T3_P12ihipStream_tbEUlT_E_NS1_11comp_targetILNS1_3genE3ELNS1_11target_archE908ELNS1_3gpuE7ELNS1_3repE0EEENS1_30default_config_static_selectorELNS0_4arch9wavefront6targetE0EEEvSP_,comdat
	.globl	_ZN7rocprim17ROCPRIM_400000_NS6detail17trampoline_kernelINS0_14default_configENS1_32segmented_reduce_config_selectorIdEEZNS1_21segmented_reduce_implIS3_PKdPdPKldN6hipcub16HIPCUB_304000_NS6detail27convert_result_type_wrapperIS8_S9_N2at6native12_GLOBAL__N_19CustomSumEEEEE10hipError_tPvRmT0_T1_jT2_SQ_T4_T3_P12ihipStream_tbEUlT_E_NS1_11comp_targetILNS1_3genE3ELNS1_11target_archE908ELNS1_3gpuE7ELNS1_3repE0EEENS1_30default_config_static_selectorELNS0_4arch9wavefront6targetE0EEEvSP_ ; -- Begin function _ZN7rocprim17ROCPRIM_400000_NS6detail17trampoline_kernelINS0_14default_configENS1_32segmented_reduce_config_selectorIdEEZNS1_21segmented_reduce_implIS3_PKdPdPKldN6hipcub16HIPCUB_304000_NS6detail27convert_result_type_wrapperIS8_S9_N2at6native12_GLOBAL__N_19CustomSumEEEEE10hipError_tPvRmT0_T1_jT2_SQ_T4_T3_P12ihipStream_tbEUlT_E_NS1_11comp_targetILNS1_3genE3ELNS1_11target_archE908ELNS1_3gpuE7ELNS1_3repE0EEENS1_30default_config_static_selectorELNS0_4arch9wavefront6targetE0EEEvSP_
	.p2align	8
	.type	_ZN7rocprim17ROCPRIM_400000_NS6detail17trampoline_kernelINS0_14default_configENS1_32segmented_reduce_config_selectorIdEEZNS1_21segmented_reduce_implIS3_PKdPdPKldN6hipcub16HIPCUB_304000_NS6detail27convert_result_type_wrapperIS8_S9_N2at6native12_GLOBAL__N_19CustomSumEEEEE10hipError_tPvRmT0_T1_jT2_SQ_T4_T3_P12ihipStream_tbEUlT_E_NS1_11comp_targetILNS1_3genE3ELNS1_11target_archE908ELNS1_3gpuE7ELNS1_3repE0EEENS1_30default_config_static_selectorELNS0_4arch9wavefront6targetE0EEEvSP_,@function
_ZN7rocprim17ROCPRIM_400000_NS6detail17trampoline_kernelINS0_14default_configENS1_32segmented_reduce_config_selectorIdEEZNS1_21segmented_reduce_implIS3_PKdPdPKldN6hipcub16HIPCUB_304000_NS6detail27convert_result_type_wrapperIS8_S9_N2at6native12_GLOBAL__N_19CustomSumEEEEE10hipError_tPvRmT0_T1_jT2_SQ_T4_T3_P12ihipStream_tbEUlT_E_NS1_11comp_targetILNS1_3genE3ELNS1_11target_archE908ELNS1_3gpuE7ELNS1_3repE0EEENS1_30default_config_static_selectorELNS0_4arch9wavefront6targetE0EEEvSP_: ; @_ZN7rocprim17ROCPRIM_400000_NS6detail17trampoline_kernelINS0_14default_configENS1_32segmented_reduce_config_selectorIdEEZNS1_21segmented_reduce_implIS3_PKdPdPKldN6hipcub16HIPCUB_304000_NS6detail27convert_result_type_wrapperIS8_S9_N2at6native12_GLOBAL__N_19CustomSumEEEEE10hipError_tPvRmT0_T1_jT2_SQ_T4_T3_P12ihipStream_tbEUlT_E_NS1_11comp_targetILNS1_3genE3ELNS1_11target_archE908ELNS1_3gpuE7ELNS1_3repE0EEENS1_30default_config_static_selectorELNS0_4arch9wavefront6targetE0EEEvSP_
; %bb.0:
	.section	.rodata,"a",@progbits
	.p2align	6, 0x0
	.amdhsa_kernel _ZN7rocprim17ROCPRIM_400000_NS6detail17trampoline_kernelINS0_14default_configENS1_32segmented_reduce_config_selectorIdEEZNS1_21segmented_reduce_implIS3_PKdPdPKldN6hipcub16HIPCUB_304000_NS6detail27convert_result_type_wrapperIS8_S9_N2at6native12_GLOBAL__N_19CustomSumEEEEE10hipError_tPvRmT0_T1_jT2_SQ_T4_T3_P12ihipStream_tbEUlT_E_NS1_11comp_targetILNS1_3genE3ELNS1_11target_archE908ELNS1_3gpuE7ELNS1_3repE0EEENS1_30default_config_static_selectorELNS0_4arch9wavefront6targetE0EEEvSP_
		.amdhsa_group_segment_fixed_size 0
		.amdhsa_private_segment_fixed_size 0
		.amdhsa_kernarg_size 56
		.amdhsa_user_sgpr_count 2
		.amdhsa_user_sgpr_dispatch_ptr 0
		.amdhsa_user_sgpr_queue_ptr 0
		.amdhsa_user_sgpr_kernarg_segment_ptr 1
		.amdhsa_user_sgpr_dispatch_id 0
		.amdhsa_user_sgpr_kernarg_preload_length 0
		.amdhsa_user_sgpr_kernarg_preload_offset 0
		.amdhsa_user_sgpr_private_segment_size 0
		.amdhsa_wavefront_size32 1
		.amdhsa_uses_dynamic_stack 0
		.amdhsa_enable_private_segment 0
		.amdhsa_system_sgpr_workgroup_id_x 1
		.amdhsa_system_sgpr_workgroup_id_y 0
		.amdhsa_system_sgpr_workgroup_id_z 0
		.amdhsa_system_sgpr_workgroup_info 0
		.amdhsa_system_vgpr_workitem_id 0
		.amdhsa_next_free_vgpr 1
		.amdhsa_next_free_sgpr 1
		.amdhsa_named_barrier_count 0
		.amdhsa_reserve_vcc 0
		.amdhsa_float_round_mode_32 0
		.amdhsa_float_round_mode_16_64 0
		.amdhsa_float_denorm_mode_32 3
		.amdhsa_float_denorm_mode_16_64 3
		.amdhsa_fp16_overflow 0
		.amdhsa_memory_ordered 1
		.amdhsa_forward_progress 1
		.amdhsa_inst_pref_size 0
		.amdhsa_round_robin_scheduling 0
		.amdhsa_exception_fp_ieee_invalid_op 0
		.amdhsa_exception_fp_denorm_src 0
		.amdhsa_exception_fp_ieee_div_zero 0
		.amdhsa_exception_fp_ieee_overflow 0
		.amdhsa_exception_fp_ieee_underflow 0
		.amdhsa_exception_fp_ieee_inexact 0
		.amdhsa_exception_int_div_zero 0
	.end_amdhsa_kernel
	.section	.text._ZN7rocprim17ROCPRIM_400000_NS6detail17trampoline_kernelINS0_14default_configENS1_32segmented_reduce_config_selectorIdEEZNS1_21segmented_reduce_implIS3_PKdPdPKldN6hipcub16HIPCUB_304000_NS6detail27convert_result_type_wrapperIS8_S9_N2at6native12_GLOBAL__N_19CustomSumEEEEE10hipError_tPvRmT0_T1_jT2_SQ_T4_T3_P12ihipStream_tbEUlT_E_NS1_11comp_targetILNS1_3genE3ELNS1_11target_archE908ELNS1_3gpuE7ELNS1_3repE0EEENS1_30default_config_static_selectorELNS0_4arch9wavefront6targetE0EEEvSP_,"axG",@progbits,_ZN7rocprim17ROCPRIM_400000_NS6detail17trampoline_kernelINS0_14default_configENS1_32segmented_reduce_config_selectorIdEEZNS1_21segmented_reduce_implIS3_PKdPdPKldN6hipcub16HIPCUB_304000_NS6detail27convert_result_type_wrapperIS8_S9_N2at6native12_GLOBAL__N_19CustomSumEEEEE10hipError_tPvRmT0_T1_jT2_SQ_T4_T3_P12ihipStream_tbEUlT_E_NS1_11comp_targetILNS1_3genE3ELNS1_11target_archE908ELNS1_3gpuE7ELNS1_3repE0EEENS1_30default_config_static_selectorELNS0_4arch9wavefront6targetE0EEEvSP_,comdat
.Lfunc_end157:
	.size	_ZN7rocprim17ROCPRIM_400000_NS6detail17trampoline_kernelINS0_14default_configENS1_32segmented_reduce_config_selectorIdEEZNS1_21segmented_reduce_implIS3_PKdPdPKldN6hipcub16HIPCUB_304000_NS6detail27convert_result_type_wrapperIS8_S9_N2at6native12_GLOBAL__N_19CustomSumEEEEE10hipError_tPvRmT0_T1_jT2_SQ_T4_T3_P12ihipStream_tbEUlT_E_NS1_11comp_targetILNS1_3genE3ELNS1_11target_archE908ELNS1_3gpuE7ELNS1_3repE0EEENS1_30default_config_static_selectorELNS0_4arch9wavefront6targetE0EEEvSP_, .Lfunc_end157-_ZN7rocprim17ROCPRIM_400000_NS6detail17trampoline_kernelINS0_14default_configENS1_32segmented_reduce_config_selectorIdEEZNS1_21segmented_reduce_implIS3_PKdPdPKldN6hipcub16HIPCUB_304000_NS6detail27convert_result_type_wrapperIS8_S9_N2at6native12_GLOBAL__N_19CustomSumEEEEE10hipError_tPvRmT0_T1_jT2_SQ_T4_T3_P12ihipStream_tbEUlT_E_NS1_11comp_targetILNS1_3genE3ELNS1_11target_archE908ELNS1_3gpuE7ELNS1_3repE0EEENS1_30default_config_static_selectorELNS0_4arch9wavefront6targetE0EEEvSP_
                                        ; -- End function
	.set _ZN7rocprim17ROCPRIM_400000_NS6detail17trampoline_kernelINS0_14default_configENS1_32segmented_reduce_config_selectorIdEEZNS1_21segmented_reduce_implIS3_PKdPdPKldN6hipcub16HIPCUB_304000_NS6detail27convert_result_type_wrapperIS8_S9_N2at6native12_GLOBAL__N_19CustomSumEEEEE10hipError_tPvRmT0_T1_jT2_SQ_T4_T3_P12ihipStream_tbEUlT_E_NS1_11comp_targetILNS1_3genE3ELNS1_11target_archE908ELNS1_3gpuE7ELNS1_3repE0EEENS1_30default_config_static_selectorELNS0_4arch9wavefront6targetE0EEEvSP_.num_vgpr, 0
	.set _ZN7rocprim17ROCPRIM_400000_NS6detail17trampoline_kernelINS0_14default_configENS1_32segmented_reduce_config_selectorIdEEZNS1_21segmented_reduce_implIS3_PKdPdPKldN6hipcub16HIPCUB_304000_NS6detail27convert_result_type_wrapperIS8_S9_N2at6native12_GLOBAL__N_19CustomSumEEEEE10hipError_tPvRmT0_T1_jT2_SQ_T4_T3_P12ihipStream_tbEUlT_E_NS1_11comp_targetILNS1_3genE3ELNS1_11target_archE908ELNS1_3gpuE7ELNS1_3repE0EEENS1_30default_config_static_selectorELNS0_4arch9wavefront6targetE0EEEvSP_.num_agpr, 0
	.set _ZN7rocprim17ROCPRIM_400000_NS6detail17trampoline_kernelINS0_14default_configENS1_32segmented_reduce_config_selectorIdEEZNS1_21segmented_reduce_implIS3_PKdPdPKldN6hipcub16HIPCUB_304000_NS6detail27convert_result_type_wrapperIS8_S9_N2at6native12_GLOBAL__N_19CustomSumEEEEE10hipError_tPvRmT0_T1_jT2_SQ_T4_T3_P12ihipStream_tbEUlT_E_NS1_11comp_targetILNS1_3genE3ELNS1_11target_archE908ELNS1_3gpuE7ELNS1_3repE0EEENS1_30default_config_static_selectorELNS0_4arch9wavefront6targetE0EEEvSP_.numbered_sgpr, 0
	.set _ZN7rocprim17ROCPRIM_400000_NS6detail17trampoline_kernelINS0_14default_configENS1_32segmented_reduce_config_selectorIdEEZNS1_21segmented_reduce_implIS3_PKdPdPKldN6hipcub16HIPCUB_304000_NS6detail27convert_result_type_wrapperIS8_S9_N2at6native12_GLOBAL__N_19CustomSumEEEEE10hipError_tPvRmT0_T1_jT2_SQ_T4_T3_P12ihipStream_tbEUlT_E_NS1_11comp_targetILNS1_3genE3ELNS1_11target_archE908ELNS1_3gpuE7ELNS1_3repE0EEENS1_30default_config_static_selectorELNS0_4arch9wavefront6targetE0EEEvSP_.num_named_barrier, 0
	.set _ZN7rocprim17ROCPRIM_400000_NS6detail17trampoline_kernelINS0_14default_configENS1_32segmented_reduce_config_selectorIdEEZNS1_21segmented_reduce_implIS3_PKdPdPKldN6hipcub16HIPCUB_304000_NS6detail27convert_result_type_wrapperIS8_S9_N2at6native12_GLOBAL__N_19CustomSumEEEEE10hipError_tPvRmT0_T1_jT2_SQ_T4_T3_P12ihipStream_tbEUlT_E_NS1_11comp_targetILNS1_3genE3ELNS1_11target_archE908ELNS1_3gpuE7ELNS1_3repE0EEENS1_30default_config_static_selectorELNS0_4arch9wavefront6targetE0EEEvSP_.private_seg_size, 0
	.set _ZN7rocprim17ROCPRIM_400000_NS6detail17trampoline_kernelINS0_14default_configENS1_32segmented_reduce_config_selectorIdEEZNS1_21segmented_reduce_implIS3_PKdPdPKldN6hipcub16HIPCUB_304000_NS6detail27convert_result_type_wrapperIS8_S9_N2at6native12_GLOBAL__N_19CustomSumEEEEE10hipError_tPvRmT0_T1_jT2_SQ_T4_T3_P12ihipStream_tbEUlT_E_NS1_11comp_targetILNS1_3genE3ELNS1_11target_archE908ELNS1_3gpuE7ELNS1_3repE0EEENS1_30default_config_static_selectorELNS0_4arch9wavefront6targetE0EEEvSP_.uses_vcc, 0
	.set _ZN7rocprim17ROCPRIM_400000_NS6detail17trampoline_kernelINS0_14default_configENS1_32segmented_reduce_config_selectorIdEEZNS1_21segmented_reduce_implIS3_PKdPdPKldN6hipcub16HIPCUB_304000_NS6detail27convert_result_type_wrapperIS8_S9_N2at6native12_GLOBAL__N_19CustomSumEEEEE10hipError_tPvRmT0_T1_jT2_SQ_T4_T3_P12ihipStream_tbEUlT_E_NS1_11comp_targetILNS1_3genE3ELNS1_11target_archE908ELNS1_3gpuE7ELNS1_3repE0EEENS1_30default_config_static_selectorELNS0_4arch9wavefront6targetE0EEEvSP_.uses_flat_scratch, 0
	.set _ZN7rocprim17ROCPRIM_400000_NS6detail17trampoline_kernelINS0_14default_configENS1_32segmented_reduce_config_selectorIdEEZNS1_21segmented_reduce_implIS3_PKdPdPKldN6hipcub16HIPCUB_304000_NS6detail27convert_result_type_wrapperIS8_S9_N2at6native12_GLOBAL__N_19CustomSumEEEEE10hipError_tPvRmT0_T1_jT2_SQ_T4_T3_P12ihipStream_tbEUlT_E_NS1_11comp_targetILNS1_3genE3ELNS1_11target_archE908ELNS1_3gpuE7ELNS1_3repE0EEENS1_30default_config_static_selectorELNS0_4arch9wavefront6targetE0EEEvSP_.has_dyn_sized_stack, 0
	.set _ZN7rocprim17ROCPRIM_400000_NS6detail17trampoline_kernelINS0_14default_configENS1_32segmented_reduce_config_selectorIdEEZNS1_21segmented_reduce_implIS3_PKdPdPKldN6hipcub16HIPCUB_304000_NS6detail27convert_result_type_wrapperIS8_S9_N2at6native12_GLOBAL__N_19CustomSumEEEEE10hipError_tPvRmT0_T1_jT2_SQ_T4_T3_P12ihipStream_tbEUlT_E_NS1_11comp_targetILNS1_3genE3ELNS1_11target_archE908ELNS1_3gpuE7ELNS1_3repE0EEENS1_30default_config_static_selectorELNS0_4arch9wavefront6targetE0EEEvSP_.has_recursion, 0
	.set _ZN7rocprim17ROCPRIM_400000_NS6detail17trampoline_kernelINS0_14default_configENS1_32segmented_reduce_config_selectorIdEEZNS1_21segmented_reduce_implIS3_PKdPdPKldN6hipcub16HIPCUB_304000_NS6detail27convert_result_type_wrapperIS8_S9_N2at6native12_GLOBAL__N_19CustomSumEEEEE10hipError_tPvRmT0_T1_jT2_SQ_T4_T3_P12ihipStream_tbEUlT_E_NS1_11comp_targetILNS1_3genE3ELNS1_11target_archE908ELNS1_3gpuE7ELNS1_3repE0EEENS1_30default_config_static_selectorELNS0_4arch9wavefront6targetE0EEEvSP_.has_indirect_call, 0
	.section	.AMDGPU.csdata,"",@progbits
; Kernel info:
; codeLenInByte = 0
; TotalNumSgprs: 0
; NumVgprs: 0
; ScratchSize: 0
; MemoryBound: 0
; FloatMode: 240
; IeeeMode: 1
; LDSByteSize: 0 bytes/workgroup (compile time only)
; SGPRBlocks: 0
; VGPRBlocks: 0
; NumSGPRsForWavesPerEU: 1
; NumVGPRsForWavesPerEU: 1
; NamedBarCnt: 0
; Occupancy: 16
; WaveLimiterHint : 0
; COMPUTE_PGM_RSRC2:SCRATCH_EN: 0
; COMPUTE_PGM_RSRC2:USER_SGPR: 2
; COMPUTE_PGM_RSRC2:TRAP_HANDLER: 0
; COMPUTE_PGM_RSRC2:TGID_X_EN: 1
; COMPUTE_PGM_RSRC2:TGID_Y_EN: 0
; COMPUTE_PGM_RSRC2:TGID_Z_EN: 0
; COMPUTE_PGM_RSRC2:TIDIG_COMP_CNT: 0
	.section	.text._ZN7rocprim17ROCPRIM_400000_NS6detail17trampoline_kernelINS0_14default_configENS1_32segmented_reduce_config_selectorIdEEZNS1_21segmented_reduce_implIS3_PKdPdPKldN6hipcub16HIPCUB_304000_NS6detail27convert_result_type_wrapperIS8_S9_N2at6native12_GLOBAL__N_19CustomSumEEEEE10hipError_tPvRmT0_T1_jT2_SQ_T4_T3_P12ihipStream_tbEUlT_E_NS1_11comp_targetILNS1_3genE2ELNS1_11target_archE906ELNS1_3gpuE6ELNS1_3repE0EEENS1_30default_config_static_selectorELNS0_4arch9wavefront6targetE0EEEvSP_,"axG",@progbits,_ZN7rocprim17ROCPRIM_400000_NS6detail17trampoline_kernelINS0_14default_configENS1_32segmented_reduce_config_selectorIdEEZNS1_21segmented_reduce_implIS3_PKdPdPKldN6hipcub16HIPCUB_304000_NS6detail27convert_result_type_wrapperIS8_S9_N2at6native12_GLOBAL__N_19CustomSumEEEEE10hipError_tPvRmT0_T1_jT2_SQ_T4_T3_P12ihipStream_tbEUlT_E_NS1_11comp_targetILNS1_3genE2ELNS1_11target_archE906ELNS1_3gpuE6ELNS1_3repE0EEENS1_30default_config_static_selectorELNS0_4arch9wavefront6targetE0EEEvSP_,comdat
	.globl	_ZN7rocprim17ROCPRIM_400000_NS6detail17trampoline_kernelINS0_14default_configENS1_32segmented_reduce_config_selectorIdEEZNS1_21segmented_reduce_implIS3_PKdPdPKldN6hipcub16HIPCUB_304000_NS6detail27convert_result_type_wrapperIS8_S9_N2at6native12_GLOBAL__N_19CustomSumEEEEE10hipError_tPvRmT0_T1_jT2_SQ_T4_T3_P12ihipStream_tbEUlT_E_NS1_11comp_targetILNS1_3genE2ELNS1_11target_archE906ELNS1_3gpuE6ELNS1_3repE0EEENS1_30default_config_static_selectorELNS0_4arch9wavefront6targetE0EEEvSP_ ; -- Begin function _ZN7rocprim17ROCPRIM_400000_NS6detail17trampoline_kernelINS0_14default_configENS1_32segmented_reduce_config_selectorIdEEZNS1_21segmented_reduce_implIS3_PKdPdPKldN6hipcub16HIPCUB_304000_NS6detail27convert_result_type_wrapperIS8_S9_N2at6native12_GLOBAL__N_19CustomSumEEEEE10hipError_tPvRmT0_T1_jT2_SQ_T4_T3_P12ihipStream_tbEUlT_E_NS1_11comp_targetILNS1_3genE2ELNS1_11target_archE906ELNS1_3gpuE6ELNS1_3repE0EEENS1_30default_config_static_selectorELNS0_4arch9wavefront6targetE0EEEvSP_
	.p2align	8
	.type	_ZN7rocprim17ROCPRIM_400000_NS6detail17trampoline_kernelINS0_14default_configENS1_32segmented_reduce_config_selectorIdEEZNS1_21segmented_reduce_implIS3_PKdPdPKldN6hipcub16HIPCUB_304000_NS6detail27convert_result_type_wrapperIS8_S9_N2at6native12_GLOBAL__N_19CustomSumEEEEE10hipError_tPvRmT0_T1_jT2_SQ_T4_T3_P12ihipStream_tbEUlT_E_NS1_11comp_targetILNS1_3genE2ELNS1_11target_archE906ELNS1_3gpuE6ELNS1_3repE0EEENS1_30default_config_static_selectorELNS0_4arch9wavefront6targetE0EEEvSP_,@function
_ZN7rocprim17ROCPRIM_400000_NS6detail17trampoline_kernelINS0_14default_configENS1_32segmented_reduce_config_selectorIdEEZNS1_21segmented_reduce_implIS3_PKdPdPKldN6hipcub16HIPCUB_304000_NS6detail27convert_result_type_wrapperIS8_S9_N2at6native12_GLOBAL__N_19CustomSumEEEEE10hipError_tPvRmT0_T1_jT2_SQ_T4_T3_P12ihipStream_tbEUlT_E_NS1_11comp_targetILNS1_3genE2ELNS1_11target_archE906ELNS1_3gpuE6ELNS1_3repE0EEENS1_30default_config_static_selectorELNS0_4arch9wavefront6targetE0EEEvSP_: ; @_ZN7rocprim17ROCPRIM_400000_NS6detail17trampoline_kernelINS0_14default_configENS1_32segmented_reduce_config_selectorIdEEZNS1_21segmented_reduce_implIS3_PKdPdPKldN6hipcub16HIPCUB_304000_NS6detail27convert_result_type_wrapperIS8_S9_N2at6native12_GLOBAL__N_19CustomSumEEEEE10hipError_tPvRmT0_T1_jT2_SQ_T4_T3_P12ihipStream_tbEUlT_E_NS1_11comp_targetILNS1_3genE2ELNS1_11target_archE906ELNS1_3gpuE6ELNS1_3repE0EEENS1_30default_config_static_selectorELNS0_4arch9wavefront6targetE0EEEvSP_
; %bb.0:
	.section	.rodata,"a",@progbits
	.p2align	6, 0x0
	.amdhsa_kernel _ZN7rocprim17ROCPRIM_400000_NS6detail17trampoline_kernelINS0_14default_configENS1_32segmented_reduce_config_selectorIdEEZNS1_21segmented_reduce_implIS3_PKdPdPKldN6hipcub16HIPCUB_304000_NS6detail27convert_result_type_wrapperIS8_S9_N2at6native12_GLOBAL__N_19CustomSumEEEEE10hipError_tPvRmT0_T1_jT2_SQ_T4_T3_P12ihipStream_tbEUlT_E_NS1_11comp_targetILNS1_3genE2ELNS1_11target_archE906ELNS1_3gpuE6ELNS1_3repE0EEENS1_30default_config_static_selectorELNS0_4arch9wavefront6targetE0EEEvSP_
		.amdhsa_group_segment_fixed_size 0
		.amdhsa_private_segment_fixed_size 0
		.amdhsa_kernarg_size 56
		.amdhsa_user_sgpr_count 2
		.amdhsa_user_sgpr_dispatch_ptr 0
		.amdhsa_user_sgpr_queue_ptr 0
		.amdhsa_user_sgpr_kernarg_segment_ptr 1
		.amdhsa_user_sgpr_dispatch_id 0
		.amdhsa_user_sgpr_kernarg_preload_length 0
		.amdhsa_user_sgpr_kernarg_preload_offset 0
		.amdhsa_user_sgpr_private_segment_size 0
		.amdhsa_wavefront_size32 1
		.amdhsa_uses_dynamic_stack 0
		.amdhsa_enable_private_segment 0
		.amdhsa_system_sgpr_workgroup_id_x 1
		.amdhsa_system_sgpr_workgroup_id_y 0
		.amdhsa_system_sgpr_workgroup_id_z 0
		.amdhsa_system_sgpr_workgroup_info 0
		.amdhsa_system_vgpr_workitem_id 0
		.amdhsa_next_free_vgpr 1
		.amdhsa_next_free_sgpr 1
		.amdhsa_named_barrier_count 0
		.amdhsa_reserve_vcc 0
		.amdhsa_float_round_mode_32 0
		.amdhsa_float_round_mode_16_64 0
		.amdhsa_float_denorm_mode_32 3
		.amdhsa_float_denorm_mode_16_64 3
		.amdhsa_fp16_overflow 0
		.amdhsa_memory_ordered 1
		.amdhsa_forward_progress 1
		.amdhsa_inst_pref_size 0
		.amdhsa_round_robin_scheduling 0
		.amdhsa_exception_fp_ieee_invalid_op 0
		.amdhsa_exception_fp_denorm_src 0
		.amdhsa_exception_fp_ieee_div_zero 0
		.amdhsa_exception_fp_ieee_overflow 0
		.amdhsa_exception_fp_ieee_underflow 0
		.amdhsa_exception_fp_ieee_inexact 0
		.amdhsa_exception_int_div_zero 0
	.end_amdhsa_kernel
	.section	.text._ZN7rocprim17ROCPRIM_400000_NS6detail17trampoline_kernelINS0_14default_configENS1_32segmented_reduce_config_selectorIdEEZNS1_21segmented_reduce_implIS3_PKdPdPKldN6hipcub16HIPCUB_304000_NS6detail27convert_result_type_wrapperIS8_S9_N2at6native12_GLOBAL__N_19CustomSumEEEEE10hipError_tPvRmT0_T1_jT2_SQ_T4_T3_P12ihipStream_tbEUlT_E_NS1_11comp_targetILNS1_3genE2ELNS1_11target_archE906ELNS1_3gpuE6ELNS1_3repE0EEENS1_30default_config_static_selectorELNS0_4arch9wavefront6targetE0EEEvSP_,"axG",@progbits,_ZN7rocprim17ROCPRIM_400000_NS6detail17trampoline_kernelINS0_14default_configENS1_32segmented_reduce_config_selectorIdEEZNS1_21segmented_reduce_implIS3_PKdPdPKldN6hipcub16HIPCUB_304000_NS6detail27convert_result_type_wrapperIS8_S9_N2at6native12_GLOBAL__N_19CustomSumEEEEE10hipError_tPvRmT0_T1_jT2_SQ_T4_T3_P12ihipStream_tbEUlT_E_NS1_11comp_targetILNS1_3genE2ELNS1_11target_archE906ELNS1_3gpuE6ELNS1_3repE0EEENS1_30default_config_static_selectorELNS0_4arch9wavefront6targetE0EEEvSP_,comdat
.Lfunc_end158:
	.size	_ZN7rocprim17ROCPRIM_400000_NS6detail17trampoline_kernelINS0_14default_configENS1_32segmented_reduce_config_selectorIdEEZNS1_21segmented_reduce_implIS3_PKdPdPKldN6hipcub16HIPCUB_304000_NS6detail27convert_result_type_wrapperIS8_S9_N2at6native12_GLOBAL__N_19CustomSumEEEEE10hipError_tPvRmT0_T1_jT2_SQ_T4_T3_P12ihipStream_tbEUlT_E_NS1_11comp_targetILNS1_3genE2ELNS1_11target_archE906ELNS1_3gpuE6ELNS1_3repE0EEENS1_30default_config_static_selectorELNS0_4arch9wavefront6targetE0EEEvSP_, .Lfunc_end158-_ZN7rocprim17ROCPRIM_400000_NS6detail17trampoline_kernelINS0_14default_configENS1_32segmented_reduce_config_selectorIdEEZNS1_21segmented_reduce_implIS3_PKdPdPKldN6hipcub16HIPCUB_304000_NS6detail27convert_result_type_wrapperIS8_S9_N2at6native12_GLOBAL__N_19CustomSumEEEEE10hipError_tPvRmT0_T1_jT2_SQ_T4_T3_P12ihipStream_tbEUlT_E_NS1_11comp_targetILNS1_3genE2ELNS1_11target_archE906ELNS1_3gpuE6ELNS1_3repE0EEENS1_30default_config_static_selectorELNS0_4arch9wavefront6targetE0EEEvSP_
                                        ; -- End function
	.set _ZN7rocprim17ROCPRIM_400000_NS6detail17trampoline_kernelINS0_14default_configENS1_32segmented_reduce_config_selectorIdEEZNS1_21segmented_reduce_implIS3_PKdPdPKldN6hipcub16HIPCUB_304000_NS6detail27convert_result_type_wrapperIS8_S9_N2at6native12_GLOBAL__N_19CustomSumEEEEE10hipError_tPvRmT0_T1_jT2_SQ_T4_T3_P12ihipStream_tbEUlT_E_NS1_11comp_targetILNS1_3genE2ELNS1_11target_archE906ELNS1_3gpuE6ELNS1_3repE0EEENS1_30default_config_static_selectorELNS0_4arch9wavefront6targetE0EEEvSP_.num_vgpr, 0
	.set _ZN7rocprim17ROCPRIM_400000_NS6detail17trampoline_kernelINS0_14default_configENS1_32segmented_reduce_config_selectorIdEEZNS1_21segmented_reduce_implIS3_PKdPdPKldN6hipcub16HIPCUB_304000_NS6detail27convert_result_type_wrapperIS8_S9_N2at6native12_GLOBAL__N_19CustomSumEEEEE10hipError_tPvRmT0_T1_jT2_SQ_T4_T3_P12ihipStream_tbEUlT_E_NS1_11comp_targetILNS1_3genE2ELNS1_11target_archE906ELNS1_3gpuE6ELNS1_3repE0EEENS1_30default_config_static_selectorELNS0_4arch9wavefront6targetE0EEEvSP_.num_agpr, 0
	.set _ZN7rocprim17ROCPRIM_400000_NS6detail17trampoline_kernelINS0_14default_configENS1_32segmented_reduce_config_selectorIdEEZNS1_21segmented_reduce_implIS3_PKdPdPKldN6hipcub16HIPCUB_304000_NS6detail27convert_result_type_wrapperIS8_S9_N2at6native12_GLOBAL__N_19CustomSumEEEEE10hipError_tPvRmT0_T1_jT2_SQ_T4_T3_P12ihipStream_tbEUlT_E_NS1_11comp_targetILNS1_3genE2ELNS1_11target_archE906ELNS1_3gpuE6ELNS1_3repE0EEENS1_30default_config_static_selectorELNS0_4arch9wavefront6targetE0EEEvSP_.numbered_sgpr, 0
	.set _ZN7rocprim17ROCPRIM_400000_NS6detail17trampoline_kernelINS0_14default_configENS1_32segmented_reduce_config_selectorIdEEZNS1_21segmented_reduce_implIS3_PKdPdPKldN6hipcub16HIPCUB_304000_NS6detail27convert_result_type_wrapperIS8_S9_N2at6native12_GLOBAL__N_19CustomSumEEEEE10hipError_tPvRmT0_T1_jT2_SQ_T4_T3_P12ihipStream_tbEUlT_E_NS1_11comp_targetILNS1_3genE2ELNS1_11target_archE906ELNS1_3gpuE6ELNS1_3repE0EEENS1_30default_config_static_selectorELNS0_4arch9wavefront6targetE0EEEvSP_.num_named_barrier, 0
	.set _ZN7rocprim17ROCPRIM_400000_NS6detail17trampoline_kernelINS0_14default_configENS1_32segmented_reduce_config_selectorIdEEZNS1_21segmented_reduce_implIS3_PKdPdPKldN6hipcub16HIPCUB_304000_NS6detail27convert_result_type_wrapperIS8_S9_N2at6native12_GLOBAL__N_19CustomSumEEEEE10hipError_tPvRmT0_T1_jT2_SQ_T4_T3_P12ihipStream_tbEUlT_E_NS1_11comp_targetILNS1_3genE2ELNS1_11target_archE906ELNS1_3gpuE6ELNS1_3repE0EEENS1_30default_config_static_selectorELNS0_4arch9wavefront6targetE0EEEvSP_.private_seg_size, 0
	.set _ZN7rocprim17ROCPRIM_400000_NS6detail17trampoline_kernelINS0_14default_configENS1_32segmented_reduce_config_selectorIdEEZNS1_21segmented_reduce_implIS3_PKdPdPKldN6hipcub16HIPCUB_304000_NS6detail27convert_result_type_wrapperIS8_S9_N2at6native12_GLOBAL__N_19CustomSumEEEEE10hipError_tPvRmT0_T1_jT2_SQ_T4_T3_P12ihipStream_tbEUlT_E_NS1_11comp_targetILNS1_3genE2ELNS1_11target_archE906ELNS1_3gpuE6ELNS1_3repE0EEENS1_30default_config_static_selectorELNS0_4arch9wavefront6targetE0EEEvSP_.uses_vcc, 0
	.set _ZN7rocprim17ROCPRIM_400000_NS6detail17trampoline_kernelINS0_14default_configENS1_32segmented_reduce_config_selectorIdEEZNS1_21segmented_reduce_implIS3_PKdPdPKldN6hipcub16HIPCUB_304000_NS6detail27convert_result_type_wrapperIS8_S9_N2at6native12_GLOBAL__N_19CustomSumEEEEE10hipError_tPvRmT0_T1_jT2_SQ_T4_T3_P12ihipStream_tbEUlT_E_NS1_11comp_targetILNS1_3genE2ELNS1_11target_archE906ELNS1_3gpuE6ELNS1_3repE0EEENS1_30default_config_static_selectorELNS0_4arch9wavefront6targetE0EEEvSP_.uses_flat_scratch, 0
	.set _ZN7rocprim17ROCPRIM_400000_NS6detail17trampoline_kernelINS0_14default_configENS1_32segmented_reduce_config_selectorIdEEZNS1_21segmented_reduce_implIS3_PKdPdPKldN6hipcub16HIPCUB_304000_NS6detail27convert_result_type_wrapperIS8_S9_N2at6native12_GLOBAL__N_19CustomSumEEEEE10hipError_tPvRmT0_T1_jT2_SQ_T4_T3_P12ihipStream_tbEUlT_E_NS1_11comp_targetILNS1_3genE2ELNS1_11target_archE906ELNS1_3gpuE6ELNS1_3repE0EEENS1_30default_config_static_selectorELNS0_4arch9wavefront6targetE0EEEvSP_.has_dyn_sized_stack, 0
	.set _ZN7rocprim17ROCPRIM_400000_NS6detail17trampoline_kernelINS0_14default_configENS1_32segmented_reduce_config_selectorIdEEZNS1_21segmented_reduce_implIS3_PKdPdPKldN6hipcub16HIPCUB_304000_NS6detail27convert_result_type_wrapperIS8_S9_N2at6native12_GLOBAL__N_19CustomSumEEEEE10hipError_tPvRmT0_T1_jT2_SQ_T4_T3_P12ihipStream_tbEUlT_E_NS1_11comp_targetILNS1_3genE2ELNS1_11target_archE906ELNS1_3gpuE6ELNS1_3repE0EEENS1_30default_config_static_selectorELNS0_4arch9wavefront6targetE0EEEvSP_.has_recursion, 0
	.set _ZN7rocprim17ROCPRIM_400000_NS6detail17trampoline_kernelINS0_14default_configENS1_32segmented_reduce_config_selectorIdEEZNS1_21segmented_reduce_implIS3_PKdPdPKldN6hipcub16HIPCUB_304000_NS6detail27convert_result_type_wrapperIS8_S9_N2at6native12_GLOBAL__N_19CustomSumEEEEE10hipError_tPvRmT0_T1_jT2_SQ_T4_T3_P12ihipStream_tbEUlT_E_NS1_11comp_targetILNS1_3genE2ELNS1_11target_archE906ELNS1_3gpuE6ELNS1_3repE0EEENS1_30default_config_static_selectorELNS0_4arch9wavefront6targetE0EEEvSP_.has_indirect_call, 0
	.section	.AMDGPU.csdata,"",@progbits
; Kernel info:
; codeLenInByte = 0
; TotalNumSgprs: 0
; NumVgprs: 0
; ScratchSize: 0
; MemoryBound: 0
; FloatMode: 240
; IeeeMode: 1
; LDSByteSize: 0 bytes/workgroup (compile time only)
; SGPRBlocks: 0
; VGPRBlocks: 0
; NumSGPRsForWavesPerEU: 1
; NumVGPRsForWavesPerEU: 1
; NamedBarCnt: 0
; Occupancy: 16
; WaveLimiterHint : 0
; COMPUTE_PGM_RSRC2:SCRATCH_EN: 0
; COMPUTE_PGM_RSRC2:USER_SGPR: 2
; COMPUTE_PGM_RSRC2:TRAP_HANDLER: 0
; COMPUTE_PGM_RSRC2:TGID_X_EN: 1
; COMPUTE_PGM_RSRC2:TGID_Y_EN: 0
; COMPUTE_PGM_RSRC2:TGID_Z_EN: 0
; COMPUTE_PGM_RSRC2:TIDIG_COMP_CNT: 0
	.section	.text._ZN7rocprim17ROCPRIM_400000_NS6detail17trampoline_kernelINS0_14default_configENS1_32segmented_reduce_config_selectorIdEEZNS1_21segmented_reduce_implIS3_PKdPdPKldN6hipcub16HIPCUB_304000_NS6detail27convert_result_type_wrapperIS8_S9_N2at6native12_GLOBAL__N_19CustomSumEEEEE10hipError_tPvRmT0_T1_jT2_SQ_T4_T3_P12ihipStream_tbEUlT_E_NS1_11comp_targetILNS1_3genE9ELNS1_11target_archE1100ELNS1_3gpuE3ELNS1_3repE0EEENS1_30default_config_static_selectorELNS0_4arch9wavefront6targetE0EEEvSP_,"axG",@progbits,_ZN7rocprim17ROCPRIM_400000_NS6detail17trampoline_kernelINS0_14default_configENS1_32segmented_reduce_config_selectorIdEEZNS1_21segmented_reduce_implIS3_PKdPdPKldN6hipcub16HIPCUB_304000_NS6detail27convert_result_type_wrapperIS8_S9_N2at6native12_GLOBAL__N_19CustomSumEEEEE10hipError_tPvRmT0_T1_jT2_SQ_T4_T3_P12ihipStream_tbEUlT_E_NS1_11comp_targetILNS1_3genE9ELNS1_11target_archE1100ELNS1_3gpuE3ELNS1_3repE0EEENS1_30default_config_static_selectorELNS0_4arch9wavefront6targetE0EEEvSP_,comdat
	.globl	_ZN7rocprim17ROCPRIM_400000_NS6detail17trampoline_kernelINS0_14default_configENS1_32segmented_reduce_config_selectorIdEEZNS1_21segmented_reduce_implIS3_PKdPdPKldN6hipcub16HIPCUB_304000_NS6detail27convert_result_type_wrapperIS8_S9_N2at6native12_GLOBAL__N_19CustomSumEEEEE10hipError_tPvRmT0_T1_jT2_SQ_T4_T3_P12ihipStream_tbEUlT_E_NS1_11comp_targetILNS1_3genE9ELNS1_11target_archE1100ELNS1_3gpuE3ELNS1_3repE0EEENS1_30default_config_static_selectorELNS0_4arch9wavefront6targetE0EEEvSP_ ; -- Begin function _ZN7rocprim17ROCPRIM_400000_NS6detail17trampoline_kernelINS0_14default_configENS1_32segmented_reduce_config_selectorIdEEZNS1_21segmented_reduce_implIS3_PKdPdPKldN6hipcub16HIPCUB_304000_NS6detail27convert_result_type_wrapperIS8_S9_N2at6native12_GLOBAL__N_19CustomSumEEEEE10hipError_tPvRmT0_T1_jT2_SQ_T4_T3_P12ihipStream_tbEUlT_E_NS1_11comp_targetILNS1_3genE9ELNS1_11target_archE1100ELNS1_3gpuE3ELNS1_3repE0EEENS1_30default_config_static_selectorELNS0_4arch9wavefront6targetE0EEEvSP_
	.p2align	8
	.type	_ZN7rocprim17ROCPRIM_400000_NS6detail17trampoline_kernelINS0_14default_configENS1_32segmented_reduce_config_selectorIdEEZNS1_21segmented_reduce_implIS3_PKdPdPKldN6hipcub16HIPCUB_304000_NS6detail27convert_result_type_wrapperIS8_S9_N2at6native12_GLOBAL__N_19CustomSumEEEEE10hipError_tPvRmT0_T1_jT2_SQ_T4_T3_P12ihipStream_tbEUlT_E_NS1_11comp_targetILNS1_3genE9ELNS1_11target_archE1100ELNS1_3gpuE3ELNS1_3repE0EEENS1_30default_config_static_selectorELNS0_4arch9wavefront6targetE0EEEvSP_,@function
_ZN7rocprim17ROCPRIM_400000_NS6detail17trampoline_kernelINS0_14default_configENS1_32segmented_reduce_config_selectorIdEEZNS1_21segmented_reduce_implIS3_PKdPdPKldN6hipcub16HIPCUB_304000_NS6detail27convert_result_type_wrapperIS8_S9_N2at6native12_GLOBAL__N_19CustomSumEEEEE10hipError_tPvRmT0_T1_jT2_SQ_T4_T3_P12ihipStream_tbEUlT_E_NS1_11comp_targetILNS1_3genE9ELNS1_11target_archE1100ELNS1_3gpuE3ELNS1_3repE0EEENS1_30default_config_static_selectorELNS0_4arch9wavefront6targetE0EEEvSP_: ; @_ZN7rocprim17ROCPRIM_400000_NS6detail17trampoline_kernelINS0_14default_configENS1_32segmented_reduce_config_selectorIdEEZNS1_21segmented_reduce_implIS3_PKdPdPKldN6hipcub16HIPCUB_304000_NS6detail27convert_result_type_wrapperIS8_S9_N2at6native12_GLOBAL__N_19CustomSumEEEEE10hipError_tPvRmT0_T1_jT2_SQ_T4_T3_P12ihipStream_tbEUlT_E_NS1_11comp_targetILNS1_3genE9ELNS1_11target_archE1100ELNS1_3gpuE3ELNS1_3repE0EEENS1_30default_config_static_selectorELNS0_4arch9wavefront6targetE0EEEvSP_
; %bb.0:
	.section	.rodata,"a",@progbits
	.p2align	6, 0x0
	.amdhsa_kernel _ZN7rocprim17ROCPRIM_400000_NS6detail17trampoline_kernelINS0_14default_configENS1_32segmented_reduce_config_selectorIdEEZNS1_21segmented_reduce_implIS3_PKdPdPKldN6hipcub16HIPCUB_304000_NS6detail27convert_result_type_wrapperIS8_S9_N2at6native12_GLOBAL__N_19CustomSumEEEEE10hipError_tPvRmT0_T1_jT2_SQ_T4_T3_P12ihipStream_tbEUlT_E_NS1_11comp_targetILNS1_3genE9ELNS1_11target_archE1100ELNS1_3gpuE3ELNS1_3repE0EEENS1_30default_config_static_selectorELNS0_4arch9wavefront6targetE0EEEvSP_
		.amdhsa_group_segment_fixed_size 0
		.amdhsa_private_segment_fixed_size 0
		.amdhsa_kernarg_size 56
		.amdhsa_user_sgpr_count 2
		.amdhsa_user_sgpr_dispatch_ptr 0
		.amdhsa_user_sgpr_queue_ptr 0
		.amdhsa_user_sgpr_kernarg_segment_ptr 1
		.amdhsa_user_sgpr_dispatch_id 0
		.amdhsa_user_sgpr_kernarg_preload_length 0
		.amdhsa_user_sgpr_kernarg_preload_offset 0
		.amdhsa_user_sgpr_private_segment_size 0
		.amdhsa_wavefront_size32 1
		.amdhsa_uses_dynamic_stack 0
		.amdhsa_enable_private_segment 0
		.amdhsa_system_sgpr_workgroup_id_x 1
		.amdhsa_system_sgpr_workgroup_id_y 0
		.amdhsa_system_sgpr_workgroup_id_z 0
		.amdhsa_system_sgpr_workgroup_info 0
		.amdhsa_system_vgpr_workitem_id 0
		.amdhsa_next_free_vgpr 1
		.amdhsa_next_free_sgpr 1
		.amdhsa_named_barrier_count 0
		.amdhsa_reserve_vcc 0
		.amdhsa_float_round_mode_32 0
		.amdhsa_float_round_mode_16_64 0
		.amdhsa_float_denorm_mode_32 3
		.amdhsa_float_denorm_mode_16_64 3
		.amdhsa_fp16_overflow 0
		.amdhsa_memory_ordered 1
		.amdhsa_forward_progress 1
		.amdhsa_inst_pref_size 0
		.amdhsa_round_robin_scheduling 0
		.amdhsa_exception_fp_ieee_invalid_op 0
		.amdhsa_exception_fp_denorm_src 0
		.amdhsa_exception_fp_ieee_div_zero 0
		.amdhsa_exception_fp_ieee_overflow 0
		.amdhsa_exception_fp_ieee_underflow 0
		.amdhsa_exception_fp_ieee_inexact 0
		.amdhsa_exception_int_div_zero 0
	.end_amdhsa_kernel
	.section	.text._ZN7rocprim17ROCPRIM_400000_NS6detail17trampoline_kernelINS0_14default_configENS1_32segmented_reduce_config_selectorIdEEZNS1_21segmented_reduce_implIS3_PKdPdPKldN6hipcub16HIPCUB_304000_NS6detail27convert_result_type_wrapperIS8_S9_N2at6native12_GLOBAL__N_19CustomSumEEEEE10hipError_tPvRmT0_T1_jT2_SQ_T4_T3_P12ihipStream_tbEUlT_E_NS1_11comp_targetILNS1_3genE9ELNS1_11target_archE1100ELNS1_3gpuE3ELNS1_3repE0EEENS1_30default_config_static_selectorELNS0_4arch9wavefront6targetE0EEEvSP_,"axG",@progbits,_ZN7rocprim17ROCPRIM_400000_NS6detail17trampoline_kernelINS0_14default_configENS1_32segmented_reduce_config_selectorIdEEZNS1_21segmented_reduce_implIS3_PKdPdPKldN6hipcub16HIPCUB_304000_NS6detail27convert_result_type_wrapperIS8_S9_N2at6native12_GLOBAL__N_19CustomSumEEEEE10hipError_tPvRmT0_T1_jT2_SQ_T4_T3_P12ihipStream_tbEUlT_E_NS1_11comp_targetILNS1_3genE9ELNS1_11target_archE1100ELNS1_3gpuE3ELNS1_3repE0EEENS1_30default_config_static_selectorELNS0_4arch9wavefront6targetE0EEEvSP_,comdat
.Lfunc_end159:
	.size	_ZN7rocprim17ROCPRIM_400000_NS6detail17trampoline_kernelINS0_14default_configENS1_32segmented_reduce_config_selectorIdEEZNS1_21segmented_reduce_implIS3_PKdPdPKldN6hipcub16HIPCUB_304000_NS6detail27convert_result_type_wrapperIS8_S9_N2at6native12_GLOBAL__N_19CustomSumEEEEE10hipError_tPvRmT0_T1_jT2_SQ_T4_T3_P12ihipStream_tbEUlT_E_NS1_11comp_targetILNS1_3genE9ELNS1_11target_archE1100ELNS1_3gpuE3ELNS1_3repE0EEENS1_30default_config_static_selectorELNS0_4arch9wavefront6targetE0EEEvSP_, .Lfunc_end159-_ZN7rocprim17ROCPRIM_400000_NS6detail17trampoline_kernelINS0_14default_configENS1_32segmented_reduce_config_selectorIdEEZNS1_21segmented_reduce_implIS3_PKdPdPKldN6hipcub16HIPCUB_304000_NS6detail27convert_result_type_wrapperIS8_S9_N2at6native12_GLOBAL__N_19CustomSumEEEEE10hipError_tPvRmT0_T1_jT2_SQ_T4_T3_P12ihipStream_tbEUlT_E_NS1_11comp_targetILNS1_3genE9ELNS1_11target_archE1100ELNS1_3gpuE3ELNS1_3repE0EEENS1_30default_config_static_selectorELNS0_4arch9wavefront6targetE0EEEvSP_
                                        ; -- End function
	.set _ZN7rocprim17ROCPRIM_400000_NS6detail17trampoline_kernelINS0_14default_configENS1_32segmented_reduce_config_selectorIdEEZNS1_21segmented_reduce_implIS3_PKdPdPKldN6hipcub16HIPCUB_304000_NS6detail27convert_result_type_wrapperIS8_S9_N2at6native12_GLOBAL__N_19CustomSumEEEEE10hipError_tPvRmT0_T1_jT2_SQ_T4_T3_P12ihipStream_tbEUlT_E_NS1_11comp_targetILNS1_3genE9ELNS1_11target_archE1100ELNS1_3gpuE3ELNS1_3repE0EEENS1_30default_config_static_selectorELNS0_4arch9wavefront6targetE0EEEvSP_.num_vgpr, 0
	.set _ZN7rocprim17ROCPRIM_400000_NS6detail17trampoline_kernelINS0_14default_configENS1_32segmented_reduce_config_selectorIdEEZNS1_21segmented_reduce_implIS3_PKdPdPKldN6hipcub16HIPCUB_304000_NS6detail27convert_result_type_wrapperIS8_S9_N2at6native12_GLOBAL__N_19CustomSumEEEEE10hipError_tPvRmT0_T1_jT2_SQ_T4_T3_P12ihipStream_tbEUlT_E_NS1_11comp_targetILNS1_3genE9ELNS1_11target_archE1100ELNS1_3gpuE3ELNS1_3repE0EEENS1_30default_config_static_selectorELNS0_4arch9wavefront6targetE0EEEvSP_.num_agpr, 0
	.set _ZN7rocprim17ROCPRIM_400000_NS6detail17trampoline_kernelINS0_14default_configENS1_32segmented_reduce_config_selectorIdEEZNS1_21segmented_reduce_implIS3_PKdPdPKldN6hipcub16HIPCUB_304000_NS6detail27convert_result_type_wrapperIS8_S9_N2at6native12_GLOBAL__N_19CustomSumEEEEE10hipError_tPvRmT0_T1_jT2_SQ_T4_T3_P12ihipStream_tbEUlT_E_NS1_11comp_targetILNS1_3genE9ELNS1_11target_archE1100ELNS1_3gpuE3ELNS1_3repE0EEENS1_30default_config_static_selectorELNS0_4arch9wavefront6targetE0EEEvSP_.numbered_sgpr, 0
	.set _ZN7rocprim17ROCPRIM_400000_NS6detail17trampoline_kernelINS0_14default_configENS1_32segmented_reduce_config_selectorIdEEZNS1_21segmented_reduce_implIS3_PKdPdPKldN6hipcub16HIPCUB_304000_NS6detail27convert_result_type_wrapperIS8_S9_N2at6native12_GLOBAL__N_19CustomSumEEEEE10hipError_tPvRmT0_T1_jT2_SQ_T4_T3_P12ihipStream_tbEUlT_E_NS1_11comp_targetILNS1_3genE9ELNS1_11target_archE1100ELNS1_3gpuE3ELNS1_3repE0EEENS1_30default_config_static_selectorELNS0_4arch9wavefront6targetE0EEEvSP_.num_named_barrier, 0
	.set _ZN7rocprim17ROCPRIM_400000_NS6detail17trampoline_kernelINS0_14default_configENS1_32segmented_reduce_config_selectorIdEEZNS1_21segmented_reduce_implIS3_PKdPdPKldN6hipcub16HIPCUB_304000_NS6detail27convert_result_type_wrapperIS8_S9_N2at6native12_GLOBAL__N_19CustomSumEEEEE10hipError_tPvRmT0_T1_jT2_SQ_T4_T3_P12ihipStream_tbEUlT_E_NS1_11comp_targetILNS1_3genE9ELNS1_11target_archE1100ELNS1_3gpuE3ELNS1_3repE0EEENS1_30default_config_static_selectorELNS0_4arch9wavefront6targetE0EEEvSP_.private_seg_size, 0
	.set _ZN7rocprim17ROCPRIM_400000_NS6detail17trampoline_kernelINS0_14default_configENS1_32segmented_reduce_config_selectorIdEEZNS1_21segmented_reduce_implIS3_PKdPdPKldN6hipcub16HIPCUB_304000_NS6detail27convert_result_type_wrapperIS8_S9_N2at6native12_GLOBAL__N_19CustomSumEEEEE10hipError_tPvRmT0_T1_jT2_SQ_T4_T3_P12ihipStream_tbEUlT_E_NS1_11comp_targetILNS1_3genE9ELNS1_11target_archE1100ELNS1_3gpuE3ELNS1_3repE0EEENS1_30default_config_static_selectorELNS0_4arch9wavefront6targetE0EEEvSP_.uses_vcc, 0
	.set _ZN7rocprim17ROCPRIM_400000_NS6detail17trampoline_kernelINS0_14default_configENS1_32segmented_reduce_config_selectorIdEEZNS1_21segmented_reduce_implIS3_PKdPdPKldN6hipcub16HIPCUB_304000_NS6detail27convert_result_type_wrapperIS8_S9_N2at6native12_GLOBAL__N_19CustomSumEEEEE10hipError_tPvRmT0_T1_jT2_SQ_T4_T3_P12ihipStream_tbEUlT_E_NS1_11comp_targetILNS1_3genE9ELNS1_11target_archE1100ELNS1_3gpuE3ELNS1_3repE0EEENS1_30default_config_static_selectorELNS0_4arch9wavefront6targetE0EEEvSP_.uses_flat_scratch, 0
	.set _ZN7rocprim17ROCPRIM_400000_NS6detail17trampoline_kernelINS0_14default_configENS1_32segmented_reduce_config_selectorIdEEZNS1_21segmented_reduce_implIS3_PKdPdPKldN6hipcub16HIPCUB_304000_NS6detail27convert_result_type_wrapperIS8_S9_N2at6native12_GLOBAL__N_19CustomSumEEEEE10hipError_tPvRmT0_T1_jT2_SQ_T4_T3_P12ihipStream_tbEUlT_E_NS1_11comp_targetILNS1_3genE9ELNS1_11target_archE1100ELNS1_3gpuE3ELNS1_3repE0EEENS1_30default_config_static_selectorELNS0_4arch9wavefront6targetE0EEEvSP_.has_dyn_sized_stack, 0
	.set _ZN7rocprim17ROCPRIM_400000_NS6detail17trampoline_kernelINS0_14default_configENS1_32segmented_reduce_config_selectorIdEEZNS1_21segmented_reduce_implIS3_PKdPdPKldN6hipcub16HIPCUB_304000_NS6detail27convert_result_type_wrapperIS8_S9_N2at6native12_GLOBAL__N_19CustomSumEEEEE10hipError_tPvRmT0_T1_jT2_SQ_T4_T3_P12ihipStream_tbEUlT_E_NS1_11comp_targetILNS1_3genE9ELNS1_11target_archE1100ELNS1_3gpuE3ELNS1_3repE0EEENS1_30default_config_static_selectorELNS0_4arch9wavefront6targetE0EEEvSP_.has_recursion, 0
	.set _ZN7rocprim17ROCPRIM_400000_NS6detail17trampoline_kernelINS0_14default_configENS1_32segmented_reduce_config_selectorIdEEZNS1_21segmented_reduce_implIS3_PKdPdPKldN6hipcub16HIPCUB_304000_NS6detail27convert_result_type_wrapperIS8_S9_N2at6native12_GLOBAL__N_19CustomSumEEEEE10hipError_tPvRmT0_T1_jT2_SQ_T4_T3_P12ihipStream_tbEUlT_E_NS1_11comp_targetILNS1_3genE9ELNS1_11target_archE1100ELNS1_3gpuE3ELNS1_3repE0EEENS1_30default_config_static_selectorELNS0_4arch9wavefront6targetE0EEEvSP_.has_indirect_call, 0
	.section	.AMDGPU.csdata,"",@progbits
; Kernel info:
; codeLenInByte = 0
; TotalNumSgprs: 0
; NumVgprs: 0
; ScratchSize: 0
; MemoryBound: 0
; FloatMode: 240
; IeeeMode: 1
; LDSByteSize: 0 bytes/workgroup (compile time only)
; SGPRBlocks: 0
; VGPRBlocks: 0
; NumSGPRsForWavesPerEU: 1
; NumVGPRsForWavesPerEU: 1
; NamedBarCnt: 0
; Occupancy: 16
; WaveLimiterHint : 0
; COMPUTE_PGM_RSRC2:SCRATCH_EN: 0
; COMPUTE_PGM_RSRC2:USER_SGPR: 2
; COMPUTE_PGM_RSRC2:TRAP_HANDLER: 0
; COMPUTE_PGM_RSRC2:TGID_X_EN: 1
; COMPUTE_PGM_RSRC2:TGID_Y_EN: 0
; COMPUTE_PGM_RSRC2:TGID_Z_EN: 0
; COMPUTE_PGM_RSRC2:TIDIG_COMP_CNT: 0
	.section	.text._ZN7rocprim17ROCPRIM_400000_NS6detail17trampoline_kernelINS0_14default_configENS1_32segmented_reduce_config_selectorIdEEZNS1_21segmented_reduce_implIS3_PKdPdPKldN6hipcub16HIPCUB_304000_NS6detail27convert_result_type_wrapperIS8_S9_N2at6native12_GLOBAL__N_19CustomSumEEEEE10hipError_tPvRmT0_T1_jT2_SQ_T4_T3_P12ihipStream_tbEUlT_E_NS1_11comp_targetILNS1_3genE8ELNS1_11target_archE1030ELNS1_3gpuE2ELNS1_3repE0EEENS1_30default_config_static_selectorELNS0_4arch9wavefront6targetE0EEEvSP_,"axG",@progbits,_ZN7rocprim17ROCPRIM_400000_NS6detail17trampoline_kernelINS0_14default_configENS1_32segmented_reduce_config_selectorIdEEZNS1_21segmented_reduce_implIS3_PKdPdPKldN6hipcub16HIPCUB_304000_NS6detail27convert_result_type_wrapperIS8_S9_N2at6native12_GLOBAL__N_19CustomSumEEEEE10hipError_tPvRmT0_T1_jT2_SQ_T4_T3_P12ihipStream_tbEUlT_E_NS1_11comp_targetILNS1_3genE8ELNS1_11target_archE1030ELNS1_3gpuE2ELNS1_3repE0EEENS1_30default_config_static_selectorELNS0_4arch9wavefront6targetE0EEEvSP_,comdat
	.globl	_ZN7rocprim17ROCPRIM_400000_NS6detail17trampoline_kernelINS0_14default_configENS1_32segmented_reduce_config_selectorIdEEZNS1_21segmented_reduce_implIS3_PKdPdPKldN6hipcub16HIPCUB_304000_NS6detail27convert_result_type_wrapperIS8_S9_N2at6native12_GLOBAL__N_19CustomSumEEEEE10hipError_tPvRmT0_T1_jT2_SQ_T4_T3_P12ihipStream_tbEUlT_E_NS1_11comp_targetILNS1_3genE8ELNS1_11target_archE1030ELNS1_3gpuE2ELNS1_3repE0EEENS1_30default_config_static_selectorELNS0_4arch9wavefront6targetE0EEEvSP_ ; -- Begin function _ZN7rocprim17ROCPRIM_400000_NS6detail17trampoline_kernelINS0_14default_configENS1_32segmented_reduce_config_selectorIdEEZNS1_21segmented_reduce_implIS3_PKdPdPKldN6hipcub16HIPCUB_304000_NS6detail27convert_result_type_wrapperIS8_S9_N2at6native12_GLOBAL__N_19CustomSumEEEEE10hipError_tPvRmT0_T1_jT2_SQ_T4_T3_P12ihipStream_tbEUlT_E_NS1_11comp_targetILNS1_3genE8ELNS1_11target_archE1030ELNS1_3gpuE2ELNS1_3repE0EEENS1_30default_config_static_selectorELNS0_4arch9wavefront6targetE0EEEvSP_
	.p2align	8
	.type	_ZN7rocprim17ROCPRIM_400000_NS6detail17trampoline_kernelINS0_14default_configENS1_32segmented_reduce_config_selectorIdEEZNS1_21segmented_reduce_implIS3_PKdPdPKldN6hipcub16HIPCUB_304000_NS6detail27convert_result_type_wrapperIS8_S9_N2at6native12_GLOBAL__N_19CustomSumEEEEE10hipError_tPvRmT0_T1_jT2_SQ_T4_T3_P12ihipStream_tbEUlT_E_NS1_11comp_targetILNS1_3genE8ELNS1_11target_archE1030ELNS1_3gpuE2ELNS1_3repE0EEENS1_30default_config_static_selectorELNS0_4arch9wavefront6targetE0EEEvSP_,@function
_ZN7rocprim17ROCPRIM_400000_NS6detail17trampoline_kernelINS0_14default_configENS1_32segmented_reduce_config_selectorIdEEZNS1_21segmented_reduce_implIS3_PKdPdPKldN6hipcub16HIPCUB_304000_NS6detail27convert_result_type_wrapperIS8_S9_N2at6native12_GLOBAL__N_19CustomSumEEEEE10hipError_tPvRmT0_T1_jT2_SQ_T4_T3_P12ihipStream_tbEUlT_E_NS1_11comp_targetILNS1_3genE8ELNS1_11target_archE1030ELNS1_3gpuE2ELNS1_3repE0EEENS1_30default_config_static_selectorELNS0_4arch9wavefront6targetE0EEEvSP_: ; @_ZN7rocprim17ROCPRIM_400000_NS6detail17trampoline_kernelINS0_14default_configENS1_32segmented_reduce_config_selectorIdEEZNS1_21segmented_reduce_implIS3_PKdPdPKldN6hipcub16HIPCUB_304000_NS6detail27convert_result_type_wrapperIS8_S9_N2at6native12_GLOBAL__N_19CustomSumEEEEE10hipError_tPvRmT0_T1_jT2_SQ_T4_T3_P12ihipStream_tbEUlT_E_NS1_11comp_targetILNS1_3genE8ELNS1_11target_archE1030ELNS1_3gpuE2ELNS1_3repE0EEENS1_30default_config_static_selectorELNS0_4arch9wavefront6targetE0EEEvSP_
; %bb.0:
	.section	.rodata,"a",@progbits
	.p2align	6, 0x0
	.amdhsa_kernel _ZN7rocprim17ROCPRIM_400000_NS6detail17trampoline_kernelINS0_14default_configENS1_32segmented_reduce_config_selectorIdEEZNS1_21segmented_reduce_implIS3_PKdPdPKldN6hipcub16HIPCUB_304000_NS6detail27convert_result_type_wrapperIS8_S9_N2at6native12_GLOBAL__N_19CustomSumEEEEE10hipError_tPvRmT0_T1_jT2_SQ_T4_T3_P12ihipStream_tbEUlT_E_NS1_11comp_targetILNS1_3genE8ELNS1_11target_archE1030ELNS1_3gpuE2ELNS1_3repE0EEENS1_30default_config_static_selectorELNS0_4arch9wavefront6targetE0EEEvSP_
		.amdhsa_group_segment_fixed_size 0
		.amdhsa_private_segment_fixed_size 0
		.amdhsa_kernarg_size 56
		.amdhsa_user_sgpr_count 2
		.amdhsa_user_sgpr_dispatch_ptr 0
		.amdhsa_user_sgpr_queue_ptr 0
		.amdhsa_user_sgpr_kernarg_segment_ptr 1
		.amdhsa_user_sgpr_dispatch_id 0
		.amdhsa_user_sgpr_kernarg_preload_length 0
		.amdhsa_user_sgpr_kernarg_preload_offset 0
		.amdhsa_user_sgpr_private_segment_size 0
		.amdhsa_wavefront_size32 1
		.amdhsa_uses_dynamic_stack 0
		.amdhsa_enable_private_segment 0
		.amdhsa_system_sgpr_workgroup_id_x 1
		.amdhsa_system_sgpr_workgroup_id_y 0
		.amdhsa_system_sgpr_workgroup_id_z 0
		.amdhsa_system_sgpr_workgroup_info 0
		.amdhsa_system_vgpr_workitem_id 0
		.amdhsa_next_free_vgpr 1
		.amdhsa_next_free_sgpr 1
		.amdhsa_named_barrier_count 0
		.amdhsa_reserve_vcc 0
		.amdhsa_float_round_mode_32 0
		.amdhsa_float_round_mode_16_64 0
		.amdhsa_float_denorm_mode_32 3
		.amdhsa_float_denorm_mode_16_64 3
		.amdhsa_fp16_overflow 0
		.amdhsa_memory_ordered 1
		.amdhsa_forward_progress 1
		.amdhsa_inst_pref_size 0
		.amdhsa_round_robin_scheduling 0
		.amdhsa_exception_fp_ieee_invalid_op 0
		.amdhsa_exception_fp_denorm_src 0
		.amdhsa_exception_fp_ieee_div_zero 0
		.amdhsa_exception_fp_ieee_overflow 0
		.amdhsa_exception_fp_ieee_underflow 0
		.amdhsa_exception_fp_ieee_inexact 0
		.amdhsa_exception_int_div_zero 0
	.end_amdhsa_kernel
	.section	.text._ZN7rocprim17ROCPRIM_400000_NS6detail17trampoline_kernelINS0_14default_configENS1_32segmented_reduce_config_selectorIdEEZNS1_21segmented_reduce_implIS3_PKdPdPKldN6hipcub16HIPCUB_304000_NS6detail27convert_result_type_wrapperIS8_S9_N2at6native12_GLOBAL__N_19CustomSumEEEEE10hipError_tPvRmT0_T1_jT2_SQ_T4_T3_P12ihipStream_tbEUlT_E_NS1_11comp_targetILNS1_3genE8ELNS1_11target_archE1030ELNS1_3gpuE2ELNS1_3repE0EEENS1_30default_config_static_selectorELNS0_4arch9wavefront6targetE0EEEvSP_,"axG",@progbits,_ZN7rocprim17ROCPRIM_400000_NS6detail17trampoline_kernelINS0_14default_configENS1_32segmented_reduce_config_selectorIdEEZNS1_21segmented_reduce_implIS3_PKdPdPKldN6hipcub16HIPCUB_304000_NS6detail27convert_result_type_wrapperIS8_S9_N2at6native12_GLOBAL__N_19CustomSumEEEEE10hipError_tPvRmT0_T1_jT2_SQ_T4_T3_P12ihipStream_tbEUlT_E_NS1_11comp_targetILNS1_3genE8ELNS1_11target_archE1030ELNS1_3gpuE2ELNS1_3repE0EEENS1_30default_config_static_selectorELNS0_4arch9wavefront6targetE0EEEvSP_,comdat
.Lfunc_end160:
	.size	_ZN7rocprim17ROCPRIM_400000_NS6detail17trampoline_kernelINS0_14default_configENS1_32segmented_reduce_config_selectorIdEEZNS1_21segmented_reduce_implIS3_PKdPdPKldN6hipcub16HIPCUB_304000_NS6detail27convert_result_type_wrapperIS8_S9_N2at6native12_GLOBAL__N_19CustomSumEEEEE10hipError_tPvRmT0_T1_jT2_SQ_T4_T3_P12ihipStream_tbEUlT_E_NS1_11comp_targetILNS1_3genE8ELNS1_11target_archE1030ELNS1_3gpuE2ELNS1_3repE0EEENS1_30default_config_static_selectorELNS0_4arch9wavefront6targetE0EEEvSP_, .Lfunc_end160-_ZN7rocprim17ROCPRIM_400000_NS6detail17trampoline_kernelINS0_14default_configENS1_32segmented_reduce_config_selectorIdEEZNS1_21segmented_reduce_implIS3_PKdPdPKldN6hipcub16HIPCUB_304000_NS6detail27convert_result_type_wrapperIS8_S9_N2at6native12_GLOBAL__N_19CustomSumEEEEE10hipError_tPvRmT0_T1_jT2_SQ_T4_T3_P12ihipStream_tbEUlT_E_NS1_11comp_targetILNS1_3genE8ELNS1_11target_archE1030ELNS1_3gpuE2ELNS1_3repE0EEENS1_30default_config_static_selectorELNS0_4arch9wavefront6targetE0EEEvSP_
                                        ; -- End function
	.set _ZN7rocprim17ROCPRIM_400000_NS6detail17trampoline_kernelINS0_14default_configENS1_32segmented_reduce_config_selectorIdEEZNS1_21segmented_reduce_implIS3_PKdPdPKldN6hipcub16HIPCUB_304000_NS6detail27convert_result_type_wrapperIS8_S9_N2at6native12_GLOBAL__N_19CustomSumEEEEE10hipError_tPvRmT0_T1_jT2_SQ_T4_T3_P12ihipStream_tbEUlT_E_NS1_11comp_targetILNS1_3genE8ELNS1_11target_archE1030ELNS1_3gpuE2ELNS1_3repE0EEENS1_30default_config_static_selectorELNS0_4arch9wavefront6targetE0EEEvSP_.num_vgpr, 0
	.set _ZN7rocprim17ROCPRIM_400000_NS6detail17trampoline_kernelINS0_14default_configENS1_32segmented_reduce_config_selectorIdEEZNS1_21segmented_reduce_implIS3_PKdPdPKldN6hipcub16HIPCUB_304000_NS6detail27convert_result_type_wrapperIS8_S9_N2at6native12_GLOBAL__N_19CustomSumEEEEE10hipError_tPvRmT0_T1_jT2_SQ_T4_T3_P12ihipStream_tbEUlT_E_NS1_11comp_targetILNS1_3genE8ELNS1_11target_archE1030ELNS1_3gpuE2ELNS1_3repE0EEENS1_30default_config_static_selectorELNS0_4arch9wavefront6targetE0EEEvSP_.num_agpr, 0
	.set _ZN7rocprim17ROCPRIM_400000_NS6detail17trampoline_kernelINS0_14default_configENS1_32segmented_reduce_config_selectorIdEEZNS1_21segmented_reduce_implIS3_PKdPdPKldN6hipcub16HIPCUB_304000_NS6detail27convert_result_type_wrapperIS8_S9_N2at6native12_GLOBAL__N_19CustomSumEEEEE10hipError_tPvRmT0_T1_jT2_SQ_T4_T3_P12ihipStream_tbEUlT_E_NS1_11comp_targetILNS1_3genE8ELNS1_11target_archE1030ELNS1_3gpuE2ELNS1_3repE0EEENS1_30default_config_static_selectorELNS0_4arch9wavefront6targetE0EEEvSP_.numbered_sgpr, 0
	.set _ZN7rocprim17ROCPRIM_400000_NS6detail17trampoline_kernelINS0_14default_configENS1_32segmented_reduce_config_selectorIdEEZNS1_21segmented_reduce_implIS3_PKdPdPKldN6hipcub16HIPCUB_304000_NS6detail27convert_result_type_wrapperIS8_S9_N2at6native12_GLOBAL__N_19CustomSumEEEEE10hipError_tPvRmT0_T1_jT2_SQ_T4_T3_P12ihipStream_tbEUlT_E_NS1_11comp_targetILNS1_3genE8ELNS1_11target_archE1030ELNS1_3gpuE2ELNS1_3repE0EEENS1_30default_config_static_selectorELNS0_4arch9wavefront6targetE0EEEvSP_.num_named_barrier, 0
	.set _ZN7rocprim17ROCPRIM_400000_NS6detail17trampoline_kernelINS0_14default_configENS1_32segmented_reduce_config_selectorIdEEZNS1_21segmented_reduce_implIS3_PKdPdPKldN6hipcub16HIPCUB_304000_NS6detail27convert_result_type_wrapperIS8_S9_N2at6native12_GLOBAL__N_19CustomSumEEEEE10hipError_tPvRmT0_T1_jT2_SQ_T4_T3_P12ihipStream_tbEUlT_E_NS1_11comp_targetILNS1_3genE8ELNS1_11target_archE1030ELNS1_3gpuE2ELNS1_3repE0EEENS1_30default_config_static_selectorELNS0_4arch9wavefront6targetE0EEEvSP_.private_seg_size, 0
	.set _ZN7rocprim17ROCPRIM_400000_NS6detail17trampoline_kernelINS0_14default_configENS1_32segmented_reduce_config_selectorIdEEZNS1_21segmented_reduce_implIS3_PKdPdPKldN6hipcub16HIPCUB_304000_NS6detail27convert_result_type_wrapperIS8_S9_N2at6native12_GLOBAL__N_19CustomSumEEEEE10hipError_tPvRmT0_T1_jT2_SQ_T4_T3_P12ihipStream_tbEUlT_E_NS1_11comp_targetILNS1_3genE8ELNS1_11target_archE1030ELNS1_3gpuE2ELNS1_3repE0EEENS1_30default_config_static_selectorELNS0_4arch9wavefront6targetE0EEEvSP_.uses_vcc, 0
	.set _ZN7rocprim17ROCPRIM_400000_NS6detail17trampoline_kernelINS0_14default_configENS1_32segmented_reduce_config_selectorIdEEZNS1_21segmented_reduce_implIS3_PKdPdPKldN6hipcub16HIPCUB_304000_NS6detail27convert_result_type_wrapperIS8_S9_N2at6native12_GLOBAL__N_19CustomSumEEEEE10hipError_tPvRmT0_T1_jT2_SQ_T4_T3_P12ihipStream_tbEUlT_E_NS1_11comp_targetILNS1_3genE8ELNS1_11target_archE1030ELNS1_3gpuE2ELNS1_3repE0EEENS1_30default_config_static_selectorELNS0_4arch9wavefront6targetE0EEEvSP_.uses_flat_scratch, 0
	.set _ZN7rocprim17ROCPRIM_400000_NS6detail17trampoline_kernelINS0_14default_configENS1_32segmented_reduce_config_selectorIdEEZNS1_21segmented_reduce_implIS3_PKdPdPKldN6hipcub16HIPCUB_304000_NS6detail27convert_result_type_wrapperIS8_S9_N2at6native12_GLOBAL__N_19CustomSumEEEEE10hipError_tPvRmT0_T1_jT2_SQ_T4_T3_P12ihipStream_tbEUlT_E_NS1_11comp_targetILNS1_3genE8ELNS1_11target_archE1030ELNS1_3gpuE2ELNS1_3repE0EEENS1_30default_config_static_selectorELNS0_4arch9wavefront6targetE0EEEvSP_.has_dyn_sized_stack, 0
	.set _ZN7rocprim17ROCPRIM_400000_NS6detail17trampoline_kernelINS0_14default_configENS1_32segmented_reduce_config_selectorIdEEZNS1_21segmented_reduce_implIS3_PKdPdPKldN6hipcub16HIPCUB_304000_NS6detail27convert_result_type_wrapperIS8_S9_N2at6native12_GLOBAL__N_19CustomSumEEEEE10hipError_tPvRmT0_T1_jT2_SQ_T4_T3_P12ihipStream_tbEUlT_E_NS1_11comp_targetILNS1_3genE8ELNS1_11target_archE1030ELNS1_3gpuE2ELNS1_3repE0EEENS1_30default_config_static_selectorELNS0_4arch9wavefront6targetE0EEEvSP_.has_recursion, 0
	.set _ZN7rocprim17ROCPRIM_400000_NS6detail17trampoline_kernelINS0_14default_configENS1_32segmented_reduce_config_selectorIdEEZNS1_21segmented_reduce_implIS3_PKdPdPKldN6hipcub16HIPCUB_304000_NS6detail27convert_result_type_wrapperIS8_S9_N2at6native12_GLOBAL__N_19CustomSumEEEEE10hipError_tPvRmT0_T1_jT2_SQ_T4_T3_P12ihipStream_tbEUlT_E_NS1_11comp_targetILNS1_3genE8ELNS1_11target_archE1030ELNS1_3gpuE2ELNS1_3repE0EEENS1_30default_config_static_selectorELNS0_4arch9wavefront6targetE0EEEvSP_.has_indirect_call, 0
	.section	.AMDGPU.csdata,"",@progbits
; Kernel info:
; codeLenInByte = 0
; TotalNumSgprs: 0
; NumVgprs: 0
; ScratchSize: 0
; MemoryBound: 0
; FloatMode: 240
; IeeeMode: 1
; LDSByteSize: 0 bytes/workgroup (compile time only)
; SGPRBlocks: 0
; VGPRBlocks: 0
; NumSGPRsForWavesPerEU: 1
; NumVGPRsForWavesPerEU: 1
; NamedBarCnt: 0
; Occupancy: 16
; WaveLimiterHint : 0
; COMPUTE_PGM_RSRC2:SCRATCH_EN: 0
; COMPUTE_PGM_RSRC2:USER_SGPR: 2
; COMPUTE_PGM_RSRC2:TRAP_HANDLER: 0
; COMPUTE_PGM_RSRC2:TGID_X_EN: 1
; COMPUTE_PGM_RSRC2:TGID_Y_EN: 0
; COMPUTE_PGM_RSRC2:TGID_Z_EN: 0
; COMPUTE_PGM_RSRC2:TIDIG_COMP_CNT: 0
	.section	.text._ZN2at6native12_GLOBAL__N_119post_sum_div_kernelIdlEEvPT_PKT0_lbS3_,"axG",@progbits,_ZN2at6native12_GLOBAL__N_119post_sum_div_kernelIdlEEvPT_PKT0_lbS3_,comdat
	.globl	_ZN2at6native12_GLOBAL__N_119post_sum_div_kernelIdlEEvPT_PKT0_lbS3_ ; -- Begin function _ZN2at6native12_GLOBAL__N_119post_sum_div_kernelIdlEEvPT_PKT0_lbS3_
	.p2align	8
	.type	_ZN2at6native12_GLOBAL__N_119post_sum_div_kernelIdlEEvPT_PKT0_lbS3_,@function
_ZN2at6native12_GLOBAL__N_119post_sum_div_kernelIdlEEvPT_PKT0_lbS3_: ; @_ZN2at6native12_GLOBAL__N_119post_sum_div_kernelIdlEEvPT_PKT0_lbS3_
; %bb.0:
	s_clause 0x1
	s_load_b32 s4, s[0:1], 0x34
	s_load_b64 s[2:3], s[0:1], 0x10
	s_bfe_u32 s5, ttmp6, 0x4000c
	s_and_b32 s6, ttmp6, 15
	s_add_co_i32 s5, s5, 1
	s_getreg_b32 s7, hwreg(HW_REG_IB_STS2, 6, 4)
	s_mul_i32 s5, ttmp9, s5
	v_mov_b32_e32 v1, 0
	s_add_co_i32 s6, s6, s5
	s_mov_b32 s9, 0
	s_wait_kmcnt 0x0
	s_and_b32 s8, s4, 0xffff
	s_cmp_eq_u32 s7, 0
	s_cselect_b32 s4, ttmp9, s6
	s_delay_alu instid0(SALU_CYCLE_1) | instskip(SKIP_1) | instid1(VALU_DEP_1)
	v_mad_nc_u64_u32 v[2:3], s8, s4, v[0:1]
	s_mov_b32 s4, exec_lo
	v_cmpx_gt_i64_e64 s[2:3], v[2:3]
	s_cbranch_execz .LBB161_12
; %bb.1:
	s_add_nc_u64 s[10:11], s[0:1], 40
	s_load_b32 s14, s[0:1], 0x18
	s_load_b32 s15, s[10:11], 0x0
	s_clause 0x1
	s_load_b64 s[12:13], s[0:1], 0x20
	s_load_b128 s[4:7], s[0:1], 0x0
	v_dual_mov_b32 v0, v1 :: v_dual_mov_b32 v1, v2
	s_wait_xcnt 0x0
	s_mov_b32 s0, s9
	s_wait_kmcnt 0x0
	s_bitcmp1_b32 s14, 0
	s_mul_i32 s8, s15, s8
	s_cselect_b32 s11, s13, 0x7ff80000
	s_cselect_b32 s10, s12, 0
	s_mov_b32 s1, s8
	s_mov_b32 s12, s9
                                        ; implicit-def: $sgpr13
                                        ; implicit-def: $sgpr15
                                        ; implicit-def: $sgpr14
.LBB161_2:                              ; =>This Inner Loop Header: Depth=1
	v_ashrrev_i64 v[4:5], 29, v[0:1]
	s_or_b32 s14, s14, exec_lo
	s_or_b32 s15, s15, exec_lo
	s_mov_b32 s16, exec_lo
	s_delay_alu instid0(VALU_DEP_1)
	v_add_nc_u64_e32 v[4:5], s[6:7], v[4:5]
	global_load_b64 v[6:7], v[4:5], off
	s_wait_loadcnt 0x0
	s_wait_xcnt 0x0
	v_cmpx_lt_i64_e32 -1, v[6:7]
	s_cbranch_execz .LBB161_10
; %bb.3:                                ;   in Loop: Header=BB161_2 Depth=1
	v_dual_mov_b32 v4, v1 :: v_dual_ashrrev_i32 v5, 31, v1
	v_mov_b64_e32 v[8:9], s[10:11]
	s_mov_b32 s18, -1
	s_mov_b32 s17, exec_lo
	s_delay_alu instid0(VALU_DEP_2)
	v_lshl_add_u64 v[4:5], v[4:5], 3, s[4:5]
	v_cmpx_ne_u64_e32 0, v[6:7]
	s_cbranch_execz .LBB161_7
; %bb.4:                                ;   in Loop: Header=BB161_2 Depth=1
	global_load_b64 v[10:11], v[4:5], off
	s_mov_b32 s18, 0
	s_mov_b32 s19, exec_lo
                                        ; implicit-def: $vgpr8_vgpr9
	s_wait_loadcnt 0x0
	s_wait_xcnt 0x0
	v_cmpx_o_f64_e32 v[10:11], v[10:11]
	s_cbranch_execz .LBB161_6
; %bb.5:                                ;   in Loop: Header=BB161_2 Depth=1
	v_cvt_f64_u32_e32 v[8:9], v7
	v_cvt_f64_u32_e32 v[6:7], v6
	s_mov_b32 s18, exec_lo
	s_delay_alu instid0(VALU_DEP_2) | instskip(NEXT) | instid1(VALU_DEP_1)
	v_ldexp_f64 v[8:9], v[8:9], 32
	v_add_f64_e32 v[6:7], v[8:9], v[6:7]
	s_delay_alu instid0(VALU_DEP_1) | instskip(NEXT) | instid1(VALU_DEP_1)
	v_div_scale_f64 v[8:9], null, v[6:7], v[6:7], v[10:11]
	v_rcp_f64_e32 v[12:13], v[8:9]
	v_nop
	s_delay_alu instid0(TRANS32_DEP_1) | instskip(NEXT) | instid1(VALU_DEP_1)
	v_fma_f64 v[14:15], -v[8:9], v[12:13], 1.0
	v_fmac_f64_e32 v[12:13], v[12:13], v[14:15]
	s_delay_alu instid0(VALU_DEP_1) | instskip(NEXT) | instid1(VALU_DEP_1)
	v_fma_f64 v[14:15], -v[8:9], v[12:13], 1.0
	v_fmac_f64_e32 v[12:13], v[12:13], v[14:15]
	v_div_scale_f64 v[14:15], vcc_lo, v[10:11], v[6:7], v[10:11]
	s_delay_alu instid0(VALU_DEP_1) | instskip(NEXT) | instid1(VALU_DEP_1)
	v_mul_f64_e32 v[16:17], v[14:15], v[12:13]
	v_fma_f64 v[8:9], -v[8:9], v[16:17], v[14:15]
	s_delay_alu instid0(VALU_DEP_1) | instskip(NEXT) | instid1(VALU_DEP_1)
	v_div_fmas_f64 v[8:9], v[8:9], v[12:13], v[16:17]
	v_div_fixup_f64 v[8:9], v[8:9], v[6:7], v[10:11]
.LBB161_6:                              ;   in Loop: Header=BB161_2 Depth=1
	s_or_b32 exec_lo, exec_lo, s19
	s_delay_alu instid0(SALU_CYCLE_1)
	s_or_not1_b32 s18, s18, exec_lo
.LBB161_7:                              ;   in Loop: Header=BB161_2 Depth=1
	s_or_b32 exec_lo, exec_lo, s17
	s_and_saveexec_b32 s17, s18
	s_cbranch_execz .LBB161_9
; %bb.8:                                ;   in Loop: Header=BB161_2 Depth=1
	global_store_b64 v[4:5], v[8:9], off
.LBB161_9:                              ;   in Loop: Header=BB161_2 Depth=1
	s_wait_xcnt 0x0
	s_or_b32 exec_lo, exec_lo, s17
	v_add_nc_u64_e32 v[2:3], s[8:9], v[2:3]
	v_add_nc_u64_e32 v[0:1], s[0:1], v[0:1]
	s_and_not1_b32 s15, s15, exec_lo
	s_and_not1_b32 s14, s14, exec_lo
	s_delay_alu instid0(VALU_DEP_2) | instskip(SKIP_1) | instid1(SALU_CYCLE_1)
	v_cmp_le_i64_e32 vcc_lo, s[2:3], v[2:3]
	s_and_b32 s17, vcc_lo, exec_lo
	s_or_b32 s15, s15, s17
.LBB161_10:                             ;   in Loop: Header=BB161_2 Depth=1
	s_or_b32 exec_lo, exec_lo, s16
	s_delay_alu instid0(SALU_CYCLE_1) | instskip(NEXT) | instid1(SALU_CYCLE_1)
	s_and_b32 s16, exec_lo, s15
	s_or_b32 s12, s16, s12
	s_and_not1_b32 s13, s13, exec_lo
	s_and_b32 s16, s14, exec_lo
	s_delay_alu instid0(SALU_CYCLE_1)
	s_or_b32 s13, s13, s16
	s_and_not1_b32 exec_lo, exec_lo, s12
	s_cbranch_execnz .LBB161_2
; %bb.11:
	s_or_b32 exec_lo, exec_lo, s12
	s_and_saveexec_b32 s0, s13
	s_delay_alu instid0(SALU_CYCLE_1)
	s_xor_b32 s0, exec_lo, s0
	s_cbranch_execnz .LBB161_13
.LBB161_12:
	s_endpgm
.LBB161_13:
	s_trap 2
	; divergent unreachable
	s_endpgm
	.section	.rodata,"a",@progbits
	.p2align	6, 0x0
	.amdhsa_kernel _ZN2at6native12_GLOBAL__N_119post_sum_div_kernelIdlEEvPT_PKT0_lbS3_
		.amdhsa_group_segment_fixed_size 0
		.amdhsa_private_segment_fixed_size 0
		.amdhsa_kernarg_size 296
		.amdhsa_user_sgpr_count 2
		.amdhsa_user_sgpr_dispatch_ptr 0
		.amdhsa_user_sgpr_queue_ptr 0
		.amdhsa_user_sgpr_kernarg_segment_ptr 1
		.amdhsa_user_sgpr_dispatch_id 0
		.amdhsa_user_sgpr_kernarg_preload_length 0
		.amdhsa_user_sgpr_kernarg_preload_offset 0
		.amdhsa_user_sgpr_private_segment_size 0
		.amdhsa_wavefront_size32 1
		.amdhsa_uses_dynamic_stack 0
		.amdhsa_enable_private_segment 0
		.amdhsa_system_sgpr_workgroup_id_x 1
		.amdhsa_system_sgpr_workgroup_id_y 0
		.amdhsa_system_sgpr_workgroup_id_z 0
		.amdhsa_system_sgpr_workgroup_info 0
		.amdhsa_system_vgpr_workitem_id 0
		.amdhsa_next_free_vgpr 18
		.amdhsa_next_free_sgpr 20
		.amdhsa_named_barrier_count 0
		.amdhsa_reserve_vcc 1
		.amdhsa_float_round_mode_32 0
		.amdhsa_float_round_mode_16_64 0
		.amdhsa_float_denorm_mode_32 3
		.amdhsa_float_denorm_mode_16_64 3
		.amdhsa_fp16_overflow 0
		.amdhsa_memory_ordered 1
		.amdhsa_forward_progress 1
		.amdhsa_inst_pref_size 5
		.amdhsa_round_robin_scheduling 0
		.amdhsa_exception_fp_ieee_invalid_op 0
		.amdhsa_exception_fp_denorm_src 0
		.amdhsa_exception_fp_ieee_div_zero 0
		.amdhsa_exception_fp_ieee_overflow 0
		.amdhsa_exception_fp_ieee_underflow 0
		.amdhsa_exception_fp_ieee_inexact 0
		.amdhsa_exception_int_div_zero 0
	.end_amdhsa_kernel
	.section	.text._ZN2at6native12_GLOBAL__N_119post_sum_div_kernelIdlEEvPT_PKT0_lbS3_,"axG",@progbits,_ZN2at6native12_GLOBAL__N_119post_sum_div_kernelIdlEEvPT_PKT0_lbS3_,comdat
.Lfunc_end161:
	.size	_ZN2at6native12_GLOBAL__N_119post_sum_div_kernelIdlEEvPT_PKT0_lbS3_, .Lfunc_end161-_ZN2at6native12_GLOBAL__N_119post_sum_div_kernelIdlEEvPT_PKT0_lbS3_
                                        ; -- End function
	.set _ZN2at6native12_GLOBAL__N_119post_sum_div_kernelIdlEEvPT_PKT0_lbS3_.num_vgpr, 18
	.set _ZN2at6native12_GLOBAL__N_119post_sum_div_kernelIdlEEvPT_PKT0_lbS3_.num_agpr, 0
	.set _ZN2at6native12_GLOBAL__N_119post_sum_div_kernelIdlEEvPT_PKT0_lbS3_.numbered_sgpr, 20
	.set _ZN2at6native12_GLOBAL__N_119post_sum_div_kernelIdlEEvPT_PKT0_lbS3_.num_named_barrier, 0
	.set _ZN2at6native12_GLOBAL__N_119post_sum_div_kernelIdlEEvPT_PKT0_lbS3_.private_seg_size, 0
	.set _ZN2at6native12_GLOBAL__N_119post_sum_div_kernelIdlEEvPT_PKT0_lbS3_.uses_vcc, 1
	.set _ZN2at6native12_GLOBAL__N_119post_sum_div_kernelIdlEEvPT_PKT0_lbS3_.uses_flat_scratch, 0
	.set _ZN2at6native12_GLOBAL__N_119post_sum_div_kernelIdlEEvPT_PKT0_lbS3_.has_dyn_sized_stack, 0
	.set _ZN2at6native12_GLOBAL__N_119post_sum_div_kernelIdlEEvPT_PKT0_lbS3_.has_recursion, 0
	.set _ZN2at6native12_GLOBAL__N_119post_sum_div_kernelIdlEEvPT_PKT0_lbS3_.has_indirect_call, 0
	.section	.AMDGPU.csdata,"",@progbits
; Kernel info:
; codeLenInByte = 596
; TotalNumSgprs: 22
; NumVgprs: 18
; ScratchSize: 0
; MemoryBound: 0
; FloatMode: 240
; IeeeMode: 1
; LDSByteSize: 0 bytes/workgroup (compile time only)
; SGPRBlocks: 0
; VGPRBlocks: 1
; NumSGPRsForWavesPerEU: 22
; NumVGPRsForWavesPerEU: 18
; NamedBarCnt: 0
; Occupancy: 16
; WaveLimiterHint : 0
; COMPUTE_PGM_RSRC2:SCRATCH_EN: 0
; COMPUTE_PGM_RSRC2:USER_SGPR: 2
; COMPUTE_PGM_RSRC2:TRAP_HANDLER: 0
; COMPUTE_PGM_RSRC2:TGID_X_EN: 1
; COMPUTE_PGM_RSRC2:TGID_Y_EN: 0
; COMPUTE_PGM_RSRC2:TGID_Z_EN: 0
; COMPUTE_PGM_RSRC2:TIDIG_COMP_CNT: 0
	.section	.text._ZN7rocprim17ROCPRIM_400000_NS6detail17trampoline_kernelINS0_14default_configENS1_32segmented_reduce_config_selectorIdEEZNS1_21segmented_reduce_implIS3_PKdPdPKldN6hipcub16HIPCUB_304000_NS6detail27convert_result_type_wrapperIS8_S9_N2at6native12_GLOBAL__N_19CustomMinEEEEE10hipError_tPvRmT0_T1_jT2_SQ_T4_T3_P12ihipStream_tbEUlT_E_NS1_11comp_targetILNS1_3genE0ELNS1_11target_archE4294967295ELNS1_3gpuE0ELNS1_3repE0EEENS1_30default_config_static_selectorELNS0_4arch9wavefront6targetE0EEEvSP_,"axG",@progbits,_ZN7rocprim17ROCPRIM_400000_NS6detail17trampoline_kernelINS0_14default_configENS1_32segmented_reduce_config_selectorIdEEZNS1_21segmented_reduce_implIS3_PKdPdPKldN6hipcub16HIPCUB_304000_NS6detail27convert_result_type_wrapperIS8_S9_N2at6native12_GLOBAL__N_19CustomMinEEEEE10hipError_tPvRmT0_T1_jT2_SQ_T4_T3_P12ihipStream_tbEUlT_E_NS1_11comp_targetILNS1_3genE0ELNS1_11target_archE4294967295ELNS1_3gpuE0ELNS1_3repE0EEENS1_30default_config_static_selectorELNS0_4arch9wavefront6targetE0EEEvSP_,comdat
	.globl	_ZN7rocprim17ROCPRIM_400000_NS6detail17trampoline_kernelINS0_14default_configENS1_32segmented_reduce_config_selectorIdEEZNS1_21segmented_reduce_implIS3_PKdPdPKldN6hipcub16HIPCUB_304000_NS6detail27convert_result_type_wrapperIS8_S9_N2at6native12_GLOBAL__N_19CustomMinEEEEE10hipError_tPvRmT0_T1_jT2_SQ_T4_T3_P12ihipStream_tbEUlT_E_NS1_11comp_targetILNS1_3genE0ELNS1_11target_archE4294967295ELNS1_3gpuE0ELNS1_3repE0EEENS1_30default_config_static_selectorELNS0_4arch9wavefront6targetE0EEEvSP_ ; -- Begin function _ZN7rocprim17ROCPRIM_400000_NS6detail17trampoline_kernelINS0_14default_configENS1_32segmented_reduce_config_selectorIdEEZNS1_21segmented_reduce_implIS3_PKdPdPKldN6hipcub16HIPCUB_304000_NS6detail27convert_result_type_wrapperIS8_S9_N2at6native12_GLOBAL__N_19CustomMinEEEEE10hipError_tPvRmT0_T1_jT2_SQ_T4_T3_P12ihipStream_tbEUlT_E_NS1_11comp_targetILNS1_3genE0ELNS1_11target_archE4294967295ELNS1_3gpuE0ELNS1_3repE0EEENS1_30default_config_static_selectorELNS0_4arch9wavefront6targetE0EEEvSP_
	.p2align	8
	.type	_ZN7rocprim17ROCPRIM_400000_NS6detail17trampoline_kernelINS0_14default_configENS1_32segmented_reduce_config_selectorIdEEZNS1_21segmented_reduce_implIS3_PKdPdPKldN6hipcub16HIPCUB_304000_NS6detail27convert_result_type_wrapperIS8_S9_N2at6native12_GLOBAL__N_19CustomMinEEEEE10hipError_tPvRmT0_T1_jT2_SQ_T4_T3_P12ihipStream_tbEUlT_E_NS1_11comp_targetILNS1_3genE0ELNS1_11target_archE4294967295ELNS1_3gpuE0ELNS1_3repE0EEENS1_30default_config_static_selectorELNS0_4arch9wavefront6targetE0EEEvSP_,@function
_ZN7rocprim17ROCPRIM_400000_NS6detail17trampoline_kernelINS0_14default_configENS1_32segmented_reduce_config_selectorIdEEZNS1_21segmented_reduce_implIS3_PKdPdPKldN6hipcub16HIPCUB_304000_NS6detail27convert_result_type_wrapperIS8_S9_N2at6native12_GLOBAL__N_19CustomMinEEEEE10hipError_tPvRmT0_T1_jT2_SQ_T4_T3_P12ihipStream_tbEUlT_E_NS1_11comp_targetILNS1_3genE0ELNS1_11target_archE4294967295ELNS1_3gpuE0ELNS1_3repE0EEENS1_30default_config_static_selectorELNS0_4arch9wavefront6targetE0EEEvSP_: ; @_ZN7rocprim17ROCPRIM_400000_NS6detail17trampoline_kernelINS0_14default_configENS1_32segmented_reduce_config_selectorIdEEZNS1_21segmented_reduce_implIS3_PKdPdPKldN6hipcub16HIPCUB_304000_NS6detail27convert_result_type_wrapperIS8_S9_N2at6native12_GLOBAL__N_19CustomMinEEEEE10hipError_tPvRmT0_T1_jT2_SQ_T4_T3_P12ihipStream_tbEUlT_E_NS1_11comp_targetILNS1_3genE0ELNS1_11target_archE4294967295ELNS1_3gpuE0ELNS1_3repE0EEENS1_30default_config_static_selectorELNS0_4arch9wavefront6targetE0EEEvSP_
; %bb.0:
	s_clause 0x1
	s_load_b256 s[4:11], s[0:1], 0x0
	s_load_b64 s[14:15], s[0:1], 0x20
	s_bfe_u32 s2, ttmp6, 0x4000c
	s_and_b32 s3, ttmp6, 15
	s_add_co_i32 s2, s2, 1
	s_getreg_b32 s16, hwreg(HW_REG_IB_STS2, 6, 4)
	s_mul_i32 s2, ttmp9, s2
	s_load_b64 s[12:13], s[0:1], 0x30
	s_add_co_i32 s3, s3, s2
	s_mov_b32 s18, 0
	s_wait_kmcnt 0x0
	s_lshl_b64 s[8:9], s[8:9], 3
	s_cmp_eq_u32 s16, 0
	s_add_nc_u64 s[0:1], s[10:11], s[8:9]
	s_cselect_b32 s2, ttmp9, s3
	s_add_nc_u64 s[16:17], s[14:15], s[8:9]
	s_load_b64 s[14:15], s[0:1], s2 offset:0x0 scale_offset
	s_load_b64 s[10:11], s[16:17], s2 offset:0x0 scale_offset
	s_mov_b32 s3, 0
	s_wait_xcnt 0x0
	s_mov_b32 s1, -1
	s_wait_kmcnt 0x0
	v_cmp_gt_i64_e64 s0, s[10:11], s[14:15]
	s_and_b32 vcc_lo, exec_lo, s0
	v_cmp_eq_u32_e64 s0, 0, v0
	s_cbranch_vccnz .LBB162_2
; %bb.1:
	s_mov_b32 s1, 0
	s_and_b32 s18, s0, exec_lo
.LBB162_2:
	s_and_not1_b32 vcc_lo, exec_lo, s1
	s_cbranch_vccnz .LBB162_67
; %bb.3:
	s_add_nc_u64 s[0:1], s[14:15], 0x800
	s_delay_alu instid0(SALU_CYCLE_1)
	v_cmp_le_i64_e64 s16, s[0:1], s[10:11]
	s_and_b32 vcc_lo, exec_lo, s16
	s_cbranch_vccz .LBB162_68
; %bb.4:
	s_lshl_b64 s[16:17], s[14:15], 3
	s_mov_b32 s19, exec_lo
	s_add_nc_u64 s[16:17], s[4:5], s[16:17]
	s_clause 0x7
	global_load_b64 v[18:19], v0, s[16:17] scale_offset
	global_load_b64 v[16:17], v0, s[16:17] offset:2048 scale_offset
	global_load_b64 v[14:15], v0, s[16:17] offset:4096 scale_offset
	;; [unrolled: 1-line block ×7, first 2 shown]
	s_wait_loadcnt 0x7
	v_mov_b64_e32 v[10:11], v[18:19]
	s_wait_xcnt 0x0
	v_cmpx_o_f64_e32 v[18:19], v[18:19]
	s_cbranch_execz .LBB162_8
; %bb.5:
	s_wait_loadcnt 0x6
	v_mov_b64_e32 v[10:11], v[16:17]
	s_mov_b32 s20, exec_lo
	v_cmpx_o_f64_e32 v[16:17], v[16:17]
	s_cbranch_execz .LBB162_7
; %bb.6:
	v_cmp_lt_f64_e32 vcc_lo, v[16:17], v[18:19]
	v_dual_cndmask_b32 v11, v19, v17 :: v_dual_cndmask_b32 v10, v18, v16
.LBB162_7:
	s_or_b32 exec_lo, exec_lo, s20
.LBB162_8:
	s_delay_alu instid0(SALU_CYCLE_1) | instskip(NEXT) | instid1(SALU_CYCLE_1)
	s_or_b32 exec_lo, exec_lo, s19
	s_mov_b32 s19, exec_lo
	s_delay_alu instid0(VALU_DEP_1)
	v_cmpx_o_f64_e32 v[10:11], v[10:11]
	s_cbranch_execz .LBB162_12
; %bb.9:
	s_wait_loadcnt 0x5
	v_mov_b64_e32 v[20:21], v[14:15]
	s_mov_b32 s20, exec_lo
	v_cmpx_o_f64_e32 v[14:15], v[14:15]
	s_cbranch_execz .LBB162_11
; %bb.10:
	v_cmp_lt_f64_e32 vcc_lo, v[14:15], v[10:11]
	v_dual_cndmask_b32 v21, v11, v15 :: v_dual_cndmask_b32 v20, v10, v14
.LBB162_11:
	s_or_b32 exec_lo, exec_lo, s20
	s_delay_alu instid0(VALU_DEP_1)
	v_mov_b64_e32 v[10:11], v[20:21]
.LBB162_12:
	s_or_b32 exec_lo, exec_lo, s19
	s_delay_alu instid0(SALU_CYCLE_1) | instskip(NEXT) | instid1(VALU_DEP_1)
	s_mov_b32 s19, exec_lo
	v_cmpx_o_f64_e32 v[10:11], v[10:11]
	s_cbranch_execz .LBB162_16
; %bb.13:
	s_wait_loadcnt 0x4
	v_mov_b64_e32 v[20:21], v[12:13]
	s_mov_b32 s20, exec_lo
	v_cmpx_o_f64_e32 v[12:13], v[12:13]
	s_cbranch_execz .LBB162_15
; %bb.14:
	v_cmp_lt_f64_e32 vcc_lo, v[12:13], v[10:11]
	v_dual_cndmask_b32 v21, v11, v13 :: v_dual_cndmask_b32 v20, v10, v12
.LBB162_15:
	s_or_b32 exec_lo, exec_lo, s20
	s_delay_alu instid0(VALU_DEP_1)
	v_mov_b64_e32 v[10:11], v[20:21]
.LBB162_16:
	s_or_b32 exec_lo, exec_lo, s19
	s_delay_alu instid0(SALU_CYCLE_1) | instskip(NEXT) | instid1(VALU_DEP_1)
	s_mov_b32 s19, exec_lo
	;; [unrolled: 19-line block ×5, first 2 shown]
	v_cmpx_o_f64_e32 v[10:11], v[10:11]
	s_cbranch_execz .LBB162_32
; %bb.29:
	s_wait_loadcnt 0x0
	v_mov_b64_e32 v[20:21], v[2:3]
	s_mov_b32 s20, exec_lo
	v_cmpx_o_f64_e32 v[2:3], v[2:3]
	s_cbranch_execz .LBB162_31
; %bb.30:
	v_cmp_lt_f64_e32 vcc_lo, v[2:3], v[10:11]
	v_dual_cndmask_b32 v21, v11, v3 :: v_dual_cndmask_b32 v20, v10, v2
.LBB162_31:
	s_or_b32 exec_lo, exec_lo, s20
	s_delay_alu instid0(VALU_DEP_1)
	v_mov_b64_e32 v[10:11], v[20:21]
.LBB162_32:
	s_or_b32 exec_lo, exec_lo, s19
	s_add_nc_u64 s[20:21], s[14:15], 0x1000
	s_delay_alu instid0(SALU_CYCLE_1)
	v_cmp_ge_i64_e64 s19, s[20:21], s[10:11]
	s_and_b32 vcc_lo, exec_lo, s19
	s_cbranch_vccnz .LBB162_69
; %bb.33:
	s_wait_loadcnt 0x0
	v_dual_mov_b32 v3, 0 :: v_dual_lshlrev_b32 v2, 3, v0
	s_delay_alu instid0(VALU_DEP_1) | instskip(NEXT) | instid1(VALU_DEP_1)
	v_add_nc_u64_e32 v[2:3], s[16:17], v[2:3]
	v_add_nc_u64_e32 v[20:21], 0x4000, v[2:3]
	s_branch .LBB162_36
.LBB162_34:                             ;   in Loop: Header=BB162_36 Depth=1
	s_or_b32 exec_lo, exec_lo, s17
	s_delay_alu instid0(VALU_DEP_1)
	v_mov_b64_e32 v[10:11], v[22:23]
.LBB162_35:                             ;   in Loop: Header=BB162_36 Depth=1
	s_or_b32 exec_lo, exec_lo, s16
	s_add_nc_u64 s[16:17], s[0:1], 0x1000
	v_add_nc_u64_e32 v[20:21], 0x4000, v[20:21]
	v_cmp_lt_i64_e64 s16, s[16:17], s[10:11]
	s_add_nc_u64 s[0:1], s[0:1], 0x800
	s_and_b32 vcc_lo, exec_lo, s16
	s_cbranch_vccz .LBB162_69
.LBB162_36:                             ; =>This Inner Loop Header: Depth=1
	s_wait_loadcnt 0x7
	global_load_b64 v[18:19], v[20:21], off
	s_wait_loadcnt 0x7
	global_load_b64 v[16:17], v[20:21], off offset:2048
	s_wait_loadcnt 0x7
	global_load_b64 v[14:15], v[20:21], off offset:4096
	s_wait_loadcnt 0x7
	global_load_b64 v[12:13], v[20:21], off offset:6144
	s_wait_loadcnt 0x7
	global_load_b64 v[8:9], v[20:21], off offset:8192
	s_wait_loadcnt 0x7
	global_load_b64 v[6:7], v[20:21], off offset:10240
	s_wait_loadcnt 0x7
	global_load_b64 v[4:5], v[20:21], off offset:12288
	s_wait_loadcnt 0x7
	global_load_b64 v[2:3], v[20:21], off offset:14336
	s_mov_b32 s16, exec_lo
	s_wait_xcnt 0x0
	v_cmpx_o_f64_e32 v[10:11], v[10:11]
	s_cbranch_execz .LBB162_40
; %bb.37:                               ;   in Loop: Header=BB162_36 Depth=1
	s_wait_loadcnt 0x7
	v_mov_b64_e32 v[22:23], v[18:19]
	s_mov_b32 s17, exec_lo
	v_cmpx_o_f64_e32 v[18:19], v[18:19]
	s_cbranch_execz .LBB162_39
; %bb.38:                               ;   in Loop: Header=BB162_36 Depth=1
	v_cmp_lt_f64_e32 vcc_lo, v[18:19], v[10:11]
	v_dual_cndmask_b32 v23, v11, v19 :: v_dual_cndmask_b32 v22, v10, v18
.LBB162_39:                             ;   in Loop: Header=BB162_36 Depth=1
	s_or_b32 exec_lo, exec_lo, s17
	s_delay_alu instid0(VALU_DEP_1)
	v_mov_b64_e32 v[10:11], v[22:23]
.LBB162_40:                             ;   in Loop: Header=BB162_36 Depth=1
	s_or_b32 exec_lo, exec_lo, s16
	s_delay_alu instid0(SALU_CYCLE_1) | instskip(NEXT) | instid1(VALU_DEP_1)
	s_mov_b32 s16, exec_lo
	v_cmpx_o_f64_e32 v[10:11], v[10:11]
	s_cbranch_execz .LBB162_44
; %bb.41:                               ;   in Loop: Header=BB162_36 Depth=1
	s_wait_loadcnt 0x6
	v_mov_b64_e32 v[22:23], v[16:17]
	s_mov_b32 s17, exec_lo
	v_cmpx_o_f64_e32 v[16:17], v[16:17]
	s_cbranch_execz .LBB162_43
; %bb.42:                               ;   in Loop: Header=BB162_36 Depth=1
	v_cmp_lt_f64_e32 vcc_lo, v[16:17], v[10:11]
	v_dual_cndmask_b32 v23, v11, v17 :: v_dual_cndmask_b32 v22, v10, v16
.LBB162_43:                             ;   in Loop: Header=BB162_36 Depth=1
	s_or_b32 exec_lo, exec_lo, s17
	s_delay_alu instid0(VALU_DEP_1)
	v_mov_b64_e32 v[10:11], v[22:23]
.LBB162_44:                             ;   in Loop: Header=BB162_36 Depth=1
	s_or_b32 exec_lo, exec_lo, s16
	s_delay_alu instid0(SALU_CYCLE_1) | instskip(NEXT) | instid1(VALU_DEP_1)
	s_mov_b32 s16, exec_lo
	;; [unrolled: 19-line block ×7, first 2 shown]
	v_cmpx_o_f64_e32 v[10:11], v[10:11]
	s_cbranch_execz .LBB162_35
; %bb.65:                               ;   in Loop: Header=BB162_36 Depth=1
	s_wait_loadcnt 0x0
	v_mov_b64_e32 v[22:23], v[2:3]
	s_mov_b32 s17, exec_lo
	v_cmpx_o_f64_e32 v[2:3], v[2:3]
	s_cbranch_execz .LBB162_34
; %bb.66:                               ;   in Loop: Header=BB162_36 Depth=1
	v_cmp_lt_f64_e32 vcc_lo, v[2:3], v[10:11]
	v_dual_cndmask_b32 v23, v11, v3 :: v_dual_cndmask_b32 v22, v10, v2
	s_branch .LBB162_34
.LBB162_67:
	v_mov_b64_e32 v[4:5], s[12:13]
	s_and_saveexec_b32 s0, s18
	s_cbranch_execnz .LBB162_259
	s_branch .LBB162_260
.LBB162_68:
                                        ; implicit-def: $vgpr2_vgpr3
	s_cbranch_execnz .LBB162_154
	s_branch .LBB162_252
.LBB162_69:
	s_sub_co_i32 s16, s10, s0
	s_lshl_b64 s[0:1], s[0:1], 3
	s_mov_b32 s17, exec_lo
	s_add_nc_u64 s[0:1], s[4:5], s[0:1]
	v_cmpx_gt_u32_e64 s16, v0
	s_cbranch_execz .LBB162_71
; %bb.70:
	s_wait_loadcnt 0x7
	global_load_b64 v[18:19], v0, s[0:1] scale_offset
.LBB162_71:
	s_wait_xcnt 0x0
	s_or_b32 exec_lo, exec_lo, s17
	v_or_b32_e32 v25, 0x100, v0
	s_mov_b32 s17, exec_lo
	s_delay_alu instid0(VALU_DEP_1)
	v_cmpx_gt_u32_e64 s16, v25
	s_cbranch_execz .LBB162_73
; %bb.72:
	s_wait_loadcnt 0x6
	global_load_b64 v[16:17], v0, s[0:1] offset:2048 scale_offset
.LBB162_73:
	s_wait_xcnt 0x0
	s_or_b32 exec_lo, exec_lo, s17
	v_or_b32_e32 v24, 0x200, v0
	s_mov_b32 s17, exec_lo
	s_delay_alu instid0(VALU_DEP_1)
	v_cmpx_gt_u32_e64 s16, v24
	s_cbranch_execz .LBB162_75
; %bb.74:
	s_wait_loadcnt 0x5
	global_load_b64 v[14:15], v0, s[0:1] offset:4096 scale_offset
.LBB162_75:
	;; [unrolled: 11-line block ×7, first 2 shown]
	s_wait_xcnt 0x0
	s_or_b32 exec_lo, exec_lo, s17
	v_cmp_o_f64_e32 vcc_lo, v[10:11], v[10:11]
	v_cmp_gt_u32_e64 s0, s16, v0
	s_and_b32 s1, s0, vcc_lo
	s_delay_alu instid0(SALU_CYCLE_1)
	s_and_saveexec_b32 s0, s1
	s_cbranch_execz .LBB162_89
; %bb.86:
	s_mov_b32 s1, exec_lo
	s_wait_loadcnt 0x0
	v_cmpx_o_f64_e32 v[18:19], v[18:19]
	s_cbranch_execz .LBB162_88
; %bb.87:
	v_cmp_lt_f64_e32 vcc_lo, v[18:19], v[10:11]
	v_dual_cndmask_b32 v19, v11, v19 :: v_dual_cndmask_b32 v18, v10, v18
.LBB162_88:
	s_or_b32 exec_lo, exec_lo, s1
	s_delay_alu instid0(VALU_DEP_1)
	v_mov_b64_e32 v[10:11], v[18:19]
.LBB162_89:
	s_or_b32 exec_lo, exec_lo, s0
	s_delay_alu instid0(VALU_DEP_1) | instskip(SKIP_2) | instid1(SALU_CYCLE_1)
	v_cmp_o_f64_e32 vcc_lo, v[10:11], v[10:11]
	v_cmp_gt_u32_e64 s0, s16, v25
	s_and_b32 s1, s0, vcc_lo
	s_and_saveexec_b32 s0, s1
	s_cbranch_execz .LBB162_93
; %bb.90:
	s_mov_b32 s1, exec_lo
	s_wait_loadcnt 0x0
	v_cmpx_o_f64_e32 v[16:17], v[16:17]
	s_cbranch_execz .LBB162_92
; %bb.91:
	v_cmp_lt_f64_e32 vcc_lo, v[16:17], v[10:11]
	v_dual_cndmask_b32 v17, v11, v17 :: v_dual_cndmask_b32 v16, v10, v16
.LBB162_92:
	s_or_b32 exec_lo, exec_lo, s1
	s_delay_alu instid0(VALU_DEP_1)
	v_mov_b64_e32 v[10:11], v[16:17]
.LBB162_93:
	s_or_b32 exec_lo, exec_lo, s0
	s_delay_alu instid0(VALU_DEP_1) | instskip(SKIP_2) | instid1(SALU_CYCLE_1)
	v_cmp_o_f64_e32 vcc_lo, v[10:11], v[10:11]
	v_cmp_gt_u32_e64 s0, s16, v24
	s_and_b32 s1, s0, vcc_lo
	s_and_saveexec_b32 s0, s1
	s_cbranch_execz .LBB162_97
; %bb.94:
	s_mov_b32 s1, exec_lo
	s_wait_loadcnt 0x0
	v_cmpx_o_f64_e32 v[14:15], v[14:15]
	s_cbranch_execz .LBB162_96
; %bb.95:
	v_cmp_lt_f64_e32 vcc_lo, v[14:15], v[10:11]
	v_dual_cndmask_b32 v15, v11, v15 :: v_dual_cndmask_b32 v14, v10, v14
.LBB162_96:
	s_or_b32 exec_lo, exec_lo, s1
	s_delay_alu instid0(VALU_DEP_1)
	v_mov_b64_e32 v[10:11], v[14:15]
.LBB162_97:
	s_or_b32 exec_lo, exec_lo, s0
	s_delay_alu instid0(VALU_DEP_1) | instskip(SKIP_2) | instid1(SALU_CYCLE_1)
	v_cmp_o_f64_e32 vcc_lo, v[10:11], v[10:11]
	v_cmp_gt_u32_e64 s0, s16, v23
	s_and_b32 s1, s0, vcc_lo
	s_and_saveexec_b32 s0, s1
	s_cbranch_execz .LBB162_101
; %bb.98:
	s_mov_b32 s1, exec_lo
	s_wait_loadcnt 0x0
	v_cmpx_o_f64_e32 v[12:13], v[12:13]
	s_cbranch_execz .LBB162_100
; %bb.99:
	v_cmp_lt_f64_e32 vcc_lo, v[12:13], v[10:11]
	v_dual_cndmask_b32 v13, v11, v13 :: v_dual_cndmask_b32 v12, v10, v12
.LBB162_100:
	s_or_b32 exec_lo, exec_lo, s1
	s_delay_alu instid0(VALU_DEP_1)
	v_mov_b64_e32 v[10:11], v[12:13]
.LBB162_101:
	s_or_b32 exec_lo, exec_lo, s0
	s_delay_alu instid0(VALU_DEP_1) | instskip(SKIP_2) | instid1(SALU_CYCLE_1)
	v_cmp_o_f64_e32 vcc_lo, v[10:11], v[10:11]
	v_cmp_gt_u32_e64 s0, s16, v22
	s_and_b32 s1, s0, vcc_lo
	s_and_saveexec_b32 s0, s1
	s_cbranch_execz .LBB162_105
; %bb.102:
	s_mov_b32 s1, exec_lo
	s_wait_loadcnt 0x0
	v_cmpx_o_f64_e32 v[8:9], v[8:9]
	s_cbranch_execz .LBB162_104
; %bb.103:
	v_cmp_lt_f64_e32 vcc_lo, v[8:9], v[10:11]
	v_dual_cndmask_b32 v9, v11, v9 :: v_dual_cndmask_b32 v8, v10, v8
.LBB162_104:
	s_or_b32 exec_lo, exec_lo, s1
	s_delay_alu instid0(VALU_DEP_1)
	v_mov_b64_e32 v[10:11], v[8:9]
.LBB162_105:
	s_or_b32 exec_lo, exec_lo, s0
	s_delay_alu instid0(VALU_DEP_1) | instskip(SKIP_2) | instid1(SALU_CYCLE_1)
	v_cmp_o_f64_e32 vcc_lo, v[10:11], v[10:11]
	v_cmp_gt_u32_e64 s0, s16, v21
	s_and_b32 s1, s0, vcc_lo
	s_and_saveexec_b32 s0, s1
	s_cbranch_execz .LBB162_109
; %bb.106:
	s_mov_b32 s1, exec_lo
	s_wait_loadcnt 0x0
	v_cmpx_o_f64_e32 v[6:7], v[6:7]
	s_cbranch_execz .LBB162_108
; %bb.107:
	v_cmp_lt_f64_e32 vcc_lo, v[6:7], v[10:11]
	v_dual_cndmask_b32 v7, v11, v7 :: v_dual_cndmask_b32 v6, v10, v6
.LBB162_108:
	s_or_b32 exec_lo, exec_lo, s1
	s_delay_alu instid0(VALU_DEP_1)
	v_mov_b64_e32 v[10:11], v[6:7]
.LBB162_109:
	s_or_b32 exec_lo, exec_lo, s0
	s_delay_alu instid0(VALU_DEP_1) | instskip(SKIP_2) | instid1(SALU_CYCLE_1)
	v_cmp_o_f64_e32 vcc_lo, v[10:11], v[10:11]
	v_cmp_gt_u32_e64 s0, s16, v20
	s_and_b32 s1, s0, vcc_lo
	s_and_saveexec_b32 s0, s1
	s_cbranch_execz .LBB162_113
; %bb.110:
	s_mov_b32 s1, exec_lo
	s_wait_loadcnt 0x0
	v_cmpx_o_f64_e32 v[4:5], v[4:5]
	s_cbranch_execz .LBB162_112
; %bb.111:
	v_cmp_lt_f64_e32 vcc_lo, v[4:5], v[10:11]
	v_dual_cndmask_b32 v5, v11, v5 :: v_dual_cndmask_b32 v4, v10, v4
.LBB162_112:
	s_or_b32 exec_lo, exec_lo, s1
	s_delay_alu instid0(VALU_DEP_1)
	v_mov_b64_e32 v[10:11], v[4:5]
.LBB162_113:
	s_or_b32 exec_lo, exec_lo, s0
	s_delay_alu instid0(VALU_DEP_1) | instskip(SKIP_2) | instid1(SALU_CYCLE_1)
	v_cmp_o_f64_e32 vcc_lo, v[10:11], v[10:11]
	v_cmp_gt_u32_e64 s0, s16, v1
	s_and_b32 s1, s0, vcc_lo
	s_and_saveexec_b32 s0, s1
	s_cbranch_execz .LBB162_117
; %bb.114:
	s_mov_b32 s1, exec_lo
	s_wait_loadcnt 0x0
	v_cmpx_o_f64_e32 v[2:3], v[2:3]
	s_cbranch_execz .LBB162_116
; %bb.115:
	v_cmp_lt_f64_e32 vcc_lo, v[2:3], v[10:11]
	v_dual_cndmask_b32 v3, v11, v3 :: v_dual_cndmask_b32 v2, v10, v2
.LBB162_116:
	s_or_b32 exec_lo, exec_lo, s1
	s_delay_alu instid0(VALU_DEP_1)
	v_mov_b64_e32 v[10:11], v[2:3]
.LBB162_117:
	s_or_b32 exec_lo, exec_lo, s0
	s_wait_loadcnt 0x0
	s_delay_alu instid0(VALU_DEP_1) | instskip(NEXT) | instid1(VALU_DEP_2)
	v_mov_b32_dpp v2, v10 quad_perm:[1,0,3,2] row_mask:0xf bank_mask:0xf
	v_mov_b32_dpp v3, v11 quad_perm:[1,0,3,2] row_mask:0xf bank_mask:0xf
	s_mov_b32 s0, exec_lo
	s_delay_alu instid0(VALU_DEP_1)
	v_cmpx_o_f64_e32 v[2:3], v[2:3]
	s_xor_b32 s0, exec_lo, s0
	s_cbranch_execz .LBB162_121
; %bb.118:
	s_mov_b32 s1, exec_lo
	v_cmpx_o_f64_e32 v[10:11], v[10:11]
	s_cbranch_execz .LBB162_120
; %bb.119:
	v_cmp_lt_f64_e32 vcc_lo, v[10:11], v[2:3]
	v_dual_cndmask_b32 v11, v3, v11 :: v_dual_cndmask_b32 v10, v2, v10
.LBB162_120:
	s_or_b32 exec_lo, exec_lo, s1
	s_delay_alu instid0(VALU_DEP_1)
	v_mov_b64_e32 v[2:3], v[10:11]
.LBB162_121:
	s_or_b32 exec_lo, exec_lo, s0
	s_delay_alu instid0(VALU_DEP_1) | instskip(NEXT) | instid1(VALU_DEP_2)
	v_mov_b32_dpp v4, v2 quad_perm:[2,3,0,1] row_mask:0xf bank_mask:0xf
	v_mov_b32_dpp v5, v3 quad_perm:[2,3,0,1] row_mask:0xf bank_mask:0xf
	s_mov_b32 s0, exec_lo
	s_delay_alu instid0(VALU_DEP_1)
	v_cmpx_o_f64_e32 v[4:5], v[4:5]
	s_cbranch_execz .LBB162_125
; %bb.122:
	s_mov_b32 s1, exec_lo
	v_cmpx_o_f64_e32 v[2:3], v[2:3]
	s_cbranch_execz .LBB162_124
; %bb.123:
	v_cmp_lt_f64_e32 vcc_lo, v[2:3], v[4:5]
	v_dual_cndmask_b32 v3, v5, v3 :: v_dual_cndmask_b32 v2, v4, v2
.LBB162_124:
	s_or_b32 exec_lo, exec_lo, s1
	s_delay_alu instid0(VALU_DEP_1)
	v_mov_b64_e32 v[4:5], v[2:3]
.LBB162_125:
	s_or_b32 exec_lo, exec_lo, s0
	s_delay_alu instid0(VALU_DEP_1) | instskip(NEXT) | instid1(VALU_DEP_2)
	v_mov_b32_dpp v2, v4 row_ror:4 row_mask:0xf bank_mask:0xf
	v_mov_b32_dpp v3, v5 row_ror:4 row_mask:0xf bank_mask:0xf
	s_mov_b32 s0, exec_lo
	s_delay_alu instid0(VALU_DEP_1)
	v_cmpx_o_f64_e32 v[2:3], v[2:3]
	s_cbranch_execz .LBB162_129
; %bb.126:
	s_mov_b32 s1, exec_lo
	v_cmpx_o_f64_e32 v[4:5], v[4:5]
	s_cbranch_execz .LBB162_128
; %bb.127:
	v_cmp_lt_f64_e32 vcc_lo, v[4:5], v[2:3]
	v_dual_cndmask_b32 v5, v3, v5 :: v_dual_cndmask_b32 v4, v2, v4
.LBB162_128:
	s_or_b32 exec_lo, exec_lo, s1
	s_delay_alu instid0(VALU_DEP_1)
	v_mov_b64_e32 v[2:3], v[4:5]
.LBB162_129:
	s_or_b32 exec_lo, exec_lo, s0
	s_delay_alu instid0(VALU_DEP_1) | instskip(NEXT) | instid1(VALU_DEP_2)
	v_mov_b32_dpp v4, v2 row_ror:8 row_mask:0xf bank_mask:0xf
	v_mov_b32_dpp v5, v3 row_ror:8 row_mask:0xf bank_mask:0xf
	s_mov_b32 s0, exec_lo
	s_delay_alu instid0(VALU_DEP_1)
	v_cmpx_o_f64_e32 v[4:5], v[4:5]
	s_cbranch_execz .LBB162_133
; %bb.130:
	s_mov_b32 s1, exec_lo
	v_cmpx_o_f64_e32 v[2:3], v[2:3]
	s_cbranch_execz .LBB162_132
; %bb.131:
	v_cmp_lt_f64_e32 vcc_lo, v[2:3], v[4:5]
	v_dual_cndmask_b32 v3, v5, v3 :: v_dual_cndmask_b32 v2, v4, v2
.LBB162_132:
	s_or_b32 exec_lo, exec_lo, s1
	s_delay_alu instid0(VALU_DEP_1)
	v_mov_b64_e32 v[4:5], v[2:3]
.LBB162_133:
	s_or_b32 exec_lo, exec_lo, s0
	ds_swizzle_b32 v2, v4 offset:swizzle(BROADCAST,32,15)
	ds_swizzle_b32 v3, v5 offset:swizzle(BROADCAST,32,15)
	s_mov_b32 s0, exec_lo
	s_wait_dscnt 0x0
	v_cmpx_o_f64_e32 v[2:3], v[2:3]
	s_cbranch_execz .LBB162_137
; %bb.134:
	s_mov_b32 s1, exec_lo
	v_cmpx_o_f64_e32 v[4:5], v[4:5]
	s_cbranch_execz .LBB162_136
; %bb.135:
	v_cmp_lt_f64_e32 vcc_lo, v[4:5], v[2:3]
	v_dual_cndmask_b32 v5, v3, v5 :: v_dual_cndmask_b32 v4, v2, v4
.LBB162_136:
	s_or_b32 exec_lo, exec_lo, s1
	s_delay_alu instid0(VALU_DEP_1)
	v_mov_b64_e32 v[2:3], v[4:5]
.LBB162_137:
	s_or_b32 exec_lo, exec_lo, s0
	v_mov_b32_e32 v1, 0
	s_mov_b32 s0, exec_lo
	ds_bpermute_b32 v2, v1, v2 offset:124
	ds_bpermute_b32 v3, v1, v3 offset:124
	v_mbcnt_lo_u32_b32 v1, -1, 0
	s_delay_alu instid0(VALU_DEP_1)
	v_cmpx_eq_u32_e32 0, v1
	s_cbranch_execz .LBB162_139
; %bb.138:
	v_lshrrev_b32_e32 v4, 2, v0
	s_delay_alu instid0(VALU_DEP_1)
	v_and_b32_e32 v4, 56, v4
	s_wait_dscnt 0x0
	ds_store_b64 v4, v[2:3]
.LBB162_139:
	s_or_b32 exec_lo, exec_lo, s0
	s_delay_alu instid0(SALU_CYCLE_1)
	s_mov_b32 s1, exec_lo
	s_wait_dscnt 0x0
	s_barrier_signal -1
	s_barrier_wait -1
	v_cmpx_gt_u32_e32 32, v0
	s_cbranch_execz .LBB162_153
; %bb.140:
	v_and_b32_e32 v6, 7, v1
	s_delay_alu instid0(VALU_DEP_1) | instskip(NEXT) | instid1(VALU_DEP_1)
	v_cmp_ne_u32_e64 s0, 7, v6
	v_add_co_ci_u32_e64 v4, null, 0, v1, s0
	s_mov_b32 s0, exec_lo
	v_dual_lshlrev_b32 v5, 2, v4 :: v_dual_lshlrev_b32 v2, 3, v6
	ds_load_b64 v[2:3], v2
	s_wait_dscnt 0x0
	ds_bpermute_b32 v4, v5, v2
	ds_bpermute_b32 v5, v5, v3
	v_cmpx_o_f64_e32 v[2:3], v[2:3]
	s_cbranch_execz .LBB162_144
; %bb.141:
	s_mov_b32 s16, exec_lo
	s_wait_dscnt 0x0
	v_cmpx_o_f64_e32 v[4:5], v[4:5]
	s_cbranch_execz .LBB162_143
; %bb.142:
	v_cmp_gt_f64_e32 vcc_lo, v[2:3], v[4:5]
	v_dual_cndmask_b32 v5, v3, v5 :: v_dual_cndmask_b32 v4, v2, v4
.LBB162_143:
	s_or_b32 exec_lo, exec_lo, s16
	s_delay_alu instid0(VALU_DEP_1)
	v_mov_b64_e32 v[2:3], v[4:5]
.LBB162_144:
	s_or_b32 exec_lo, exec_lo, s0
	v_cmp_gt_u32_e64 s0, 6, v6
	s_wait_dscnt 0x1
	s_delay_alu instid0(VALU_DEP_1) | instskip(SKIP_2) | instid1(VALU_DEP_1)
	v_cndmask_b32_e64 v4, 0, 2, s0
	s_mov_b32 s0, exec_lo
	s_wait_dscnt 0x0
	v_add_lshl_u32 v5, v4, v1, 2
	v_lshlrev_b32_e32 v1, 2, v1
	ds_bpermute_b32 v4, v5, v2
	ds_bpermute_b32 v5, v5, v3
	v_cmpx_o_f64_e32 v[2:3], v[2:3]
	s_cbranch_execz .LBB162_148
; %bb.145:
	s_mov_b32 s16, exec_lo
	s_wait_dscnt 0x0
	v_cmpx_o_f64_e32 v[4:5], v[4:5]
	s_cbranch_execz .LBB162_147
; %bb.146:
	v_cmp_gt_f64_e32 vcc_lo, v[2:3], v[4:5]
	v_dual_cndmask_b32 v5, v3, v5 :: v_dual_cndmask_b32 v4, v2, v4
.LBB162_147:
	s_or_b32 exec_lo, exec_lo, s16
	s_delay_alu instid0(VALU_DEP_1)
	v_mov_b64_e32 v[2:3], v[4:5]
.LBB162_148:
	s_or_b32 exec_lo, exec_lo, s0
	v_or_b32_e32 v1, 16, v1
	s_mov_b32 s0, exec_lo
	s_wait_dscnt 0x1
	ds_bpermute_b32 v4, v1, v2
	s_wait_dscnt 0x1
	ds_bpermute_b32 v5, v1, v3
	v_cmpx_o_f64_e32 v[2:3], v[2:3]
	s_cbranch_execz .LBB162_152
; %bb.149:
	s_mov_b32 s16, exec_lo
	s_wait_dscnt 0x0
	v_cmpx_o_f64_e32 v[4:5], v[4:5]
	s_cbranch_execz .LBB162_151
; %bb.150:
	v_cmp_gt_f64_e32 vcc_lo, v[2:3], v[4:5]
	v_dual_cndmask_b32 v5, v3, v5 :: v_dual_cndmask_b32 v4, v2, v4
.LBB162_151:
	s_or_b32 exec_lo, exec_lo, s16
	s_delay_alu instid0(VALU_DEP_1)
	v_mov_b64_e32 v[2:3], v[4:5]
.LBB162_152:
	s_or_b32 exec_lo, exec_lo, s0
.LBB162_153:
	s_delay_alu instid0(SALU_CYCLE_1)
	s_or_b32 exec_lo, exec_lo, s1
	s_branch .LBB162_252
.LBB162_154:
	s_sub_co_i32 s1, s10, s14
	s_mov_b32 s0, exec_lo
                                        ; implicit-def: $vgpr4_vgpr5
	v_cmpx_gt_u32_e64 s1, v0
	s_cbranch_execz .LBB162_164
; %bb.155:
	v_mov_b32_e32 v1, 0
	s_delay_alu instid0(VALU_DEP_1) | instskip(NEXT) | instid1(VALU_DEP_1)
	v_add_nc_u64_e32 v[2:3], s[14:15], v[0:1]
	v_lshl_add_u64 v[6:7], v[2:3], 3, s[4:5]
	v_add_nc_u64_e32 v[2:3], 0x100, v[2:3]
	s_mov_b32 s4, exec_lo
	s_wait_dscnt 0x0
	global_load_b64 v[4:5], v[6:7], off
	s_wait_xcnt 0x0
	v_cmpx_gt_i64_e64 s[10:11], v[2:3]
	s_cbranch_execz .LBB162_163
; %bb.156:
	v_add_nc_u64_e32 v[6:7], 0x800, v[6:7]
	s_mov_b32 s5, 0
	s_branch .LBB162_159
.LBB162_157:                            ;   in Loop: Header=BB162_159 Depth=1
	s_or_b32 exec_lo, exec_lo, s15
	s_delay_alu instid0(VALU_DEP_1)
	v_mov_b64_e32 v[4:5], v[8:9]
.LBB162_158:                            ;   in Loop: Header=BB162_159 Depth=1
	s_or_b32 exec_lo, exec_lo, s14
	v_add_nc_u64_e32 v[2:3], 0x100, v[2:3]
	v_add_nc_u64_e32 v[6:7], 0x800, v[6:7]
	s_delay_alu instid0(VALU_DEP_2) | instskip(SKIP_1) | instid1(SALU_CYCLE_1)
	v_cmp_le_i64_e32 vcc_lo, s[10:11], v[2:3]
	s_or_b32 s5, vcc_lo, s5
	s_and_not1_b32 exec_lo, exec_lo, s5
	s_cbranch_execz .LBB162_162
.LBB162_159:                            ; =>This Inner Loop Header: Depth=1
	s_mov_b32 s14, exec_lo
	s_wait_loadcnt 0x0
	v_cmpx_o_f64_e32 v[4:5], v[4:5]
	s_cbranch_execz .LBB162_158
; %bb.160:                              ;   in Loop: Header=BB162_159 Depth=1
	global_load_b64 v[8:9], v[6:7], off
	s_mov_b32 s15, exec_lo
	s_wait_loadcnt 0x0
	v_cmpx_o_f64_e32 v[8:9], v[8:9]
	s_cbranch_execz .LBB162_157
; %bb.161:                              ;   in Loop: Header=BB162_159 Depth=1
	v_cmp_lt_f64_e32 vcc_lo, v[8:9], v[4:5]
	v_dual_cndmask_b32 v9, v5, v9 :: v_dual_cndmask_b32 v8, v4, v8
	s_branch .LBB162_157
.LBB162_162:
	s_or_b32 exec_lo, exec_lo, s5
.LBB162_163:
	s_delay_alu instid0(SALU_CYCLE_1)
	s_or_b32 exec_lo, exec_lo, s4
.LBB162_164:
	s_delay_alu instid0(SALU_CYCLE_1)
	s_or_b32 exec_lo, exec_lo, s0
	v_lshrrev_b32_e32 v10, 5, v0
	v_mbcnt_lo_u32_b32 v1, -1, 0
	s_cmp_lt_u32 s1, 0x100
	s_mov_b32 s0, -1
                                        ; implicit-def: $vgpr2_vgpr3
	s_cbranch_scc0 .LBB162_214
; %bb.165:
	s_delay_alu instid0(VALU_DEP_1) | instskip(SKIP_3) | instid1(VALU_DEP_1)
	v_cmp_ne_u32_e32 vcc_lo, 31, v1
	s_wait_loadcnt_dscnt 0x0
	v_dual_mov_b32 v6, v4 :: v_dual_mov_b32 v7, v5
	v_add_co_ci_u32_e64 v2, null, 0, v1, vcc_lo
	v_lshlrev_b32_e32 v2, 2, v2
	ds_bpermute_b32 v8, v2, v4
	ds_bpermute_b32 v9, v2, v5
	v_and_b32_e32 v2, 0xe0, v0
	s_delay_alu instid0(VALU_DEP_1) | instskip(SKIP_1) | instid1(VALU_DEP_1)
	v_sub_nc_u32_e64 v11, s1, v2 clamp
	v_add_nc_u32_e32 v2, 1, v1
	v_cmp_lt_u32_e32 vcc_lo, v2, v11
	v_mov_b64_e32 v[2:3], v[4:5]
	s_and_saveexec_b32 s0, vcc_lo
	s_cbranch_execz .LBB162_171
; %bb.166:
	v_mov_b64_e32 v[6:7], v[4:5]
	s_mov_b32 s4, exec_lo
	v_cmpx_o_f64_e32 v[4:5], v[4:5]
	s_cbranch_execz .LBB162_170
; %bb.167:
	s_mov_b32 s5, exec_lo
	s_wait_dscnt 0x0
	v_cmpx_o_f64_e32 v[8:9], v[8:9]
	s_cbranch_execz .LBB162_169
; %bb.168:
	v_cmp_gt_f64_e32 vcc_lo, v[4:5], v[8:9]
	v_dual_cndmask_b32 v9, v5, v9 :: v_dual_cndmask_b32 v8, v4, v8
.LBB162_169:
	s_or_b32 exec_lo, exec_lo, s5
	s_delay_alu instid0(VALU_DEP_1)
	v_mov_b64_e32 v[6:7], v[8:9]
.LBB162_170:
	s_or_b32 exec_lo, exec_lo, s4
	s_delay_alu instid0(VALU_DEP_1)
	v_mov_b64_e32 v[2:3], v[6:7]
.LBB162_171:
	s_or_b32 exec_lo, exec_lo, s0
	v_cmp_gt_u32_e32 vcc_lo, 30, v1
	v_add_nc_u32_e32 v12, 2, v1
	s_mov_b32 s0, exec_lo
	s_wait_dscnt 0x1
	v_cndmask_b32_e64 v8, 0, 2, vcc_lo
	s_wait_dscnt 0x0
	s_delay_alu instid0(VALU_DEP_1)
	v_add_lshl_u32 v9, v8, v1, 2
	ds_bpermute_b32 v8, v9, v6
	ds_bpermute_b32 v9, v9, v7
	v_cmpx_lt_u32_e64 v12, v11
	s_cbranch_execz .LBB162_177
; %bb.172:
	s_mov_b32 s4, exec_lo
	v_cmpx_o_f64_e32 v[2:3], v[2:3]
	s_cbranch_execz .LBB162_176
; %bb.173:
	s_mov_b32 s5, exec_lo
	s_wait_dscnt 0x0
	v_cmpx_o_f64_e32 v[8:9], v[8:9]
	s_cbranch_execz .LBB162_175
; %bb.174:
	v_cmp_gt_f64_e32 vcc_lo, v[2:3], v[8:9]
	v_dual_cndmask_b32 v9, v3, v9 :: v_dual_cndmask_b32 v8, v2, v8
.LBB162_175:
	s_or_b32 exec_lo, exec_lo, s5
	s_delay_alu instid0(VALU_DEP_1)
	v_mov_b64_e32 v[2:3], v[8:9]
.LBB162_176:
	s_or_b32 exec_lo, exec_lo, s4
	s_delay_alu instid0(VALU_DEP_1)
	v_dual_mov_b32 v6, v2 :: v_dual_mov_b32 v7, v3
.LBB162_177:
	s_or_b32 exec_lo, exec_lo, s0
	v_cmp_gt_u32_e32 vcc_lo, 28, v1
	v_add_nc_u32_e32 v12, 4, v1
	s_mov_b32 s0, exec_lo
	s_wait_dscnt 0x1
	v_cndmask_b32_e64 v8, 0, 4, vcc_lo
	s_wait_dscnt 0x0
	s_delay_alu instid0(VALU_DEP_1)
	v_add_lshl_u32 v9, v8, v1, 2
	ds_bpermute_b32 v8, v9, v6
	ds_bpermute_b32 v9, v9, v7
	v_cmpx_lt_u32_e64 v12, v11
	s_cbranch_execz .LBB162_183
; %bb.178:
	s_mov_b32 s4, exec_lo
	v_cmpx_o_f64_e32 v[2:3], v[2:3]
	s_cbranch_execz .LBB162_182
; %bb.179:
	s_mov_b32 s5, exec_lo
	s_wait_dscnt 0x0
	v_cmpx_o_f64_e32 v[8:9], v[8:9]
	s_cbranch_execz .LBB162_181
; %bb.180:
	v_cmp_gt_f64_e32 vcc_lo, v[2:3], v[8:9]
	v_dual_cndmask_b32 v9, v3, v9 :: v_dual_cndmask_b32 v8, v2, v8
.LBB162_181:
	s_or_b32 exec_lo, exec_lo, s5
	s_delay_alu instid0(VALU_DEP_1)
	v_mov_b64_e32 v[2:3], v[8:9]
.LBB162_182:
	s_or_b32 exec_lo, exec_lo, s4
	s_delay_alu instid0(VALU_DEP_1)
	v_dual_mov_b32 v6, v2 :: v_dual_mov_b32 v7, v3
.LBB162_183:
	;; [unrolled: 34-line block ×3, first 2 shown]
	s_or_b32 exec_lo, exec_lo, s0
	v_cmp_o_f64_e32 vcc_lo, v[2:3], v[2:3]
	s_wait_dscnt 0x1
	v_lshlrev_b32_e32 v8, 2, v1
	s_wait_dscnt 0x0
	s_delay_alu instid0(VALU_DEP_1) | instskip(SKIP_3) | instid1(VALU_DEP_1)
	v_or_b32_e32 v9, 64, v8
	ds_bpermute_b32 v6, v9, v6
	ds_bpermute_b32 v7, v9, v7
	v_add_nc_u32_e32 v9, 16, v1
	v_cmp_lt_u32_e64 s0, v9, v11
	s_and_b32 s4, s0, vcc_lo
	s_delay_alu instid0(SALU_CYCLE_1)
	s_and_saveexec_b32 s0, s4
	s_cbranch_execz .LBB162_193
; %bb.190:
	s_mov_b32 s4, exec_lo
	s_wait_dscnt 0x0
	v_cmpx_o_f64_e32 v[6:7], v[6:7]
	s_cbranch_execz .LBB162_192
; %bb.191:
	v_cmp_gt_f64_e32 vcc_lo, v[2:3], v[6:7]
	v_dual_cndmask_b32 v7, v3, v7 :: v_dual_cndmask_b32 v6, v2, v6
.LBB162_192:
	s_or_b32 exec_lo, exec_lo, s4
	s_delay_alu instid0(VALU_DEP_1)
	v_mov_b64_e32 v[2:3], v[6:7]
.LBB162_193:
	s_or_b32 exec_lo, exec_lo, s0
	s_delay_alu instid0(SALU_CYCLE_1)
	s_mov_b32 s0, exec_lo
	v_cmpx_eq_u32_e32 0, v1
	s_cbranch_execz .LBB162_195
; %bb.194:
	s_wait_dscnt 0x1
	v_lshlrev_b32_e32 v6, 3, v10
	ds_store_b64 v6, v[2:3]
.LBB162_195:
	s_or_b32 exec_lo, exec_lo, s0
	s_delay_alu instid0(SALU_CYCLE_1)
	s_mov_b32 s4, exec_lo
	s_wait_dscnt 0x0
	s_barrier_signal -1
	s_barrier_wait -1
	v_cmpx_gt_u32_e32 8, v0
	s_cbranch_execz .LBB162_213
; %bb.196:
	v_dual_lshlrev_b32 v2, 3, v1 :: v_dual_bitop2_b32 v9, 7, v1 bitop3:0x40
	s_add_co_i32 s1, s1, 31
	s_delay_alu instid0(SALU_CYCLE_1)
	s_lshr_b32 s0, s1, 5
	ds_load_b64 v[2:3], v2
	v_cmp_ne_u32_e32 vcc_lo, 7, v9
	s_mov_b32 s1, exec_lo
	v_add_nc_u32_e32 v11, 1, v9
	v_add_co_ci_u32_e64 v6, null, 0, v1, vcc_lo
	s_delay_alu instid0(VALU_DEP_1)
	v_lshlrev_b32_e32 v7, 2, v6
	s_wait_dscnt 0x0
	ds_bpermute_b32 v6, v7, v2
	ds_bpermute_b32 v7, v7, v3
	v_cmpx_gt_u32_e64 s0, v11
	s_cbranch_execz .LBB162_202
; %bb.197:
	s_mov_b32 s5, exec_lo
	v_cmpx_o_f64_e32 v[2:3], v[2:3]
	s_cbranch_execz .LBB162_201
; %bb.198:
	s_mov_b32 s10, exec_lo
	s_wait_dscnt 0x0
	v_cmpx_o_f64_e32 v[6:7], v[6:7]
	s_cbranch_execz .LBB162_200
; %bb.199:
	v_cmp_gt_f64_e32 vcc_lo, v[2:3], v[6:7]
	v_dual_cndmask_b32 v7, v3, v7 :: v_dual_cndmask_b32 v6, v2, v6
.LBB162_200:
	s_or_b32 exec_lo, exec_lo, s10
	s_delay_alu instid0(VALU_DEP_1)
	v_mov_b64_e32 v[2:3], v[6:7]
.LBB162_201:
	s_or_b32 exec_lo, exec_lo, s5
.LBB162_202:
	s_delay_alu instid0(SALU_CYCLE_1)
	s_or_b32 exec_lo, exec_lo, s1
	v_cmp_gt_u32_e32 vcc_lo, 6, v9
	v_add_nc_u32_e32 v11, 2, v9
	s_mov_b32 s1, exec_lo
	s_wait_dscnt 0x1
	v_cndmask_b32_e64 v6, 0, 2, vcc_lo
	s_wait_dscnt 0x0
	s_delay_alu instid0(VALU_DEP_1)
	v_add_lshl_u32 v7, v6, v1, 2
	ds_bpermute_b32 v6, v7, v2
	ds_bpermute_b32 v7, v7, v3
	v_cmpx_gt_u32_e64 s0, v11
	s_cbranch_execz .LBB162_208
; %bb.203:
	s_mov_b32 s5, exec_lo
	v_cmpx_o_f64_e32 v[2:3], v[2:3]
	s_cbranch_execz .LBB162_207
; %bb.204:
	s_mov_b32 s10, exec_lo
	s_wait_dscnt 0x0
	v_cmpx_o_f64_e32 v[6:7], v[6:7]
	s_cbranch_execz .LBB162_206
; %bb.205:
	v_cmp_gt_f64_e32 vcc_lo, v[2:3], v[6:7]
	v_dual_cndmask_b32 v7, v3, v7 :: v_dual_cndmask_b32 v6, v2, v6
.LBB162_206:
	s_or_b32 exec_lo, exec_lo, s10
	s_delay_alu instid0(VALU_DEP_1)
	v_mov_b64_e32 v[2:3], v[6:7]
.LBB162_207:
	s_or_b32 exec_lo, exec_lo, s5
.LBB162_208:
	s_delay_alu instid0(SALU_CYCLE_1) | instskip(NEXT) | instid1(VALU_DEP_1)
	s_or_b32 exec_lo, exec_lo, s1
	v_cmp_o_f64_e32 vcc_lo, v[2:3], v[2:3]
	s_wait_dscnt 0x0
	v_dual_add_nc_u32 v8, 4, v9 :: v_dual_bitop2_b32 v7, 16, v8 bitop3:0x54
	ds_bpermute_b32 v6, v7, v2
	ds_bpermute_b32 v7, v7, v3
	v_cmp_gt_u32_e64 s0, s0, v8
	s_and_b32 s1, s0, vcc_lo
	s_delay_alu instid0(SALU_CYCLE_1)
	s_and_saveexec_b32 s0, s1
	s_cbranch_execz .LBB162_212
; %bb.209:
	s_mov_b32 s1, exec_lo
	s_wait_dscnt 0x0
	v_cmpx_o_f64_e32 v[6:7], v[6:7]
	s_cbranch_execz .LBB162_211
; %bb.210:
	v_cmp_gt_f64_e32 vcc_lo, v[2:3], v[6:7]
	v_dual_cndmask_b32 v7, v3, v7 :: v_dual_cndmask_b32 v6, v2, v6
.LBB162_211:
	s_or_b32 exec_lo, exec_lo, s1
	s_delay_alu instid0(VALU_DEP_1)
	v_mov_b64_e32 v[2:3], v[6:7]
.LBB162_212:
	s_or_b32 exec_lo, exec_lo, s0
.LBB162_213:
	s_delay_alu instid0(SALU_CYCLE_1)
	s_or_b32 exec_lo, exec_lo, s4
	s_mov_b32 s0, 0
.LBB162_214:
	s_delay_alu instid0(SALU_CYCLE_1)
	s_and_b32 vcc_lo, exec_lo, s0
	s_cbranch_vccz .LBB162_252
; %bb.215:
	s_wait_loadcnt_dscnt 0x1
	v_mov_b32_dpp v2, v4 quad_perm:[1,0,3,2] row_mask:0xf bank_mask:0xf
	s_wait_dscnt 0x0
	v_mov_b32_dpp v3, v5 quad_perm:[1,0,3,2] row_mask:0xf bank_mask:0xf
	s_mov_b32 s0, exec_lo
	s_delay_alu instid0(VALU_DEP_1)
	v_cmpx_o_f64_e32 v[2:3], v[2:3]
	s_cbranch_execz .LBB162_219
; %bb.216:
	s_mov_b32 s1, exec_lo
	v_cmpx_o_f64_e32 v[4:5], v[4:5]
	s_cbranch_execz .LBB162_218
; %bb.217:
	v_cmp_lt_f64_e32 vcc_lo, v[4:5], v[2:3]
	v_dual_cndmask_b32 v5, v3, v5 :: v_dual_cndmask_b32 v4, v2, v4
.LBB162_218:
	s_or_b32 exec_lo, exec_lo, s1
	s_delay_alu instid0(VALU_DEP_1)
	v_mov_b64_e32 v[2:3], v[4:5]
.LBB162_219:
	s_or_b32 exec_lo, exec_lo, s0
	s_delay_alu instid0(VALU_DEP_1) | instskip(NEXT) | instid1(VALU_DEP_2)
	v_mov_b32_dpp v4, v2 quad_perm:[2,3,0,1] row_mask:0xf bank_mask:0xf
	v_mov_b32_dpp v5, v3 quad_perm:[2,3,0,1] row_mask:0xf bank_mask:0xf
	s_mov_b32 s0, exec_lo
	s_delay_alu instid0(VALU_DEP_1)
	v_cmpx_o_f64_e32 v[4:5], v[4:5]
	s_cbranch_execz .LBB162_223
; %bb.220:
	s_mov_b32 s1, exec_lo
	v_cmpx_o_f64_e32 v[2:3], v[2:3]
	s_cbranch_execz .LBB162_222
; %bb.221:
	v_cmp_lt_f64_e32 vcc_lo, v[2:3], v[4:5]
	v_dual_cndmask_b32 v3, v5, v3 :: v_dual_cndmask_b32 v2, v4, v2
.LBB162_222:
	s_or_b32 exec_lo, exec_lo, s1
	s_delay_alu instid0(VALU_DEP_1)
	v_mov_b64_e32 v[4:5], v[2:3]
.LBB162_223:
	s_or_b32 exec_lo, exec_lo, s0
	s_delay_alu instid0(VALU_DEP_1) | instskip(NEXT) | instid1(VALU_DEP_2)
	v_mov_b32_dpp v2, v4 row_ror:4 row_mask:0xf bank_mask:0xf
	v_mov_b32_dpp v3, v5 row_ror:4 row_mask:0xf bank_mask:0xf
	s_mov_b32 s0, exec_lo
	s_delay_alu instid0(VALU_DEP_1)
	v_cmpx_o_f64_e32 v[2:3], v[2:3]
	s_cbranch_execz .LBB162_227
; %bb.224:
	s_mov_b32 s1, exec_lo
	v_cmpx_o_f64_e32 v[4:5], v[4:5]
	s_cbranch_execz .LBB162_226
; %bb.225:
	v_cmp_lt_f64_e32 vcc_lo, v[4:5], v[2:3]
	v_dual_cndmask_b32 v5, v3, v5 :: v_dual_cndmask_b32 v4, v2, v4
.LBB162_226:
	s_or_b32 exec_lo, exec_lo, s1
	s_delay_alu instid0(VALU_DEP_1)
	v_mov_b64_e32 v[2:3], v[4:5]
.LBB162_227:
	s_or_b32 exec_lo, exec_lo, s0
	s_delay_alu instid0(VALU_DEP_1) | instskip(NEXT) | instid1(VALU_DEP_2)
	v_mov_b32_dpp v4, v2 row_ror:8 row_mask:0xf bank_mask:0xf
	v_mov_b32_dpp v5, v3 row_ror:8 row_mask:0xf bank_mask:0xf
	s_mov_b32 s0, exec_lo
	s_delay_alu instid0(VALU_DEP_1)
	v_cmpx_o_f64_e32 v[4:5], v[4:5]
	s_cbranch_execz .LBB162_231
; %bb.228:
	s_mov_b32 s1, exec_lo
	v_cmpx_o_f64_e32 v[2:3], v[2:3]
	s_cbranch_execz .LBB162_230
; %bb.229:
	v_cmp_lt_f64_e32 vcc_lo, v[2:3], v[4:5]
	v_dual_cndmask_b32 v3, v5, v3 :: v_dual_cndmask_b32 v2, v4, v2
.LBB162_230:
	s_or_b32 exec_lo, exec_lo, s1
	s_delay_alu instid0(VALU_DEP_1)
	v_mov_b64_e32 v[4:5], v[2:3]
.LBB162_231:
	s_or_b32 exec_lo, exec_lo, s0
	ds_swizzle_b32 v2, v4 offset:swizzle(BROADCAST,32,15)
	ds_swizzle_b32 v3, v5 offset:swizzle(BROADCAST,32,15)
	s_mov_b32 s0, exec_lo
	s_wait_dscnt 0x0
	v_cmpx_o_f64_e32 v[2:3], v[2:3]
	s_cbranch_execz .LBB162_235
; %bb.232:
	s_mov_b32 s1, exec_lo
	v_cmpx_o_f64_e32 v[4:5], v[4:5]
	s_cbranch_execz .LBB162_234
; %bb.233:
	v_cmp_lt_f64_e32 vcc_lo, v[4:5], v[2:3]
	v_dual_cndmask_b32 v5, v3, v5 :: v_dual_cndmask_b32 v4, v2, v4
.LBB162_234:
	s_or_b32 exec_lo, exec_lo, s1
	s_delay_alu instid0(VALU_DEP_1)
	v_mov_b64_e32 v[2:3], v[4:5]
.LBB162_235:
	s_or_b32 exec_lo, exec_lo, s0
	v_mov_b32_e32 v4, 0
	s_mov_b32 s0, exec_lo
	ds_bpermute_b32 v2, v4, v2 offset:124
	ds_bpermute_b32 v3, v4, v3 offset:124
	v_cmpx_eq_u32_e32 0, v1
	s_cbranch_execz .LBB162_237
; %bb.236:
	v_lshlrev_b32_e32 v4, 3, v10
	s_wait_dscnt 0x0
	ds_store_b64 v4, v[2:3]
.LBB162_237:
	s_or_b32 exec_lo, exec_lo, s0
	s_delay_alu instid0(SALU_CYCLE_1)
	s_mov_b32 s1, exec_lo
	s_wait_dscnt 0x0
	s_barrier_signal -1
	s_barrier_wait -1
	v_cmpx_gt_u32_e32 32, v0
	s_cbranch_execz .LBB162_251
; %bb.238:
	v_and_b32_e32 v6, 7, v1
	s_delay_alu instid0(VALU_DEP_1) | instskip(NEXT) | instid1(VALU_DEP_1)
	v_cmp_ne_u32_e64 s0, 7, v6
	v_add_co_ci_u32_e64 v4, null, 0, v1, s0
	s_mov_b32 s0, exec_lo
	v_dual_lshlrev_b32 v5, 2, v4 :: v_dual_lshlrev_b32 v2, 3, v6
	ds_load_b64 v[2:3], v2
	s_wait_dscnt 0x0
	ds_bpermute_b32 v4, v5, v2
	ds_bpermute_b32 v5, v5, v3
	v_cmpx_o_f64_e32 v[2:3], v[2:3]
	s_cbranch_execz .LBB162_242
; %bb.239:
	s_mov_b32 s4, exec_lo
	s_wait_dscnt 0x0
	v_cmpx_o_f64_e32 v[4:5], v[4:5]
	s_cbranch_execz .LBB162_241
; %bb.240:
	v_cmp_gt_f64_e32 vcc_lo, v[2:3], v[4:5]
	v_dual_cndmask_b32 v5, v3, v5 :: v_dual_cndmask_b32 v4, v2, v4
.LBB162_241:
	s_or_b32 exec_lo, exec_lo, s4
	s_delay_alu instid0(VALU_DEP_1)
	v_mov_b64_e32 v[2:3], v[4:5]
.LBB162_242:
	s_or_b32 exec_lo, exec_lo, s0
	v_cmp_gt_u32_e64 s0, 6, v6
	s_wait_dscnt 0x1
	s_delay_alu instid0(VALU_DEP_1) | instskip(SKIP_2) | instid1(VALU_DEP_1)
	v_cndmask_b32_e64 v4, 0, 2, s0
	s_mov_b32 s0, exec_lo
	s_wait_dscnt 0x0
	v_add_lshl_u32 v5, v4, v1, 2
	v_lshlrev_b32_e32 v1, 2, v1
	ds_bpermute_b32 v4, v5, v2
	ds_bpermute_b32 v5, v5, v3
	v_cmpx_o_f64_e32 v[2:3], v[2:3]
	s_cbranch_execz .LBB162_246
; %bb.243:
	s_mov_b32 s4, exec_lo
	s_wait_dscnt 0x0
	v_cmpx_o_f64_e32 v[4:5], v[4:5]
	s_cbranch_execz .LBB162_245
; %bb.244:
	v_cmp_gt_f64_e32 vcc_lo, v[2:3], v[4:5]
	v_dual_cndmask_b32 v5, v3, v5 :: v_dual_cndmask_b32 v4, v2, v4
.LBB162_245:
	s_or_b32 exec_lo, exec_lo, s4
	s_delay_alu instid0(VALU_DEP_1)
	v_mov_b64_e32 v[2:3], v[4:5]
.LBB162_246:
	s_or_b32 exec_lo, exec_lo, s0
	v_or_b32_e32 v1, 16, v1
	s_mov_b32 s0, exec_lo
	s_wait_dscnt 0x1
	ds_bpermute_b32 v4, v1, v2
	s_wait_dscnt 0x1
	ds_bpermute_b32 v5, v1, v3
	v_cmpx_o_f64_e32 v[2:3], v[2:3]
	s_cbranch_execz .LBB162_250
; %bb.247:
	s_mov_b32 s4, exec_lo
	s_wait_dscnt 0x0
	v_cmpx_o_f64_e32 v[4:5], v[4:5]
	s_cbranch_execz .LBB162_249
; %bb.248:
	v_cmp_gt_f64_e32 vcc_lo, v[2:3], v[4:5]
	v_dual_cndmask_b32 v5, v3, v5 :: v_dual_cndmask_b32 v4, v2, v4
.LBB162_249:
	s_or_b32 exec_lo, exec_lo, s4
	s_delay_alu instid0(VALU_DEP_1)
	v_mov_b64_e32 v[2:3], v[4:5]
.LBB162_250:
	s_or_b32 exec_lo, exec_lo, s0
.LBB162_251:
	s_delay_alu instid0(SALU_CYCLE_1)
	s_or_b32 exec_lo, exec_lo, s1
.LBB162_252:
	s_delay_alu instid0(SALU_CYCLE_1)
	s_mov_b32 s0, exec_lo
                                        ; implicit-def: $vgpr4_vgpr5
	v_cmpx_eq_u32_e32 0, v0
	s_cbranch_execz .LBB162_258
; %bb.253:
	v_cmp_u_f64_e64 s1, s[12:13], s[12:13]
	s_wait_loadcnt_dscnt 0x0
	v_mov_b64_e32 v[4:5], s[12:13]
	s_and_b32 vcc_lo, exec_lo, s1
	s_cbranch_vccnz .LBB162_257
; %bb.254:
	s_mov_b32 s1, exec_lo
	v_cmpx_o_f64_e32 v[2:3], v[2:3]
	s_cbranch_execz .LBB162_256
; %bb.255:
	v_cmp_gt_f64_e32 vcc_lo, s[12:13], v[2:3]
	v_cndmask_b32_e32 v3, s13, v3, vcc_lo
	v_cndmask_b32_e32 v2, s12, v2, vcc_lo
.LBB162_256:
	s_or_b32 exec_lo, exec_lo, s1
	s_delay_alu instid0(VALU_DEP_1)
	v_mov_b64_e32 v[4:5], v[2:3]
.LBB162_257:
	s_or_b32 s18, s18, exec_lo
.LBB162_258:
	s_or_b32 exec_lo, exec_lo, s0
	s_and_saveexec_b32 s0, s18
	s_cbranch_execz .LBB162_260
.LBB162_259:
	v_mov_b32_e32 v0, 0
	s_add_nc_u64 s[0:1], s[6:7], s[8:9]
	s_lshl_b64 s[2:3], s[2:3], 3
	s_delay_alu instid0(SALU_CYCLE_1)
	s_add_nc_u64 s[0:1], s[0:1], s[2:3]
	s_wait_loadcnt_dscnt 0x0
	global_store_b64 v0, v[4:5], s[0:1]
.LBB162_260:
	s_endpgm
	.section	.rodata,"a",@progbits
	.p2align	6, 0x0
	.amdhsa_kernel _ZN7rocprim17ROCPRIM_400000_NS6detail17trampoline_kernelINS0_14default_configENS1_32segmented_reduce_config_selectorIdEEZNS1_21segmented_reduce_implIS3_PKdPdPKldN6hipcub16HIPCUB_304000_NS6detail27convert_result_type_wrapperIS8_S9_N2at6native12_GLOBAL__N_19CustomMinEEEEE10hipError_tPvRmT0_T1_jT2_SQ_T4_T3_P12ihipStream_tbEUlT_E_NS1_11comp_targetILNS1_3genE0ELNS1_11target_archE4294967295ELNS1_3gpuE0ELNS1_3repE0EEENS1_30default_config_static_selectorELNS0_4arch9wavefront6targetE0EEEvSP_
		.amdhsa_group_segment_fixed_size 64
		.amdhsa_private_segment_fixed_size 0
		.amdhsa_kernarg_size 56
		.amdhsa_user_sgpr_count 2
		.amdhsa_user_sgpr_dispatch_ptr 0
		.amdhsa_user_sgpr_queue_ptr 0
		.amdhsa_user_sgpr_kernarg_segment_ptr 1
		.amdhsa_user_sgpr_dispatch_id 0
		.amdhsa_user_sgpr_kernarg_preload_length 0
		.amdhsa_user_sgpr_kernarg_preload_offset 0
		.amdhsa_user_sgpr_private_segment_size 0
		.amdhsa_wavefront_size32 1
		.amdhsa_uses_dynamic_stack 0
		.amdhsa_enable_private_segment 0
		.amdhsa_system_sgpr_workgroup_id_x 1
		.amdhsa_system_sgpr_workgroup_id_y 0
		.amdhsa_system_sgpr_workgroup_id_z 0
		.amdhsa_system_sgpr_workgroup_info 0
		.amdhsa_system_vgpr_workitem_id 0
		.amdhsa_next_free_vgpr 26
		.amdhsa_next_free_sgpr 22
		.amdhsa_named_barrier_count 0
		.amdhsa_reserve_vcc 1
		.amdhsa_float_round_mode_32 0
		.amdhsa_float_round_mode_16_64 0
		.amdhsa_float_denorm_mode_32 3
		.amdhsa_float_denorm_mode_16_64 3
		.amdhsa_fp16_overflow 0
		.amdhsa_memory_ordered 1
		.amdhsa_forward_progress 1
		.amdhsa_inst_pref_size 45
		.amdhsa_round_robin_scheduling 0
		.amdhsa_exception_fp_ieee_invalid_op 0
		.amdhsa_exception_fp_denorm_src 0
		.amdhsa_exception_fp_ieee_div_zero 0
		.amdhsa_exception_fp_ieee_overflow 0
		.amdhsa_exception_fp_ieee_underflow 0
		.amdhsa_exception_fp_ieee_inexact 0
		.amdhsa_exception_int_div_zero 0
	.end_amdhsa_kernel
	.section	.text._ZN7rocprim17ROCPRIM_400000_NS6detail17trampoline_kernelINS0_14default_configENS1_32segmented_reduce_config_selectorIdEEZNS1_21segmented_reduce_implIS3_PKdPdPKldN6hipcub16HIPCUB_304000_NS6detail27convert_result_type_wrapperIS8_S9_N2at6native12_GLOBAL__N_19CustomMinEEEEE10hipError_tPvRmT0_T1_jT2_SQ_T4_T3_P12ihipStream_tbEUlT_E_NS1_11comp_targetILNS1_3genE0ELNS1_11target_archE4294967295ELNS1_3gpuE0ELNS1_3repE0EEENS1_30default_config_static_selectorELNS0_4arch9wavefront6targetE0EEEvSP_,"axG",@progbits,_ZN7rocprim17ROCPRIM_400000_NS6detail17trampoline_kernelINS0_14default_configENS1_32segmented_reduce_config_selectorIdEEZNS1_21segmented_reduce_implIS3_PKdPdPKldN6hipcub16HIPCUB_304000_NS6detail27convert_result_type_wrapperIS8_S9_N2at6native12_GLOBAL__N_19CustomMinEEEEE10hipError_tPvRmT0_T1_jT2_SQ_T4_T3_P12ihipStream_tbEUlT_E_NS1_11comp_targetILNS1_3genE0ELNS1_11target_archE4294967295ELNS1_3gpuE0ELNS1_3repE0EEENS1_30default_config_static_selectorELNS0_4arch9wavefront6targetE0EEEvSP_,comdat
.Lfunc_end162:
	.size	_ZN7rocprim17ROCPRIM_400000_NS6detail17trampoline_kernelINS0_14default_configENS1_32segmented_reduce_config_selectorIdEEZNS1_21segmented_reduce_implIS3_PKdPdPKldN6hipcub16HIPCUB_304000_NS6detail27convert_result_type_wrapperIS8_S9_N2at6native12_GLOBAL__N_19CustomMinEEEEE10hipError_tPvRmT0_T1_jT2_SQ_T4_T3_P12ihipStream_tbEUlT_E_NS1_11comp_targetILNS1_3genE0ELNS1_11target_archE4294967295ELNS1_3gpuE0ELNS1_3repE0EEENS1_30default_config_static_selectorELNS0_4arch9wavefront6targetE0EEEvSP_, .Lfunc_end162-_ZN7rocprim17ROCPRIM_400000_NS6detail17trampoline_kernelINS0_14default_configENS1_32segmented_reduce_config_selectorIdEEZNS1_21segmented_reduce_implIS3_PKdPdPKldN6hipcub16HIPCUB_304000_NS6detail27convert_result_type_wrapperIS8_S9_N2at6native12_GLOBAL__N_19CustomMinEEEEE10hipError_tPvRmT0_T1_jT2_SQ_T4_T3_P12ihipStream_tbEUlT_E_NS1_11comp_targetILNS1_3genE0ELNS1_11target_archE4294967295ELNS1_3gpuE0ELNS1_3repE0EEENS1_30default_config_static_selectorELNS0_4arch9wavefront6targetE0EEEvSP_
                                        ; -- End function
	.set _ZN7rocprim17ROCPRIM_400000_NS6detail17trampoline_kernelINS0_14default_configENS1_32segmented_reduce_config_selectorIdEEZNS1_21segmented_reduce_implIS3_PKdPdPKldN6hipcub16HIPCUB_304000_NS6detail27convert_result_type_wrapperIS8_S9_N2at6native12_GLOBAL__N_19CustomMinEEEEE10hipError_tPvRmT0_T1_jT2_SQ_T4_T3_P12ihipStream_tbEUlT_E_NS1_11comp_targetILNS1_3genE0ELNS1_11target_archE4294967295ELNS1_3gpuE0ELNS1_3repE0EEENS1_30default_config_static_selectorELNS0_4arch9wavefront6targetE0EEEvSP_.num_vgpr, 26
	.set _ZN7rocprim17ROCPRIM_400000_NS6detail17trampoline_kernelINS0_14default_configENS1_32segmented_reduce_config_selectorIdEEZNS1_21segmented_reduce_implIS3_PKdPdPKldN6hipcub16HIPCUB_304000_NS6detail27convert_result_type_wrapperIS8_S9_N2at6native12_GLOBAL__N_19CustomMinEEEEE10hipError_tPvRmT0_T1_jT2_SQ_T4_T3_P12ihipStream_tbEUlT_E_NS1_11comp_targetILNS1_3genE0ELNS1_11target_archE4294967295ELNS1_3gpuE0ELNS1_3repE0EEENS1_30default_config_static_selectorELNS0_4arch9wavefront6targetE0EEEvSP_.num_agpr, 0
	.set _ZN7rocprim17ROCPRIM_400000_NS6detail17trampoline_kernelINS0_14default_configENS1_32segmented_reduce_config_selectorIdEEZNS1_21segmented_reduce_implIS3_PKdPdPKldN6hipcub16HIPCUB_304000_NS6detail27convert_result_type_wrapperIS8_S9_N2at6native12_GLOBAL__N_19CustomMinEEEEE10hipError_tPvRmT0_T1_jT2_SQ_T4_T3_P12ihipStream_tbEUlT_E_NS1_11comp_targetILNS1_3genE0ELNS1_11target_archE4294967295ELNS1_3gpuE0ELNS1_3repE0EEENS1_30default_config_static_selectorELNS0_4arch9wavefront6targetE0EEEvSP_.numbered_sgpr, 22
	.set _ZN7rocprim17ROCPRIM_400000_NS6detail17trampoline_kernelINS0_14default_configENS1_32segmented_reduce_config_selectorIdEEZNS1_21segmented_reduce_implIS3_PKdPdPKldN6hipcub16HIPCUB_304000_NS6detail27convert_result_type_wrapperIS8_S9_N2at6native12_GLOBAL__N_19CustomMinEEEEE10hipError_tPvRmT0_T1_jT2_SQ_T4_T3_P12ihipStream_tbEUlT_E_NS1_11comp_targetILNS1_3genE0ELNS1_11target_archE4294967295ELNS1_3gpuE0ELNS1_3repE0EEENS1_30default_config_static_selectorELNS0_4arch9wavefront6targetE0EEEvSP_.num_named_barrier, 0
	.set _ZN7rocprim17ROCPRIM_400000_NS6detail17trampoline_kernelINS0_14default_configENS1_32segmented_reduce_config_selectorIdEEZNS1_21segmented_reduce_implIS3_PKdPdPKldN6hipcub16HIPCUB_304000_NS6detail27convert_result_type_wrapperIS8_S9_N2at6native12_GLOBAL__N_19CustomMinEEEEE10hipError_tPvRmT0_T1_jT2_SQ_T4_T3_P12ihipStream_tbEUlT_E_NS1_11comp_targetILNS1_3genE0ELNS1_11target_archE4294967295ELNS1_3gpuE0ELNS1_3repE0EEENS1_30default_config_static_selectorELNS0_4arch9wavefront6targetE0EEEvSP_.private_seg_size, 0
	.set _ZN7rocprim17ROCPRIM_400000_NS6detail17trampoline_kernelINS0_14default_configENS1_32segmented_reduce_config_selectorIdEEZNS1_21segmented_reduce_implIS3_PKdPdPKldN6hipcub16HIPCUB_304000_NS6detail27convert_result_type_wrapperIS8_S9_N2at6native12_GLOBAL__N_19CustomMinEEEEE10hipError_tPvRmT0_T1_jT2_SQ_T4_T3_P12ihipStream_tbEUlT_E_NS1_11comp_targetILNS1_3genE0ELNS1_11target_archE4294967295ELNS1_3gpuE0ELNS1_3repE0EEENS1_30default_config_static_selectorELNS0_4arch9wavefront6targetE0EEEvSP_.uses_vcc, 1
	.set _ZN7rocprim17ROCPRIM_400000_NS6detail17trampoline_kernelINS0_14default_configENS1_32segmented_reduce_config_selectorIdEEZNS1_21segmented_reduce_implIS3_PKdPdPKldN6hipcub16HIPCUB_304000_NS6detail27convert_result_type_wrapperIS8_S9_N2at6native12_GLOBAL__N_19CustomMinEEEEE10hipError_tPvRmT0_T1_jT2_SQ_T4_T3_P12ihipStream_tbEUlT_E_NS1_11comp_targetILNS1_3genE0ELNS1_11target_archE4294967295ELNS1_3gpuE0ELNS1_3repE0EEENS1_30default_config_static_selectorELNS0_4arch9wavefront6targetE0EEEvSP_.uses_flat_scratch, 0
	.set _ZN7rocprim17ROCPRIM_400000_NS6detail17trampoline_kernelINS0_14default_configENS1_32segmented_reduce_config_selectorIdEEZNS1_21segmented_reduce_implIS3_PKdPdPKldN6hipcub16HIPCUB_304000_NS6detail27convert_result_type_wrapperIS8_S9_N2at6native12_GLOBAL__N_19CustomMinEEEEE10hipError_tPvRmT0_T1_jT2_SQ_T4_T3_P12ihipStream_tbEUlT_E_NS1_11comp_targetILNS1_3genE0ELNS1_11target_archE4294967295ELNS1_3gpuE0ELNS1_3repE0EEENS1_30default_config_static_selectorELNS0_4arch9wavefront6targetE0EEEvSP_.has_dyn_sized_stack, 0
	.set _ZN7rocprim17ROCPRIM_400000_NS6detail17trampoline_kernelINS0_14default_configENS1_32segmented_reduce_config_selectorIdEEZNS1_21segmented_reduce_implIS3_PKdPdPKldN6hipcub16HIPCUB_304000_NS6detail27convert_result_type_wrapperIS8_S9_N2at6native12_GLOBAL__N_19CustomMinEEEEE10hipError_tPvRmT0_T1_jT2_SQ_T4_T3_P12ihipStream_tbEUlT_E_NS1_11comp_targetILNS1_3genE0ELNS1_11target_archE4294967295ELNS1_3gpuE0ELNS1_3repE0EEENS1_30default_config_static_selectorELNS0_4arch9wavefront6targetE0EEEvSP_.has_recursion, 0
	.set _ZN7rocprim17ROCPRIM_400000_NS6detail17trampoline_kernelINS0_14default_configENS1_32segmented_reduce_config_selectorIdEEZNS1_21segmented_reduce_implIS3_PKdPdPKldN6hipcub16HIPCUB_304000_NS6detail27convert_result_type_wrapperIS8_S9_N2at6native12_GLOBAL__N_19CustomMinEEEEE10hipError_tPvRmT0_T1_jT2_SQ_T4_T3_P12ihipStream_tbEUlT_E_NS1_11comp_targetILNS1_3genE0ELNS1_11target_archE4294967295ELNS1_3gpuE0ELNS1_3repE0EEENS1_30default_config_static_selectorELNS0_4arch9wavefront6targetE0EEEvSP_.has_indirect_call, 0
	.section	.AMDGPU.csdata,"",@progbits
; Kernel info:
; codeLenInByte = 5664
; TotalNumSgprs: 24
; NumVgprs: 26
; ScratchSize: 0
; MemoryBound: 0
; FloatMode: 240
; IeeeMode: 1
; LDSByteSize: 64 bytes/workgroup (compile time only)
; SGPRBlocks: 0
; VGPRBlocks: 1
; NumSGPRsForWavesPerEU: 24
; NumVGPRsForWavesPerEU: 26
; NamedBarCnt: 0
; Occupancy: 16
; WaveLimiterHint : 1
; COMPUTE_PGM_RSRC2:SCRATCH_EN: 0
; COMPUTE_PGM_RSRC2:USER_SGPR: 2
; COMPUTE_PGM_RSRC2:TRAP_HANDLER: 0
; COMPUTE_PGM_RSRC2:TGID_X_EN: 1
; COMPUTE_PGM_RSRC2:TGID_Y_EN: 0
; COMPUTE_PGM_RSRC2:TGID_Z_EN: 0
; COMPUTE_PGM_RSRC2:TIDIG_COMP_CNT: 0
	.section	.text._ZN7rocprim17ROCPRIM_400000_NS6detail17trampoline_kernelINS0_14default_configENS1_32segmented_reduce_config_selectorIdEEZNS1_21segmented_reduce_implIS3_PKdPdPKldN6hipcub16HIPCUB_304000_NS6detail27convert_result_type_wrapperIS8_S9_N2at6native12_GLOBAL__N_19CustomMinEEEEE10hipError_tPvRmT0_T1_jT2_SQ_T4_T3_P12ihipStream_tbEUlT_E_NS1_11comp_targetILNS1_3genE5ELNS1_11target_archE942ELNS1_3gpuE9ELNS1_3repE0EEENS1_30default_config_static_selectorELNS0_4arch9wavefront6targetE0EEEvSP_,"axG",@progbits,_ZN7rocprim17ROCPRIM_400000_NS6detail17trampoline_kernelINS0_14default_configENS1_32segmented_reduce_config_selectorIdEEZNS1_21segmented_reduce_implIS3_PKdPdPKldN6hipcub16HIPCUB_304000_NS6detail27convert_result_type_wrapperIS8_S9_N2at6native12_GLOBAL__N_19CustomMinEEEEE10hipError_tPvRmT0_T1_jT2_SQ_T4_T3_P12ihipStream_tbEUlT_E_NS1_11comp_targetILNS1_3genE5ELNS1_11target_archE942ELNS1_3gpuE9ELNS1_3repE0EEENS1_30default_config_static_selectorELNS0_4arch9wavefront6targetE0EEEvSP_,comdat
	.globl	_ZN7rocprim17ROCPRIM_400000_NS6detail17trampoline_kernelINS0_14default_configENS1_32segmented_reduce_config_selectorIdEEZNS1_21segmented_reduce_implIS3_PKdPdPKldN6hipcub16HIPCUB_304000_NS6detail27convert_result_type_wrapperIS8_S9_N2at6native12_GLOBAL__N_19CustomMinEEEEE10hipError_tPvRmT0_T1_jT2_SQ_T4_T3_P12ihipStream_tbEUlT_E_NS1_11comp_targetILNS1_3genE5ELNS1_11target_archE942ELNS1_3gpuE9ELNS1_3repE0EEENS1_30default_config_static_selectorELNS0_4arch9wavefront6targetE0EEEvSP_ ; -- Begin function _ZN7rocprim17ROCPRIM_400000_NS6detail17trampoline_kernelINS0_14default_configENS1_32segmented_reduce_config_selectorIdEEZNS1_21segmented_reduce_implIS3_PKdPdPKldN6hipcub16HIPCUB_304000_NS6detail27convert_result_type_wrapperIS8_S9_N2at6native12_GLOBAL__N_19CustomMinEEEEE10hipError_tPvRmT0_T1_jT2_SQ_T4_T3_P12ihipStream_tbEUlT_E_NS1_11comp_targetILNS1_3genE5ELNS1_11target_archE942ELNS1_3gpuE9ELNS1_3repE0EEENS1_30default_config_static_selectorELNS0_4arch9wavefront6targetE0EEEvSP_
	.p2align	8
	.type	_ZN7rocprim17ROCPRIM_400000_NS6detail17trampoline_kernelINS0_14default_configENS1_32segmented_reduce_config_selectorIdEEZNS1_21segmented_reduce_implIS3_PKdPdPKldN6hipcub16HIPCUB_304000_NS6detail27convert_result_type_wrapperIS8_S9_N2at6native12_GLOBAL__N_19CustomMinEEEEE10hipError_tPvRmT0_T1_jT2_SQ_T4_T3_P12ihipStream_tbEUlT_E_NS1_11comp_targetILNS1_3genE5ELNS1_11target_archE942ELNS1_3gpuE9ELNS1_3repE0EEENS1_30default_config_static_selectorELNS0_4arch9wavefront6targetE0EEEvSP_,@function
_ZN7rocprim17ROCPRIM_400000_NS6detail17trampoline_kernelINS0_14default_configENS1_32segmented_reduce_config_selectorIdEEZNS1_21segmented_reduce_implIS3_PKdPdPKldN6hipcub16HIPCUB_304000_NS6detail27convert_result_type_wrapperIS8_S9_N2at6native12_GLOBAL__N_19CustomMinEEEEE10hipError_tPvRmT0_T1_jT2_SQ_T4_T3_P12ihipStream_tbEUlT_E_NS1_11comp_targetILNS1_3genE5ELNS1_11target_archE942ELNS1_3gpuE9ELNS1_3repE0EEENS1_30default_config_static_selectorELNS0_4arch9wavefront6targetE0EEEvSP_: ; @_ZN7rocprim17ROCPRIM_400000_NS6detail17trampoline_kernelINS0_14default_configENS1_32segmented_reduce_config_selectorIdEEZNS1_21segmented_reduce_implIS3_PKdPdPKldN6hipcub16HIPCUB_304000_NS6detail27convert_result_type_wrapperIS8_S9_N2at6native12_GLOBAL__N_19CustomMinEEEEE10hipError_tPvRmT0_T1_jT2_SQ_T4_T3_P12ihipStream_tbEUlT_E_NS1_11comp_targetILNS1_3genE5ELNS1_11target_archE942ELNS1_3gpuE9ELNS1_3repE0EEENS1_30default_config_static_selectorELNS0_4arch9wavefront6targetE0EEEvSP_
; %bb.0:
	.section	.rodata,"a",@progbits
	.p2align	6, 0x0
	.amdhsa_kernel _ZN7rocprim17ROCPRIM_400000_NS6detail17trampoline_kernelINS0_14default_configENS1_32segmented_reduce_config_selectorIdEEZNS1_21segmented_reduce_implIS3_PKdPdPKldN6hipcub16HIPCUB_304000_NS6detail27convert_result_type_wrapperIS8_S9_N2at6native12_GLOBAL__N_19CustomMinEEEEE10hipError_tPvRmT0_T1_jT2_SQ_T4_T3_P12ihipStream_tbEUlT_E_NS1_11comp_targetILNS1_3genE5ELNS1_11target_archE942ELNS1_3gpuE9ELNS1_3repE0EEENS1_30default_config_static_selectorELNS0_4arch9wavefront6targetE0EEEvSP_
		.amdhsa_group_segment_fixed_size 0
		.amdhsa_private_segment_fixed_size 0
		.amdhsa_kernarg_size 56
		.amdhsa_user_sgpr_count 2
		.amdhsa_user_sgpr_dispatch_ptr 0
		.amdhsa_user_sgpr_queue_ptr 0
		.amdhsa_user_sgpr_kernarg_segment_ptr 1
		.amdhsa_user_sgpr_dispatch_id 0
		.amdhsa_user_sgpr_kernarg_preload_length 0
		.amdhsa_user_sgpr_kernarg_preload_offset 0
		.amdhsa_user_sgpr_private_segment_size 0
		.amdhsa_wavefront_size32 1
		.amdhsa_uses_dynamic_stack 0
		.amdhsa_enable_private_segment 0
		.amdhsa_system_sgpr_workgroup_id_x 1
		.amdhsa_system_sgpr_workgroup_id_y 0
		.amdhsa_system_sgpr_workgroup_id_z 0
		.amdhsa_system_sgpr_workgroup_info 0
		.amdhsa_system_vgpr_workitem_id 0
		.amdhsa_next_free_vgpr 1
		.amdhsa_next_free_sgpr 1
		.amdhsa_named_barrier_count 0
		.amdhsa_reserve_vcc 0
		.amdhsa_float_round_mode_32 0
		.amdhsa_float_round_mode_16_64 0
		.amdhsa_float_denorm_mode_32 3
		.amdhsa_float_denorm_mode_16_64 3
		.amdhsa_fp16_overflow 0
		.amdhsa_memory_ordered 1
		.amdhsa_forward_progress 1
		.amdhsa_inst_pref_size 0
		.amdhsa_round_robin_scheduling 0
		.amdhsa_exception_fp_ieee_invalid_op 0
		.amdhsa_exception_fp_denorm_src 0
		.amdhsa_exception_fp_ieee_div_zero 0
		.amdhsa_exception_fp_ieee_overflow 0
		.amdhsa_exception_fp_ieee_underflow 0
		.amdhsa_exception_fp_ieee_inexact 0
		.amdhsa_exception_int_div_zero 0
	.end_amdhsa_kernel
	.section	.text._ZN7rocprim17ROCPRIM_400000_NS6detail17trampoline_kernelINS0_14default_configENS1_32segmented_reduce_config_selectorIdEEZNS1_21segmented_reduce_implIS3_PKdPdPKldN6hipcub16HIPCUB_304000_NS6detail27convert_result_type_wrapperIS8_S9_N2at6native12_GLOBAL__N_19CustomMinEEEEE10hipError_tPvRmT0_T1_jT2_SQ_T4_T3_P12ihipStream_tbEUlT_E_NS1_11comp_targetILNS1_3genE5ELNS1_11target_archE942ELNS1_3gpuE9ELNS1_3repE0EEENS1_30default_config_static_selectorELNS0_4arch9wavefront6targetE0EEEvSP_,"axG",@progbits,_ZN7rocprim17ROCPRIM_400000_NS6detail17trampoline_kernelINS0_14default_configENS1_32segmented_reduce_config_selectorIdEEZNS1_21segmented_reduce_implIS3_PKdPdPKldN6hipcub16HIPCUB_304000_NS6detail27convert_result_type_wrapperIS8_S9_N2at6native12_GLOBAL__N_19CustomMinEEEEE10hipError_tPvRmT0_T1_jT2_SQ_T4_T3_P12ihipStream_tbEUlT_E_NS1_11comp_targetILNS1_3genE5ELNS1_11target_archE942ELNS1_3gpuE9ELNS1_3repE0EEENS1_30default_config_static_selectorELNS0_4arch9wavefront6targetE0EEEvSP_,comdat
.Lfunc_end163:
	.size	_ZN7rocprim17ROCPRIM_400000_NS6detail17trampoline_kernelINS0_14default_configENS1_32segmented_reduce_config_selectorIdEEZNS1_21segmented_reduce_implIS3_PKdPdPKldN6hipcub16HIPCUB_304000_NS6detail27convert_result_type_wrapperIS8_S9_N2at6native12_GLOBAL__N_19CustomMinEEEEE10hipError_tPvRmT0_T1_jT2_SQ_T4_T3_P12ihipStream_tbEUlT_E_NS1_11comp_targetILNS1_3genE5ELNS1_11target_archE942ELNS1_3gpuE9ELNS1_3repE0EEENS1_30default_config_static_selectorELNS0_4arch9wavefront6targetE0EEEvSP_, .Lfunc_end163-_ZN7rocprim17ROCPRIM_400000_NS6detail17trampoline_kernelINS0_14default_configENS1_32segmented_reduce_config_selectorIdEEZNS1_21segmented_reduce_implIS3_PKdPdPKldN6hipcub16HIPCUB_304000_NS6detail27convert_result_type_wrapperIS8_S9_N2at6native12_GLOBAL__N_19CustomMinEEEEE10hipError_tPvRmT0_T1_jT2_SQ_T4_T3_P12ihipStream_tbEUlT_E_NS1_11comp_targetILNS1_3genE5ELNS1_11target_archE942ELNS1_3gpuE9ELNS1_3repE0EEENS1_30default_config_static_selectorELNS0_4arch9wavefront6targetE0EEEvSP_
                                        ; -- End function
	.set _ZN7rocprim17ROCPRIM_400000_NS6detail17trampoline_kernelINS0_14default_configENS1_32segmented_reduce_config_selectorIdEEZNS1_21segmented_reduce_implIS3_PKdPdPKldN6hipcub16HIPCUB_304000_NS6detail27convert_result_type_wrapperIS8_S9_N2at6native12_GLOBAL__N_19CustomMinEEEEE10hipError_tPvRmT0_T1_jT2_SQ_T4_T3_P12ihipStream_tbEUlT_E_NS1_11comp_targetILNS1_3genE5ELNS1_11target_archE942ELNS1_3gpuE9ELNS1_3repE0EEENS1_30default_config_static_selectorELNS0_4arch9wavefront6targetE0EEEvSP_.num_vgpr, 0
	.set _ZN7rocprim17ROCPRIM_400000_NS6detail17trampoline_kernelINS0_14default_configENS1_32segmented_reduce_config_selectorIdEEZNS1_21segmented_reduce_implIS3_PKdPdPKldN6hipcub16HIPCUB_304000_NS6detail27convert_result_type_wrapperIS8_S9_N2at6native12_GLOBAL__N_19CustomMinEEEEE10hipError_tPvRmT0_T1_jT2_SQ_T4_T3_P12ihipStream_tbEUlT_E_NS1_11comp_targetILNS1_3genE5ELNS1_11target_archE942ELNS1_3gpuE9ELNS1_3repE0EEENS1_30default_config_static_selectorELNS0_4arch9wavefront6targetE0EEEvSP_.num_agpr, 0
	.set _ZN7rocprim17ROCPRIM_400000_NS6detail17trampoline_kernelINS0_14default_configENS1_32segmented_reduce_config_selectorIdEEZNS1_21segmented_reduce_implIS3_PKdPdPKldN6hipcub16HIPCUB_304000_NS6detail27convert_result_type_wrapperIS8_S9_N2at6native12_GLOBAL__N_19CustomMinEEEEE10hipError_tPvRmT0_T1_jT2_SQ_T4_T3_P12ihipStream_tbEUlT_E_NS1_11comp_targetILNS1_3genE5ELNS1_11target_archE942ELNS1_3gpuE9ELNS1_3repE0EEENS1_30default_config_static_selectorELNS0_4arch9wavefront6targetE0EEEvSP_.numbered_sgpr, 0
	.set _ZN7rocprim17ROCPRIM_400000_NS6detail17trampoline_kernelINS0_14default_configENS1_32segmented_reduce_config_selectorIdEEZNS1_21segmented_reduce_implIS3_PKdPdPKldN6hipcub16HIPCUB_304000_NS6detail27convert_result_type_wrapperIS8_S9_N2at6native12_GLOBAL__N_19CustomMinEEEEE10hipError_tPvRmT0_T1_jT2_SQ_T4_T3_P12ihipStream_tbEUlT_E_NS1_11comp_targetILNS1_3genE5ELNS1_11target_archE942ELNS1_3gpuE9ELNS1_3repE0EEENS1_30default_config_static_selectorELNS0_4arch9wavefront6targetE0EEEvSP_.num_named_barrier, 0
	.set _ZN7rocprim17ROCPRIM_400000_NS6detail17trampoline_kernelINS0_14default_configENS1_32segmented_reduce_config_selectorIdEEZNS1_21segmented_reduce_implIS3_PKdPdPKldN6hipcub16HIPCUB_304000_NS6detail27convert_result_type_wrapperIS8_S9_N2at6native12_GLOBAL__N_19CustomMinEEEEE10hipError_tPvRmT0_T1_jT2_SQ_T4_T3_P12ihipStream_tbEUlT_E_NS1_11comp_targetILNS1_3genE5ELNS1_11target_archE942ELNS1_3gpuE9ELNS1_3repE0EEENS1_30default_config_static_selectorELNS0_4arch9wavefront6targetE0EEEvSP_.private_seg_size, 0
	.set _ZN7rocprim17ROCPRIM_400000_NS6detail17trampoline_kernelINS0_14default_configENS1_32segmented_reduce_config_selectorIdEEZNS1_21segmented_reduce_implIS3_PKdPdPKldN6hipcub16HIPCUB_304000_NS6detail27convert_result_type_wrapperIS8_S9_N2at6native12_GLOBAL__N_19CustomMinEEEEE10hipError_tPvRmT0_T1_jT2_SQ_T4_T3_P12ihipStream_tbEUlT_E_NS1_11comp_targetILNS1_3genE5ELNS1_11target_archE942ELNS1_3gpuE9ELNS1_3repE0EEENS1_30default_config_static_selectorELNS0_4arch9wavefront6targetE0EEEvSP_.uses_vcc, 0
	.set _ZN7rocprim17ROCPRIM_400000_NS6detail17trampoline_kernelINS0_14default_configENS1_32segmented_reduce_config_selectorIdEEZNS1_21segmented_reduce_implIS3_PKdPdPKldN6hipcub16HIPCUB_304000_NS6detail27convert_result_type_wrapperIS8_S9_N2at6native12_GLOBAL__N_19CustomMinEEEEE10hipError_tPvRmT0_T1_jT2_SQ_T4_T3_P12ihipStream_tbEUlT_E_NS1_11comp_targetILNS1_3genE5ELNS1_11target_archE942ELNS1_3gpuE9ELNS1_3repE0EEENS1_30default_config_static_selectorELNS0_4arch9wavefront6targetE0EEEvSP_.uses_flat_scratch, 0
	.set _ZN7rocprim17ROCPRIM_400000_NS6detail17trampoline_kernelINS0_14default_configENS1_32segmented_reduce_config_selectorIdEEZNS1_21segmented_reduce_implIS3_PKdPdPKldN6hipcub16HIPCUB_304000_NS6detail27convert_result_type_wrapperIS8_S9_N2at6native12_GLOBAL__N_19CustomMinEEEEE10hipError_tPvRmT0_T1_jT2_SQ_T4_T3_P12ihipStream_tbEUlT_E_NS1_11comp_targetILNS1_3genE5ELNS1_11target_archE942ELNS1_3gpuE9ELNS1_3repE0EEENS1_30default_config_static_selectorELNS0_4arch9wavefront6targetE0EEEvSP_.has_dyn_sized_stack, 0
	.set _ZN7rocprim17ROCPRIM_400000_NS6detail17trampoline_kernelINS0_14default_configENS1_32segmented_reduce_config_selectorIdEEZNS1_21segmented_reduce_implIS3_PKdPdPKldN6hipcub16HIPCUB_304000_NS6detail27convert_result_type_wrapperIS8_S9_N2at6native12_GLOBAL__N_19CustomMinEEEEE10hipError_tPvRmT0_T1_jT2_SQ_T4_T3_P12ihipStream_tbEUlT_E_NS1_11comp_targetILNS1_3genE5ELNS1_11target_archE942ELNS1_3gpuE9ELNS1_3repE0EEENS1_30default_config_static_selectorELNS0_4arch9wavefront6targetE0EEEvSP_.has_recursion, 0
	.set _ZN7rocprim17ROCPRIM_400000_NS6detail17trampoline_kernelINS0_14default_configENS1_32segmented_reduce_config_selectorIdEEZNS1_21segmented_reduce_implIS3_PKdPdPKldN6hipcub16HIPCUB_304000_NS6detail27convert_result_type_wrapperIS8_S9_N2at6native12_GLOBAL__N_19CustomMinEEEEE10hipError_tPvRmT0_T1_jT2_SQ_T4_T3_P12ihipStream_tbEUlT_E_NS1_11comp_targetILNS1_3genE5ELNS1_11target_archE942ELNS1_3gpuE9ELNS1_3repE0EEENS1_30default_config_static_selectorELNS0_4arch9wavefront6targetE0EEEvSP_.has_indirect_call, 0
	.section	.AMDGPU.csdata,"",@progbits
; Kernel info:
; codeLenInByte = 0
; TotalNumSgprs: 0
; NumVgprs: 0
; ScratchSize: 0
; MemoryBound: 0
; FloatMode: 240
; IeeeMode: 1
; LDSByteSize: 0 bytes/workgroup (compile time only)
; SGPRBlocks: 0
; VGPRBlocks: 0
; NumSGPRsForWavesPerEU: 1
; NumVGPRsForWavesPerEU: 1
; NamedBarCnt: 0
; Occupancy: 16
; WaveLimiterHint : 0
; COMPUTE_PGM_RSRC2:SCRATCH_EN: 0
; COMPUTE_PGM_RSRC2:USER_SGPR: 2
; COMPUTE_PGM_RSRC2:TRAP_HANDLER: 0
; COMPUTE_PGM_RSRC2:TGID_X_EN: 1
; COMPUTE_PGM_RSRC2:TGID_Y_EN: 0
; COMPUTE_PGM_RSRC2:TGID_Z_EN: 0
; COMPUTE_PGM_RSRC2:TIDIG_COMP_CNT: 0
	.section	.text._ZN7rocprim17ROCPRIM_400000_NS6detail17trampoline_kernelINS0_14default_configENS1_32segmented_reduce_config_selectorIdEEZNS1_21segmented_reduce_implIS3_PKdPdPKldN6hipcub16HIPCUB_304000_NS6detail27convert_result_type_wrapperIS8_S9_N2at6native12_GLOBAL__N_19CustomMinEEEEE10hipError_tPvRmT0_T1_jT2_SQ_T4_T3_P12ihipStream_tbEUlT_E_NS1_11comp_targetILNS1_3genE10ELNS1_11target_archE1201ELNS1_3gpuE5ELNS1_3repE0EEENS1_30default_config_static_selectorELNS0_4arch9wavefront6targetE0EEEvSP_,"axG",@progbits,_ZN7rocprim17ROCPRIM_400000_NS6detail17trampoline_kernelINS0_14default_configENS1_32segmented_reduce_config_selectorIdEEZNS1_21segmented_reduce_implIS3_PKdPdPKldN6hipcub16HIPCUB_304000_NS6detail27convert_result_type_wrapperIS8_S9_N2at6native12_GLOBAL__N_19CustomMinEEEEE10hipError_tPvRmT0_T1_jT2_SQ_T4_T3_P12ihipStream_tbEUlT_E_NS1_11comp_targetILNS1_3genE10ELNS1_11target_archE1201ELNS1_3gpuE5ELNS1_3repE0EEENS1_30default_config_static_selectorELNS0_4arch9wavefront6targetE0EEEvSP_,comdat
	.globl	_ZN7rocprim17ROCPRIM_400000_NS6detail17trampoline_kernelINS0_14default_configENS1_32segmented_reduce_config_selectorIdEEZNS1_21segmented_reduce_implIS3_PKdPdPKldN6hipcub16HIPCUB_304000_NS6detail27convert_result_type_wrapperIS8_S9_N2at6native12_GLOBAL__N_19CustomMinEEEEE10hipError_tPvRmT0_T1_jT2_SQ_T4_T3_P12ihipStream_tbEUlT_E_NS1_11comp_targetILNS1_3genE10ELNS1_11target_archE1201ELNS1_3gpuE5ELNS1_3repE0EEENS1_30default_config_static_selectorELNS0_4arch9wavefront6targetE0EEEvSP_ ; -- Begin function _ZN7rocprim17ROCPRIM_400000_NS6detail17trampoline_kernelINS0_14default_configENS1_32segmented_reduce_config_selectorIdEEZNS1_21segmented_reduce_implIS3_PKdPdPKldN6hipcub16HIPCUB_304000_NS6detail27convert_result_type_wrapperIS8_S9_N2at6native12_GLOBAL__N_19CustomMinEEEEE10hipError_tPvRmT0_T1_jT2_SQ_T4_T3_P12ihipStream_tbEUlT_E_NS1_11comp_targetILNS1_3genE10ELNS1_11target_archE1201ELNS1_3gpuE5ELNS1_3repE0EEENS1_30default_config_static_selectorELNS0_4arch9wavefront6targetE0EEEvSP_
	.p2align	8
	.type	_ZN7rocprim17ROCPRIM_400000_NS6detail17trampoline_kernelINS0_14default_configENS1_32segmented_reduce_config_selectorIdEEZNS1_21segmented_reduce_implIS3_PKdPdPKldN6hipcub16HIPCUB_304000_NS6detail27convert_result_type_wrapperIS8_S9_N2at6native12_GLOBAL__N_19CustomMinEEEEE10hipError_tPvRmT0_T1_jT2_SQ_T4_T3_P12ihipStream_tbEUlT_E_NS1_11comp_targetILNS1_3genE10ELNS1_11target_archE1201ELNS1_3gpuE5ELNS1_3repE0EEENS1_30default_config_static_selectorELNS0_4arch9wavefront6targetE0EEEvSP_,@function
_ZN7rocprim17ROCPRIM_400000_NS6detail17trampoline_kernelINS0_14default_configENS1_32segmented_reduce_config_selectorIdEEZNS1_21segmented_reduce_implIS3_PKdPdPKldN6hipcub16HIPCUB_304000_NS6detail27convert_result_type_wrapperIS8_S9_N2at6native12_GLOBAL__N_19CustomMinEEEEE10hipError_tPvRmT0_T1_jT2_SQ_T4_T3_P12ihipStream_tbEUlT_E_NS1_11comp_targetILNS1_3genE10ELNS1_11target_archE1201ELNS1_3gpuE5ELNS1_3repE0EEENS1_30default_config_static_selectorELNS0_4arch9wavefront6targetE0EEEvSP_: ; @_ZN7rocprim17ROCPRIM_400000_NS6detail17trampoline_kernelINS0_14default_configENS1_32segmented_reduce_config_selectorIdEEZNS1_21segmented_reduce_implIS3_PKdPdPKldN6hipcub16HIPCUB_304000_NS6detail27convert_result_type_wrapperIS8_S9_N2at6native12_GLOBAL__N_19CustomMinEEEEE10hipError_tPvRmT0_T1_jT2_SQ_T4_T3_P12ihipStream_tbEUlT_E_NS1_11comp_targetILNS1_3genE10ELNS1_11target_archE1201ELNS1_3gpuE5ELNS1_3repE0EEENS1_30default_config_static_selectorELNS0_4arch9wavefront6targetE0EEEvSP_
; %bb.0:
	.section	.rodata,"a",@progbits
	.p2align	6, 0x0
	.amdhsa_kernel _ZN7rocprim17ROCPRIM_400000_NS6detail17trampoline_kernelINS0_14default_configENS1_32segmented_reduce_config_selectorIdEEZNS1_21segmented_reduce_implIS3_PKdPdPKldN6hipcub16HIPCUB_304000_NS6detail27convert_result_type_wrapperIS8_S9_N2at6native12_GLOBAL__N_19CustomMinEEEEE10hipError_tPvRmT0_T1_jT2_SQ_T4_T3_P12ihipStream_tbEUlT_E_NS1_11comp_targetILNS1_3genE10ELNS1_11target_archE1201ELNS1_3gpuE5ELNS1_3repE0EEENS1_30default_config_static_selectorELNS0_4arch9wavefront6targetE0EEEvSP_
		.amdhsa_group_segment_fixed_size 0
		.amdhsa_private_segment_fixed_size 0
		.amdhsa_kernarg_size 56
		.amdhsa_user_sgpr_count 2
		.amdhsa_user_sgpr_dispatch_ptr 0
		.amdhsa_user_sgpr_queue_ptr 0
		.amdhsa_user_sgpr_kernarg_segment_ptr 1
		.amdhsa_user_sgpr_dispatch_id 0
		.amdhsa_user_sgpr_kernarg_preload_length 0
		.amdhsa_user_sgpr_kernarg_preload_offset 0
		.amdhsa_user_sgpr_private_segment_size 0
		.amdhsa_wavefront_size32 1
		.amdhsa_uses_dynamic_stack 0
		.amdhsa_enable_private_segment 0
		.amdhsa_system_sgpr_workgroup_id_x 1
		.amdhsa_system_sgpr_workgroup_id_y 0
		.amdhsa_system_sgpr_workgroup_id_z 0
		.amdhsa_system_sgpr_workgroup_info 0
		.amdhsa_system_vgpr_workitem_id 0
		.amdhsa_next_free_vgpr 1
		.amdhsa_next_free_sgpr 1
		.amdhsa_named_barrier_count 0
		.amdhsa_reserve_vcc 0
		.amdhsa_float_round_mode_32 0
		.amdhsa_float_round_mode_16_64 0
		.amdhsa_float_denorm_mode_32 3
		.amdhsa_float_denorm_mode_16_64 3
		.amdhsa_fp16_overflow 0
		.amdhsa_memory_ordered 1
		.amdhsa_forward_progress 1
		.amdhsa_inst_pref_size 0
		.amdhsa_round_robin_scheduling 0
		.amdhsa_exception_fp_ieee_invalid_op 0
		.amdhsa_exception_fp_denorm_src 0
		.amdhsa_exception_fp_ieee_div_zero 0
		.amdhsa_exception_fp_ieee_overflow 0
		.amdhsa_exception_fp_ieee_underflow 0
		.amdhsa_exception_fp_ieee_inexact 0
		.amdhsa_exception_int_div_zero 0
	.end_amdhsa_kernel
	.section	.text._ZN7rocprim17ROCPRIM_400000_NS6detail17trampoline_kernelINS0_14default_configENS1_32segmented_reduce_config_selectorIdEEZNS1_21segmented_reduce_implIS3_PKdPdPKldN6hipcub16HIPCUB_304000_NS6detail27convert_result_type_wrapperIS8_S9_N2at6native12_GLOBAL__N_19CustomMinEEEEE10hipError_tPvRmT0_T1_jT2_SQ_T4_T3_P12ihipStream_tbEUlT_E_NS1_11comp_targetILNS1_3genE10ELNS1_11target_archE1201ELNS1_3gpuE5ELNS1_3repE0EEENS1_30default_config_static_selectorELNS0_4arch9wavefront6targetE0EEEvSP_,"axG",@progbits,_ZN7rocprim17ROCPRIM_400000_NS6detail17trampoline_kernelINS0_14default_configENS1_32segmented_reduce_config_selectorIdEEZNS1_21segmented_reduce_implIS3_PKdPdPKldN6hipcub16HIPCUB_304000_NS6detail27convert_result_type_wrapperIS8_S9_N2at6native12_GLOBAL__N_19CustomMinEEEEE10hipError_tPvRmT0_T1_jT2_SQ_T4_T3_P12ihipStream_tbEUlT_E_NS1_11comp_targetILNS1_3genE10ELNS1_11target_archE1201ELNS1_3gpuE5ELNS1_3repE0EEENS1_30default_config_static_selectorELNS0_4arch9wavefront6targetE0EEEvSP_,comdat
.Lfunc_end164:
	.size	_ZN7rocprim17ROCPRIM_400000_NS6detail17trampoline_kernelINS0_14default_configENS1_32segmented_reduce_config_selectorIdEEZNS1_21segmented_reduce_implIS3_PKdPdPKldN6hipcub16HIPCUB_304000_NS6detail27convert_result_type_wrapperIS8_S9_N2at6native12_GLOBAL__N_19CustomMinEEEEE10hipError_tPvRmT0_T1_jT2_SQ_T4_T3_P12ihipStream_tbEUlT_E_NS1_11comp_targetILNS1_3genE10ELNS1_11target_archE1201ELNS1_3gpuE5ELNS1_3repE0EEENS1_30default_config_static_selectorELNS0_4arch9wavefront6targetE0EEEvSP_, .Lfunc_end164-_ZN7rocprim17ROCPRIM_400000_NS6detail17trampoline_kernelINS0_14default_configENS1_32segmented_reduce_config_selectorIdEEZNS1_21segmented_reduce_implIS3_PKdPdPKldN6hipcub16HIPCUB_304000_NS6detail27convert_result_type_wrapperIS8_S9_N2at6native12_GLOBAL__N_19CustomMinEEEEE10hipError_tPvRmT0_T1_jT2_SQ_T4_T3_P12ihipStream_tbEUlT_E_NS1_11comp_targetILNS1_3genE10ELNS1_11target_archE1201ELNS1_3gpuE5ELNS1_3repE0EEENS1_30default_config_static_selectorELNS0_4arch9wavefront6targetE0EEEvSP_
                                        ; -- End function
	.set _ZN7rocprim17ROCPRIM_400000_NS6detail17trampoline_kernelINS0_14default_configENS1_32segmented_reduce_config_selectorIdEEZNS1_21segmented_reduce_implIS3_PKdPdPKldN6hipcub16HIPCUB_304000_NS6detail27convert_result_type_wrapperIS8_S9_N2at6native12_GLOBAL__N_19CustomMinEEEEE10hipError_tPvRmT0_T1_jT2_SQ_T4_T3_P12ihipStream_tbEUlT_E_NS1_11comp_targetILNS1_3genE10ELNS1_11target_archE1201ELNS1_3gpuE5ELNS1_3repE0EEENS1_30default_config_static_selectorELNS0_4arch9wavefront6targetE0EEEvSP_.num_vgpr, 0
	.set _ZN7rocprim17ROCPRIM_400000_NS6detail17trampoline_kernelINS0_14default_configENS1_32segmented_reduce_config_selectorIdEEZNS1_21segmented_reduce_implIS3_PKdPdPKldN6hipcub16HIPCUB_304000_NS6detail27convert_result_type_wrapperIS8_S9_N2at6native12_GLOBAL__N_19CustomMinEEEEE10hipError_tPvRmT0_T1_jT2_SQ_T4_T3_P12ihipStream_tbEUlT_E_NS1_11comp_targetILNS1_3genE10ELNS1_11target_archE1201ELNS1_3gpuE5ELNS1_3repE0EEENS1_30default_config_static_selectorELNS0_4arch9wavefront6targetE0EEEvSP_.num_agpr, 0
	.set _ZN7rocprim17ROCPRIM_400000_NS6detail17trampoline_kernelINS0_14default_configENS1_32segmented_reduce_config_selectorIdEEZNS1_21segmented_reduce_implIS3_PKdPdPKldN6hipcub16HIPCUB_304000_NS6detail27convert_result_type_wrapperIS8_S9_N2at6native12_GLOBAL__N_19CustomMinEEEEE10hipError_tPvRmT0_T1_jT2_SQ_T4_T3_P12ihipStream_tbEUlT_E_NS1_11comp_targetILNS1_3genE10ELNS1_11target_archE1201ELNS1_3gpuE5ELNS1_3repE0EEENS1_30default_config_static_selectorELNS0_4arch9wavefront6targetE0EEEvSP_.numbered_sgpr, 0
	.set _ZN7rocprim17ROCPRIM_400000_NS6detail17trampoline_kernelINS0_14default_configENS1_32segmented_reduce_config_selectorIdEEZNS1_21segmented_reduce_implIS3_PKdPdPKldN6hipcub16HIPCUB_304000_NS6detail27convert_result_type_wrapperIS8_S9_N2at6native12_GLOBAL__N_19CustomMinEEEEE10hipError_tPvRmT0_T1_jT2_SQ_T4_T3_P12ihipStream_tbEUlT_E_NS1_11comp_targetILNS1_3genE10ELNS1_11target_archE1201ELNS1_3gpuE5ELNS1_3repE0EEENS1_30default_config_static_selectorELNS0_4arch9wavefront6targetE0EEEvSP_.num_named_barrier, 0
	.set _ZN7rocprim17ROCPRIM_400000_NS6detail17trampoline_kernelINS0_14default_configENS1_32segmented_reduce_config_selectorIdEEZNS1_21segmented_reduce_implIS3_PKdPdPKldN6hipcub16HIPCUB_304000_NS6detail27convert_result_type_wrapperIS8_S9_N2at6native12_GLOBAL__N_19CustomMinEEEEE10hipError_tPvRmT0_T1_jT2_SQ_T4_T3_P12ihipStream_tbEUlT_E_NS1_11comp_targetILNS1_3genE10ELNS1_11target_archE1201ELNS1_3gpuE5ELNS1_3repE0EEENS1_30default_config_static_selectorELNS0_4arch9wavefront6targetE0EEEvSP_.private_seg_size, 0
	.set _ZN7rocprim17ROCPRIM_400000_NS6detail17trampoline_kernelINS0_14default_configENS1_32segmented_reduce_config_selectorIdEEZNS1_21segmented_reduce_implIS3_PKdPdPKldN6hipcub16HIPCUB_304000_NS6detail27convert_result_type_wrapperIS8_S9_N2at6native12_GLOBAL__N_19CustomMinEEEEE10hipError_tPvRmT0_T1_jT2_SQ_T4_T3_P12ihipStream_tbEUlT_E_NS1_11comp_targetILNS1_3genE10ELNS1_11target_archE1201ELNS1_3gpuE5ELNS1_3repE0EEENS1_30default_config_static_selectorELNS0_4arch9wavefront6targetE0EEEvSP_.uses_vcc, 0
	.set _ZN7rocprim17ROCPRIM_400000_NS6detail17trampoline_kernelINS0_14default_configENS1_32segmented_reduce_config_selectorIdEEZNS1_21segmented_reduce_implIS3_PKdPdPKldN6hipcub16HIPCUB_304000_NS6detail27convert_result_type_wrapperIS8_S9_N2at6native12_GLOBAL__N_19CustomMinEEEEE10hipError_tPvRmT0_T1_jT2_SQ_T4_T3_P12ihipStream_tbEUlT_E_NS1_11comp_targetILNS1_3genE10ELNS1_11target_archE1201ELNS1_3gpuE5ELNS1_3repE0EEENS1_30default_config_static_selectorELNS0_4arch9wavefront6targetE0EEEvSP_.uses_flat_scratch, 0
	.set _ZN7rocprim17ROCPRIM_400000_NS6detail17trampoline_kernelINS0_14default_configENS1_32segmented_reduce_config_selectorIdEEZNS1_21segmented_reduce_implIS3_PKdPdPKldN6hipcub16HIPCUB_304000_NS6detail27convert_result_type_wrapperIS8_S9_N2at6native12_GLOBAL__N_19CustomMinEEEEE10hipError_tPvRmT0_T1_jT2_SQ_T4_T3_P12ihipStream_tbEUlT_E_NS1_11comp_targetILNS1_3genE10ELNS1_11target_archE1201ELNS1_3gpuE5ELNS1_3repE0EEENS1_30default_config_static_selectorELNS0_4arch9wavefront6targetE0EEEvSP_.has_dyn_sized_stack, 0
	.set _ZN7rocprim17ROCPRIM_400000_NS6detail17trampoline_kernelINS0_14default_configENS1_32segmented_reduce_config_selectorIdEEZNS1_21segmented_reduce_implIS3_PKdPdPKldN6hipcub16HIPCUB_304000_NS6detail27convert_result_type_wrapperIS8_S9_N2at6native12_GLOBAL__N_19CustomMinEEEEE10hipError_tPvRmT0_T1_jT2_SQ_T4_T3_P12ihipStream_tbEUlT_E_NS1_11comp_targetILNS1_3genE10ELNS1_11target_archE1201ELNS1_3gpuE5ELNS1_3repE0EEENS1_30default_config_static_selectorELNS0_4arch9wavefront6targetE0EEEvSP_.has_recursion, 0
	.set _ZN7rocprim17ROCPRIM_400000_NS6detail17trampoline_kernelINS0_14default_configENS1_32segmented_reduce_config_selectorIdEEZNS1_21segmented_reduce_implIS3_PKdPdPKldN6hipcub16HIPCUB_304000_NS6detail27convert_result_type_wrapperIS8_S9_N2at6native12_GLOBAL__N_19CustomMinEEEEE10hipError_tPvRmT0_T1_jT2_SQ_T4_T3_P12ihipStream_tbEUlT_E_NS1_11comp_targetILNS1_3genE10ELNS1_11target_archE1201ELNS1_3gpuE5ELNS1_3repE0EEENS1_30default_config_static_selectorELNS0_4arch9wavefront6targetE0EEEvSP_.has_indirect_call, 0
	.section	.AMDGPU.csdata,"",@progbits
; Kernel info:
; codeLenInByte = 0
; TotalNumSgprs: 0
; NumVgprs: 0
; ScratchSize: 0
; MemoryBound: 0
; FloatMode: 240
; IeeeMode: 1
; LDSByteSize: 0 bytes/workgroup (compile time only)
; SGPRBlocks: 0
; VGPRBlocks: 0
; NumSGPRsForWavesPerEU: 1
; NumVGPRsForWavesPerEU: 1
; NamedBarCnt: 0
; Occupancy: 16
; WaveLimiterHint : 0
; COMPUTE_PGM_RSRC2:SCRATCH_EN: 0
; COMPUTE_PGM_RSRC2:USER_SGPR: 2
; COMPUTE_PGM_RSRC2:TRAP_HANDLER: 0
; COMPUTE_PGM_RSRC2:TGID_X_EN: 1
; COMPUTE_PGM_RSRC2:TGID_Y_EN: 0
; COMPUTE_PGM_RSRC2:TGID_Z_EN: 0
; COMPUTE_PGM_RSRC2:TIDIG_COMP_CNT: 0
	.section	.text._ZN7rocprim17ROCPRIM_400000_NS6detail17trampoline_kernelINS0_14default_configENS1_32segmented_reduce_config_selectorIdEEZNS1_21segmented_reduce_implIS3_PKdPdPKldN6hipcub16HIPCUB_304000_NS6detail27convert_result_type_wrapperIS8_S9_N2at6native12_GLOBAL__N_19CustomMinEEEEE10hipError_tPvRmT0_T1_jT2_SQ_T4_T3_P12ihipStream_tbEUlT_E_NS1_11comp_targetILNS1_3genE4ELNS1_11target_archE910ELNS1_3gpuE8ELNS1_3repE0EEENS1_30default_config_static_selectorELNS0_4arch9wavefront6targetE0EEEvSP_,"axG",@progbits,_ZN7rocprim17ROCPRIM_400000_NS6detail17trampoline_kernelINS0_14default_configENS1_32segmented_reduce_config_selectorIdEEZNS1_21segmented_reduce_implIS3_PKdPdPKldN6hipcub16HIPCUB_304000_NS6detail27convert_result_type_wrapperIS8_S9_N2at6native12_GLOBAL__N_19CustomMinEEEEE10hipError_tPvRmT0_T1_jT2_SQ_T4_T3_P12ihipStream_tbEUlT_E_NS1_11comp_targetILNS1_3genE4ELNS1_11target_archE910ELNS1_3gpuE8ELNS1_3repE0EEENS1_30default_config_static_selectorELNS0_4arch9wavefront6targetE0EEEvSP_,comdat
	.globl	_ZN7rocprim17ROCPRIM_400000_NS6detail17trampoline_kernelINS0_14default_configENS1_32segmented_reduce_config_selectorIdEEZNS1_21segmented_reduce_implIS3_PKdPdPKldN6hipcub16HIPCUB_304000_NS6detail27convert_result_type_wrapperIS8_S9_N2at6native12_GLOBAL__N_19CustomMinEEEEE10hipError_tPvRmT0_T1_jT2_SQ_T4_T3_P12ihipStream_tbEUlT_E_NS1_11comp_targetILNS1_3genE4ELNS1_11target_archE910ELNS1_3gpuE8ELNS1_3repE0EEENS1_30default_config_static_selectorELNS0_4arch9wavefront6targetE0EEEvSP_ ; -- Begin function _ZN7rocprim17ROCPRIM_400000_NS6detail17trampoline_kernelINS0_14default_configENS1_32segmented_reduce_config_selectorIdEEZNS1_21segmented_reduce_implIS3_PKdPdPKldN6hipcub16HIPCUB_304000_NS6detail27convert_result_type_wrapperIS8_S9_N2at6native12_GLOBAL__N_19CustomMinEEEEE10hipError_tPvRmT0_T1_jT2_SQ_T4_T3_P12ihipStream_tbEUlT_E_NS1_11comp_targetILNS1_3genE4ELNS1_11target_archE910ELNS1_3gpuE8ELNS1_3repE0EEENS1_30default_config_static_selectorELNS0_4arch9wavefront6targetE0EEEvSP_
	.p2align	8
	.type	_ZN7rocprim17ROCPRIM_400000_NS6detail17trampoline_kernelINS0_14default_configENS1_32segmented_reduce_config_selectorIdEEZNS1_21segmented_reduce_implIS3_PKdPdPKldN6hipcub16HIPCUB_304000_NS6detail27convert_result_type_wrapperIS8_S9_N2at6native12_GLOBAL__N_19CustomMinEEEEE10hipError_tPvRmT0_T1_jT2_SQ_T4_T3_P12ihipStream_tbEUlT_E_NS1_11comp_targetILNS1_3genE4ELNS1_11target_archE910ELNS1_3gpuE8ELNS1_3repE0EEENS1_30default_config_static_selectorELNS0_4arch9wavefront6targetE0EEEvSP_,@function
_ZN7rocprim17ROCPRIM_400000_NS6detail17trampoline_kernelINS0_14default_configENS1_32segmented_reduce_config_selectorIdEEZNS1_21segmented_reduce_implIS3_PKdPdPKldN6hipcub16HIPCUB_304000_NS6detail27convert_result_type_wrapperIS8_S9_N2at6native12_GLOBAL__N_19CustomMinEEEEE10hipError_tPvRmT0_T1_jT2_SQ_T4_T3_P12ihipStream_tbEUlT_E_NS1_11comp_targetILNS1_3genE4ELNS1_11target_archE910ELNS1_3gpuE8ELNS1_3repE0EEENS1_30default_config_static_selectorELNS0_4arch9wavefront6targetE0EEEvSP_: ; @_ZN7rocprim17ROCPRIM_400000_NS6detail17trampoline_kernelINS0_14default_configENS1_32segmented_reduce_config_selectorIdEEZNS1_21segmented_reduce_implIS3_PKdPdPKldN6hipcub16HIPCUB_304000_NS6detail27convert_result_type_wrapperIS8_S9_N2at6native12_GLOBAL__N_19CustomMinEEEEE10hipError_tPvRmT0_T1_jT2_SQ_T4_T3_P12ihipStream_tbEUlT_E_NS1_11comp_targetILNS1_3genE4ELNS1_11target_archE910ELNS1_3gpuE8ELNS1_3repE0EEENS1_30default_config_static_selectorELNS0_4arch9wavefront6targetE0EEEvSP_
; %bb.0:
	.section	.rodata,"a",@progbits
	.p2align	6, 0x0
	.amdhsa_kernel _ZN7rocprim17ROCPRIM_400000_NS6detail17trampoline_kernelINS0_14default_configENS1_32segmented_reduce_config_selectorIdEEZNS1_21segmented_reduce_implIS3_PKdPdPKldN6hipcub16HIPCUB_304000_NS6detail27convert_result_type_wrapperIS8_S9_N2at6native12_GLOBAL__N_19CustomMinEEEEE10hipError_tPvRmT0_T1_jT2_SQ_T4_T3_P12ihipStream_tbEUlT_E_NS1_11comp_targetILNS1_3genE4ELNS1_11target_archE910ELNS1_3gpuE8ELNS1_3repE0EEENS1_30default_config_static_selectorELNS0_4arch9wavefront6targetE0EEEvSP_
		.amdhsa_group_segment_fixed_size 0
		.amdhsa_private_segment_fixed_size 0
		.amdhsa_kernarg_size 56
		.amdhsa_user_sgpr_count 2
		.amdhsa_user_sgpr_dispatch_ptr 0
		.amdhsa_user_sgpr_queue_ptr 0
		.amdhsa_user_sgpr_kernarg_segment_ptr 1
		.amdhsa_user_sgpr_dispatch_id 0
		.amdhsa_user_sgpr_kernarg_preload_length 0
		.amdhsa_user_sgpr_kernarg_preload_offset 0
		.amdhsa_user_sgpr_private_segment_size 0
		.amdhsa_wavefront_size32 1
		.amdhsa_uses_dynamic_stack 0
		.amdhsa_enable_private_segment 0
		.amdhsa_system_sgpr_workgroup_id_x 1
		.amdhsa_system_sgpr_workgroup_id_y 0
		.amdhsa_system_sgpr_workgroup_id_z 0
		.amdhsa_system_sgpr_workgroup_info 0
		.amdhsa_system_vgpr_workitem_id 0
		.amdhsa_next_free_vgpr 1
		.amdhsa_next_free_sgpr 1
		.amdhsa_named_barrier_count 0
		.amdhsa_reserve_vcc 0
		.amdhsa_float_round_mode_32 0
		.amdhsa_float_round_mode_16_64 0
		.amdhsa_float_denorm_mode_32 3
		.amdhsa_float_denorm_mode_16_64 3
		.amdhsa_fp16_overflow 0
		.amdhsa_memory_ordered 1
		.amdhsa_forward_progress 1
		.amdhsa_inst_pref_size 0
		.amdhsa_round_robin_scheduling 0
		.amdhsa_exception_fp_ieee_invalid_op 0
		.amdhsa_exception_fp_denorm_src 0
		.amdhsa_exception_fp_ieee_div_zero 0
		.amdhsa_exception_fp_ieee_overflow 0
		.amdhsa_exception_fp_ieee_underflow 0
		.amdhsa_exception_fp_ieee_inexact 0
		.amdhsa_exception_int_div_zero 0
	.end_amdhsa_kernel
	.section	.text._ZN7rocprim17ROCPRIM_400000_NS6detail17trampoline_kernelINS0_14default_configENS1_32segmented_reduce_config_selectorIdEEZNS1_21segmented_reduce_implIS3_PKdPdPKldN6hipcub16HIPCUB_304000_NS6detail27convert_result_type_wrapperIS8_S9_N2at6native12_GLOBAL__N_19CustomMinEEEEE10hipError_tPvRmT0_T1_jT2_SQ_T4_T3_P12ihipStream_tbEUlT_E_NS1_11comp_targetILNS1_3genE4ELNS1_11target_archE910ELNS1_3gpuE8ELNS1_3repE0EEENS1_30default_config_static_selectorELNS0_4arch9wavefront6targetE0EEEvSP_,"axG",@progbits,_ZN7rocprim17ROCPRIM_400000_NS6detail17trampoline_kernelINS0_14default_configENS1_32segmented_reduce_config_selectorIdEEZNS1_21segmented_reduce_implIS3_PKdPdPKldN6hipcub16HIPCUB_304000_NS6detail27convert_result_type_wrapperIS8_S9_N2at6native12_GLOBAL__N_19CustomMinEEEEE10hipError_tPvRmT0_T1_jT2_SQ_T4_T3_P12ihipStream_tbEUlT_E_NS1_11comp_targetILNS1_3genE4ELNS1_11target_archE910ELNS1_3gpuE8ELNS1_3repE0EEENS1_30default_config_static_selectorELNS0_4arch9wavefront6targetE0EEEvSP_,comdat
.Lfunc_end165:
	.size	_ZN7rocprim17ROCPRIM_400000_NS6detail17trampoline_kernelINS0_14default_configENS1_32segmented_reduce_config_selectorIdEEZNS1_21segmented_reduce_implIS3_PKdPdPKldN6hipcub16HIPCUB_304000_NS6detail27convert_result_type_wrapperIS8_S9_N2at6native12_GLOBAL__N_19CustomMinEEEEE10hipError_tPvRmT0_T1_jT2_SQ_T4_T3_P12ihipStream_tbEUlT_E_NS1_11comp_targetILNS1_3genE4ELNS1_11target_archE910ELNS1_3gpuE8ELNS1_3repE0EEENS1_30default_config_static_selectorELNS0_4arch9wavefront6targetE0EEEvSP_, .Lfunc_end165-_ZN7rocprim17ROCPRIM_400000_NS6detail17trampoline_kernelINS0_14default_configENS1_32segmented_reduce_config_selectorIdEEZNS1_21segmented_reduce_implIS3_PKdPdPKldN6hipcub16HIPCUB_304000_NS6detail27convert_result_type_wrapperIS8_S9_N2at6native12_GLOBAL__N_19CustomMinEEEEE10hipError_tPvRmT0_T1_jT2_SQ_T4_T3_P12ihipStream_tbEUlT_E_NS1_11comp_targetILNS1_3genE4ELNS1_11target_archE910ELNS1_3gpuE8ELNS1_3repE0EEENS1_30default_config_static_selectorELNS0_4arch9wavefront6targetE0EEEvSP_
                                        ; -- End function
	.set _ZN7rocprim17ROCPRIM_400000_NS6detail17trampoline_kernelINS0_14default_configENS1_32segmented_reduce_config_selectorIdEEZNS1_21segmented_reduce_implIS3_PKdPdPKldN6hipcub16HIPCUB_304000_NS6detail27convert_result_type_wrapperIS8_S9_N2at6native12_GLOBAL__N_19CustomMinEEEEE10hipError_tPvRmT0_T1_jT2_SQ_T4_T3_P12ihipStream_tbEUlT_E_NS1_11comp_targetILNS1_3genE4ELNS1_11target_archE910ELNS1_3gpuE8ELNS1_3repE0EEENS1_30default_config_static_selectorELNS0_4arch9wavefront6targetE0EEEvSP_.num_vgpr, 0
	.set _ZN7rocprim17ROCPRIM_400000_NS6detail17trampoline_kernelINS0_14default_configENS1_32segmented_reduce_config_selectorIdEEZNS1_21segmented_reduce_implIS3_PKdPdPKldN6hipcub16HIPCUB_304000_NS6detail27convert_result_type_wrapperIS8_S9_N2at6native12_GLOBAL__N_19CustomMinEEEEE10hipError_tPvRmT0_T1_jT2_SQ_T4_T3_P12ihipStream_tbEUlT_E_NS1_11comp_targetILNS1_3genE4ELNS1_11target_archE910ELNS1_3gpuE8ELNS1_3repE0EEENS1_30default_config_static_selectorELNS0_4arch9wavefront6targetE0EEEvSP_.num_agpr, 0
	.set _ZN7rocprim17ROCPRIM_400000_NS6detail17trampoline_kernelINS0_14default_configENS1_32segmented_reduce_config_selectorIdEEZNS1_21segmented_reduce_implIS3_PKdPdPKldN6hipcub16HIPCUB_304000_NS6detail27convert_result_type_wrapperIS8_S9_N2at6native12_GLOBAL__N_19CustomMinEEEEE10hipError_tPvRmT0_T1_jT2_SQ_T4_T3_P12ihipStream_tbEUlT_E_NS1_11comp_targetILNS1_3genE4ELNS1_11target_archE910ELNS1_3gpuE8ELNS1_3repE0EEENS1_30default_config_static_selectorELNS0_4arch9wavefront6targetE0EEEvSP_.numbered_sgpr, 0
	.set _ZN7rocprim17ROCPRIM_400000_NS6detail17trampoline_kernelINS0_14default_configENS1_32segmented_reduce_config_selectorIdEEZNS1_21segmented_reduce_implIS3_PKdPdPKldN6hipcub16HIPCUB_304000_NS6detail27convert_result_type_wrapperIS8_S9_N2at6native12_GLOBAL__N_19CustomMinEEEEE10hipError_tPvRmT0_T1_jT2_SQ_T4_T3_P12ihipStream_tbEUlT_E_NS1_11comp_targetILNS1_3genE4ELNS1_11target_archE910ELNS1_3gpuE8ELNS1_3repE0EEENS1_30default_config_static_selectorELNS0_4arch9wavefront6targetE0EEEvSP_.num_named_barrier, 0
	.set _ZN7rocprim17ROCPRIM_400000_NS6detail17trampoline_kernelINS0_14default_configENS1_32segmented_reduce_config_selectorIdEEZNS1_21segmented_reduce_implIS3_PKdPdPKldN6hipcub16HIPCUB_304000_NS6detail27convert_result_type_wrapperIS8_S9_N2at6native12_GLOBAL__N_19CustomMinEEEEE10hipError_tPvRmT0_T1_jT2_SQ_T4_T3_P12ihipStream_tbEUlT_E_NS1_11comp_targetILNS1_3genE4ELNS1_11target_archE910ELNS1_3gpuE8ELNS1_3repE0EEENS1_30default_config_static_selectorELNS0_4arch9wavefront6targetE0EEEvSP_.private_seg_size, 0
	.set _ZN7rocprim17ROCPRIM_400000_NS6detail17trampoline_kernelINS0_14default_configENS1_32segmented_reduce_config_selectorIdEEZNS1_21segmented_reduce_implIS3_PKdPdPKldN6hipcub16HIPCUB_304000_NS6detail27convert_result_type_wrapperIS8_S9_N2at6native12_GLOBAL__N_19CustomMinEEEEE10hipError_tPvRmT0_T1_jT2_SQ_T4_T3_P12ihipStream_tbEUlT_E_NS1_11comp_targetILNS1_3genE4ELNS1_11target_archE910ELNS1_3gpuE8ELNS1_3repE0EEENS1_30default_config_static_selectorELNS0_4arch9wavefront6targetE0EEEvSP_.uses_vcc, 0
	.set _ZN7rocprim17ROCPRIM_400000_NS6detail17trampoline_kernelINS0_14default_configENS1_32segmented_reduce_config_selectorIdEEZNS1_21segmented_reduce_implIS3_PKdPdPKldN6hipcub16HIPCUB_304000_NS6detail27convert_result_type_wrapperIS8_S9_N2at6native12_GLOBAL__N_19CustomMinEEEEE10hipError_tPvRmT0_T1_jT2_SQ_T4_T3_P12ihipStream_tbEUlT_E_NS1_11comp_targetILNS1_3genE4ELNS1_11target_archE910ELNS1_3gpuE8ELNS1_3repE0EEENS1_30default_config_static_selectorELNS0_4arch9wavefront6targetE0EEEvSP_.uses_flat_scratch, 0
	.set _ZN7rocprim17ROCPRIM_400000_NS6detail17trampoline_kernelINS0_14default_configENS1_32segmented_reduce_config_selectorIdEEZNS1_21segmented_reduce_implIS3_PKdPdPKldN6hipcub16HIPCUB_304000_NS6detail27convert_result_type_wrapperIS8_S9_N2at6native12_GLOBAL__N_19CustomMinEEEEE10hipError_tPvRmT0_T1_jT2_SQ_T4_T3_P12ihipStream_tbEUlT_E_NS1_11comp_targetILNS1_3genE4ELNS1_11target_archE910ELNS1_3gpuE8ELNS1_3repE0EEENS1_30default_config_static_selectorELNS0_4arch9wavefront6targetE0EEEvSP_.has_dyn_sized_stack, 0
	.set _ZN7rocprim17ROCPRIM_400000_NS6detail17trampoline_kernelINS0_14default_configENS1_32segmented_reduce_config_selectorIdEEZNS1_21segmented_reduce_implIS3_PKdPdPKldN6hipcub16HIPCUB_304000_NS6detail27convert_result_type_wrapperIS8_S9_N2at6native12_GLOBAL__N_19CustomMinEEEEE10hipError_tPvRmT0_T1_jT2_SQ_T4_T3_P12ihipStream_tbEUlT_E_NS1_11comp_targetILNS1_3genE4ELNS1_11target_archE910ELNS1_3gpuE8ELNS1_3repE0EEENS1_30default_config_static_selectorELNS0_4arch9wavefront6targetE0EEEvSP_.has_recursion, 0
	.set _ZN7rocprim17ROCPRIM_400000_NS6detail17trampoline_kernelINS0_14default_configENS1_32segmented_reduce_config_selectorIdEEZNS1_21segmented_reduce_implIS3_PKdPdPKldN6hipcub16HIPCUB_304000_NS6detail27convert_result_type_wrapperIS8_S9_N2at6native12_GLOBAL__N_19CustomMinEEEEE10hipError_tPvRmT0_T1_jT2_SQ_T4_T3_P12ihipStream_tbEUlT_E_NS1_11comp_targetILNS1_3genE4ELNS1_11target_archE910ELNS1_3gpuE8ELNS1_3repE0EEENS1_30default_config_static_selectorELNS0_4arch9wavefront6targetE0EEEvSP_.has_indirect_call, 0
	.section	.AMDGPU.csdata,"",@progbits
; Kernel info:
; codeLenInByte = 0
; TotalNumSgprs: 0
; NumVgprs: 0
; ScratchSize: 0
; MemoryBound: 0
; FloatMode: 240
; IeeeMode: 1
; LDSByteSize: 0 bytes/workgroup (compile time only)
; SGPRBlocks: 0
; VGPRBlocks: 0
; NumSGPRsForWavesPerEU: 1
; NumVGPRsForWavesPerEU: 1
; NamedBarCnt: 0
; Occupancy: 16
; WaveLimiterHint : 0
; COMPUTE_PGM_RSRC2:SCRATCH_EN: 0
; COMPUTE_PGM_RSRC2:USER_SGPR: 2
; COMPUTE_PGM_RSRC2:TRAP_HANDLER: 0
; COMPUTE_PGM_RSRC2:TGID_X_EN: 1
; COMPUTE_PGM_RSRC2:TGID_Y_EN: 0
; COMPUTE_PGM_RSRC2:TGID_Z_EN: 0
; COMPUTE_PGM_RSRC2:TIDIG_COMP_CNT: 0
	.section	.text._ZN7rocprim17ROCPRIM_400000_NS6detail17trampoline_kernelINS0_14default_configENS1_32segmented_reduce_config_selectorIdEEZNS1_21segmented_reduce_implIS3_PKdPdPKldN6hipcub16HIPCUB_304000_NS6detail27convert_result_type_wrapperIS8_S9_N2at6native12_GLOBAL__N_19CustomMinEEEEE10hipError_tPvRmT0_T1_jT2_SQ_T4_T3_P12ihipStream_tbEUlT_E_NS1_11comp_targetILNS1_3genE3ELNS1_11target_archE908ELNS1_3gpuE7ELNS1_3repE0EEENS1_30default_config_static_selectorELNS0_4arch9wavefront6targetE0EEEvSP_,"axG",@progbits,_ZN7rocprim17ROCPRIM_400000_NS6detail17trampoline_kernelINS0_14default_configENS1_32segmented_reduce_config_selectorIdEEZNS1_21segmented_reduce_implIS3_PKdPdPKldN6hipcub16HIPCUB_304000_NS6detail27convert_result_type_wrapperIS8_S9_N2at6native12_GLOBAL__N_19CustomMinEEEEE10hipError_tPvRmT0_T1_jT2_SQ_T4_T3_P12ihipStream_tbEUlT_E_NS1_11comp_targetILNS1_3genE3ELNS1_11target_archE908ELNS1_3gpuE7ELNS1_3repE0EEENS1_30default_config_static_selectorELNS0_4arch9wavefront6targetE0EEEvSP_,comdat
	.globl	_ZN7rocprim17ROCPRIM_400000_NS6detail17trampoline_kernelINS0_14default_configENS1_32segmented_reduce_config_selectorIdEEZNS1_21segmented_reduce_implIS3_PKdPdPKldN6hipcub16HIPCUB_304000_NS6detail27convert_result_type_wrapperIS8_S9_N2at6native12_GLOBAL__N_19CustomMinEEEEE10hipError_tPvRmT0_T1_jT2_SQ_T4_T3_P12ihipStream_tbEUlT_E_NS1_11comp_targetILNS1_3genE3ELNS1_11target_archE908ELNS1_3gpuE7ELNS1_3repE0EEENS1_30default_config_static_selectorELNS0_4arch9wavefront6targetE0EEEvSP_ ; -- Begin function _ZN7rocprim17ROCPRIM_400000_NS6detail17trampoline_kernelINS0_14default_configENS1_32segmented_reduce_config_selectorIdEEZNS1_21segmented_reduce_implIS3_PKdPdPKldN6hipcub16HIPCUB_304000_NS6detail27convert_result_type_wrapperIS8_S9_N2at6native12_GLOBAL__N_19CustomMinEEEEE10hipError_tPvRmT0_T1_jT2_SQ_T4_T3_P12ihipStream_tbEUlT_E_NS1_11comp_targetILNS1_3genE3ELNS1_11target_archE908ELNS1_3gpuE7ELNS1_3repE0EEENS1_30default_config_static_selectorELNS0_4arch9wavefront6targetE0EEEvSP_
	.p2align	8
	.type	_ZN7rocprim17ROCPRIM_400000_NS6detail17trampoline_kernelINS0_14default_configENS1_32segmented_reduce_config_selectorIdEEZNS1_21segmented_reduce_implIS3_PKdPdPKldN6hipcub16HIPCUB_304000_NS6detail27convert_result_type_wrapperIS8_S9_N2at6native12_GLOBAL__N_19CustomMinEEEEE10hipError_tPvRmT0_T1_jT2_SQ_T4_T3_P12ihipStream_tbEUlT_E_NS1_11comp_targetILNS1_3genE3ELNS1_11target_archE908ELNS1_3gpuE7ELNS1_3repE0EEENS1_30default_config_static_selectorELNS0_4arch9wavefront6targetE0EEEvSP_,@function
_ZN7rocprim17ROCPRIM_400000_NS6detail17trampoline_kernelINS0_14default_configENS1_32segmented_reduce_config_selectorIdEEZNS1_21segmented_reduce_implIS3_PKdPdPKldN6hipcub16HIPCUB_304000_NS6detail27convert_result_type_wrapperIS8_S9_N2at6native12_GLOBAL__N_19CustomMinEEEEE10hipError_tPvRmT0_T1_jT2_SQ_T4_T3_P12ihipStream_tbEUlT_E_NS1_11comp_targetILNS1_3genE3ELNS1_11target_archE908ELNS1_3gpuE7ELNS1_3repE0EEENS1_30default_config_static_selectorELNS0_4arch9wavefront6targetE0EEEvSP_: ; @_ZN7rocprim17ROCPRIM_400000_NS6detail17trampoline_kernelINS0_14default_configENS1_32segmented_reduce_config_selectorIdEEZNS1_21segmented_reduce_implIS3_PKdPdPKldN6hipcub16HIPCUB_304000_NS6detail27convert_result_type_wrapperIS8_S9_N2at6native12_GLOBAL__N_19CustomMinEEEEE10hipError_tPvRmT0_T1_jT2_SQ_T4_T3_P12ihipStream_tbEUlT_E_NS1_11comp_targetILNS1_3genE3ELNS1_11target_archE908ELNS1_3gpuE7ELNS1_3repE0EEENS1_30default_config_static_selectorELNS0_4arch9wavefront6targetE0EEEvSP_
; %bb.0:
	.section	.rodata,"a",@progbits
	.p2align	6, 0x0
	.amdhsa_kernel _ZN7rocprim17ROCPRIM_400000_NS6detail17trampoline_kernelINS0_14default_configENS1_32segmented_reduce_config_selectorIdEEZNS1_21segmented_reduce_implIS3_PKdPdPKldN6hipcub16HIPCUB_304000_NS6detail27convert_result_type_wrapperIS8_S9_N2at6native12_GLOBAL__N_19CustomMinEEEEE10hipError_tPvRmT0_T1_jT2_SQ_T4_T3_P12ihipStream_tbEUlT_E_NS1_11comp_targetILNS1_3genE3ELNS1_11target_archE908ELNS1_3gpuE7ELNS1_3repE0EEENS1_30default_config_static_selectorELNS0_4arch9wavefront6targetE0EEEvSP_
		.amdhsa_group_segment_fixed_size 0
		.amdhsa_private_segment_fixed_size 0
		.amdhsa_kernarg_size 56
		.amdhsa_user_sgpr_count 2
		.amdhsa_user_sgpr_dispatch_ptr 0
		.amdhsa_user_sgpr_queue_ptr 0
		.amdhsa_user_sgpr_kernarg_segment_ptr 1
		.amdhsa_user_sgpr_dispatch_id 0
		.amdhsa_user_sgpr_kernarg_preload_length 0
		.amdhsa_user_sgpr_kernarg_preload_offset 0
		.amdhsa_user_sgpr_private_segment_size 0
		.amdhsa_wavefront_size32 1
		.amdhsa_uses_dynamic_stack 0
		.amdhsa_enable_private_segment 0
		.amdhsa_system_sgpr_workgroup_id_x 1
		.amdhsa_system_sgpr_workgroup_id_y 0
		.amdhsa_system_sgpr_workgroup_id_z 0
		.amdhsa_system_sgpr_workgroup_info 0
		.amdhsa_system_vgpr_workitem_id 0
		.amdhsa_next_free_vgpr 1
		.amdhsa_next_free_sgpr 1
		.amdhsa_named_barrier_count 0
		.amdhsa_reserve_vcc 0
		.amdhsa_float_round_mode_32 0
		.amdhsa_float_round_mode_16_64 0
		.amdhsa_float_denorm_mode_32 3
		.amdhsa_float_denorm_mode_16_64 3
		.amdhsa_fp16_overflow 0
		.amdhsa_memory_ordered 1
		.amdhsa_forward_progress 1
		.amdhsa_inst_pref_size 0
		.amdhsa_round_robin_scheduling 0
		.amdhsa_exception_fp_ieee_invalid_op 0
		.amdhsa_exception_fp_denorm_src 0
		.amdhsa_exception_fp_ieee_div_zero 0
		.amdhsa_exception_fp_ieee_overflow 0
		.amdhsa_exception_fp_ieee_underflow 0
		.amdhsa_exception_fp_ieee_inexact 0
		.amdhsa_exception_int_div_zero 0
	.end_amdhsa_kernel
	.section	.text._ZN7rocprim17ROCPRIM_400000_NS6detail17trampoline_kernelINS0_14default_configENS1_32segmented_reduce_config_selectorIdEEZNS1_21segmented_reduce_implIS3_PKdPdPKldN6hipcub16HIPCUB_304000_NS6detail27convert_result_type_wrapperIS8_S9_N2at6native12_GLOBAL__N_19CustomMinEEEEE10hipError_tPvRmT0_T1_jT2_SQ_T4_T3_P12ihipStream_tbEUlT_E_NS1_11comp_targetILNS1_3genE3ELNS1_11target_archE908ELNS1_3gpuE7ELNS1_3repE0EEENS1_30default_config_static_selectorELNS0_4arch9wavefront6targetE0EEEvSP_,"axG",@progbits,_ZN7rocprim17ROCPRIM_400000_NS6detail17trampoline_kernelINS0_14default_configENS1_32segmented_reduce_config_selectorIdEEZNS1_21segmented_reduce_implIS3_PKdPdPKldN6hipcub16HIPCUB_304000_NS6detail27convert_result_type_wrapperIS8_S9_N2at6native12_GLOBAL__N_19CustomMinEEEEE10hipError_tPvRmT0_T1_jT2_SQ_T4_T3_P12ihipStream_tbEUlT_E_NS1_11comp_targetILNS1_3genE3ELNS1_11target_archE908ELNS1_3gpuE7ELNS1_3repE0EEENS1_30default_config_static_selectorELNS0_4arch9wavefront6targetE0EEEvSP_,comdat
.Lfunc_end166:
	.size	_ZN7rocprim17ROCPRIM_400000_NS6detail17trampoline_kernelINS0_14default_configENS1_32segmented_reduce_config_selectorIdEEZNS1_21segmented_reduce_implIS3_PKdPdPKldN6hipcub16HIPCUB_304000_NS6detail27convert_result_type_wrapperIS8_S9_N2at6native12_GLOBAL__N_19CustomMinEEEEE10hipError_tPvRmT0_T1_jT2_SQ_T4_T3_P12ihipStream_tbEUlT_E_NS1_11comp_targetILNS1_3genE3ELNS1_11target_archE908ELNS1_3gpuE7ELNS1_3repE0EEENS1_30default_config_static_selectorELNS0_4arch9wavefront6targetE0EEEvSP_, .Lfunc_end166-_ZN7rocprim17ROCPRIM_400000_NS6detail17trampoline_kernelINS0_14default_configENS1_32segmented_reduce_config_selectorIdEEZNS1_21segmented_reduce_implIS3_PKdPdPKldN6hipcub16HIPCUB_304000_NS6detail27convert_result_type_wrapperIS8_S9_N2at6native12_GLOBAL__N_19CustomMinEEEEE10hipError_tPvRmT0_T1_jT2_SQ_T4_T3_P12ihipStream_tbEUlT_E_NS1_11comp_targetILNS1_3genE3ELNS1_11target_archE908ELNS1_3gpuE7ELNS1_3repE0EEENS1_30default_config_static_selectorELNS0_4arch9wavefront6targetE0EEEvSP_
                                        ; -- End function
	.set _ZN7rocprim17ROCPRIM_400000_NS6detail17trampoline_kernelINS0_14default_configENS1_32segmented_reduce_config_selectorIdEEZNS1_21segmented_reduce_implIS3_PKdPdPKldN6hipcub16HIPCUB_304000_NS6detail27convert_result_type_wrapperIS8_S9_N2at6native12_GLOBAL__N_19CustomMinEEEEE10hipError_tPvRmT0_T1_jT2_SQ_T4_T3_P12ihipStream_tbEUlT_E_NS1_11comp_targetILNS1_3genE3ELNS1_11target_archE908ELNS1_3gpuE7ELNS1_3repE0EEENS1_30default_config_static_selectorELNS0_4arch9wavefront6targetE0EEEvSP_.num_vgpr, 0
	.set _ZN7rocprim17ROCPRIM_400000_NS6detail17trampoline_kernelINS0_14default_configENS1_32segmented_reduce_config_selectorIdEEZNS1_21segmented_reduce_implIS3_PKdPdPKldN6hipcub16HIPCUB_304000_NS6detail27convert_result_type_wrapperIS8_S9_N2at6native12_GLOBAL__N_19CustomMinEEEEE10hipError_tPvRmT0_T1_jT2_SQ_T4_T3_P12ihipStream_tbEUlT_E_NS1_11comp_targetILNS1_3genE3ELNS1_11target_archE908ELNS1_3gpuE7ELNS1_3repE0EEENS1_30default_config_static_selectorELNS0_4arch9wavefront6targetE0EEEvSP_.num_agpr, 0
	.set _ZN7rocprim17ROCPRIM_400000_NS6detail17trampoline_kernelINS0_14default_configENS1_32segmented_reduce_config_selectorIdEEZNS1_21segmented_reduce_implIS3_PKdPdPKldN6hipcub16HIPCUB_304000_NS6detail27convert_result_type_wrapperIS8_S9_N2at6native12_GLOBAL__N_19CustomMinEEEEE10hipError_tPvRmT0_T1_jT2_SQ_T4_T3_P12ihipStream_tbEUlT_E_NS1_11comp_targetILNS1_3genE3ELNS1_11target_archE908ELNS1_3gpuE7ELNS1_3repE0EEENS1_30default_config_static_selectorELNS0_4arch9wavefront6targetE0EEEvSP_.numbered_sgpr, 0
	.set _ZN7rocprim17ROCPRIM_400000_NS6detail17trampoline_kernelINS0_14default_configENS1_32segmented_reduce_config_selectorIdEEZNS1_21segmented_reduce_implIS3_PKdPdPKldN6hipcub16HIPCUB_304000_NS6detail27convert_result_type_wrapperIS8_S9_N2at6native12_GLOBAL__N_19CustomMinEEEEE10hipError_tPvRmT0_T1_jT2_SQ_T4_T3_P12ihipStream_tbEUlT_E_NS1_11comp_targetILNS1_3genE3ELNS1_11target_archE908ELNS1_3gpuE7ELNS1_3repE0EEENS1_30default_config_static_selectorELNS0_4arch9wavefront6targetE0EEEvSP_.num_named_barrier, 0
	.set _ZN7rocprim17ROCPRIM_400000_NS6detail17trampoline_kernelINS0_14default_configENS1_32segmented_reduce_config_selectorIdEEZNS1_21segmented_reduce_implIS3_PKdPdPKldN6hipcub16HIPCUB_304000_NS6detail27convert_result_type_wrapperIS8_S9_N2at6native12_GLOBAL__N_19CustomMinEEEEE10hipError_tPvRmT0_T1_jT2_SQ_T4_T3_P12ihipStream_tbEUlT_E_NS1_11comp_targetILNS1_3genE3ELNS1_11target_archE908ELNS1_3gpuE7ELNS1_3repE0EEENS1_30default_config_static_selectorELNS0_4arch9wavefront6targetE0EEEvSP_.private_seg_size, 0
	.set _ZN7rocprim17ROCPRIM_400000_NS6detail17trampoline_kernelINS0_14default_configENS1_32segmented_reduce_config_selectorIdEEZNS1_21segmented_reduce_implIS3_PKdPdPKldN6hipcub16HIPCUB_304000_NS6detail27convert_result_type_wrapperIS8_S9_N2at6native12_GLOBAL__N_19CustomMinEEEEE10hipError_tPvRmT0_T1_jT2_SQ_T4_T3_P12ihipStream_tbEUlT_E_NS1_11comp_targetILNS1_3genE3ELNS1_11target_archE908ELNS1_3gpuE7ELNS1_3repE0EEENS1_30default_config_static_selectorELNS0_4arch9wavefront6targetE0EEEvSP_.uses_vcc, 0
	.set _ZN7rocprim17ROCPRIM_400000_NS6detail17trampoline_kernelINS0_14default_configENS1_32segmented_reduce_config_selectorIdEEZNS1_21segmented_reduce_implIS3_PKdPdPKldN6hipcub16HIPCUB_304000_NS6detail27convert_result_type_wrapperIS8_S9_N2at6native12_GLOBAL__N_19CustomMinEEEEE10hipError_tPvRmT0_T1_jT2_SQ_T4_T3_P12ihipStream_tbEUlT_E_NS1_11comp_targetILNS1_3genE3ELNS1_11target_archE908ELNS1_3gpuE7ELNS1_3repE0EEENS1_30default_config_static_selectorELNS0_4arch9wavefront6targetE0EEEvSP_.uses_flat_scratch, 0
	.set _ZN7rocprim17ROCPRIM_400000_NS6detail17trampoline_kernelINS0_14default_configENS1_32segmented_reduce_config_selectorIdEEZNS1_21segmented_reduce_implIS3_PKdPdPKldN6hipcub16HIPCUB_304000_NS6detail27convert_result_type_wrapperIS8_S9_N2at6native12_GLOBAL__N_19CustomMinEEEEE10hipError_tPvRmT0_T1_jT2_SQ_T4_T3_P12ihipStream_tbEUlT_E_NS1_11comp_targetILNS1_3genE3ELNS1_11target_archE908ELNS1_3gpuE7ELNS1_3repE0EEENS1_30default_config_static_selectorELNS0_4arch9wavefront6targetE0EEEvSP_.has_dyn_sized_stack, 0
	.set _ZN7rocprim17ROCPRIM_400000_NS6detail17trampoline_kernelINS0_14default_configENS1_32segmented_reduce_config_selectorIdEEZNS1_21segmented_reduce_implIS3_PKdPdPKldN6hipcub16HIPCUB_304000_NS6detail27convert_result_type_wrapperIS8_S9_N2at6native12_GLOBAL__N_19CustomMinEEEEE10hipError_tPvRmT0_T1_jT2_SQ_T4_T3_P12ihipStream_tbEUlT_E_NS1_11comp_targetILNS1_3genE3ELNS1_11target_archE908ELNS1_3gpuE7ELNS1_3repE0EEENS1_30default_config_static_selectorELNS0_4arch9wavefront6targetE0EEEvSP_.has_recursion, 0
	.set _ZN7rocprim17ROCPRIM_400000_NS6detail17trampoline_kernelINS0_14default_configENS1_32segmented_reduce_config_selectorIdEEZNS1_21segmented_reduce_implIS3_PKdPdPKldN6hipcub16HIPCUB_304000_NS6detail27convert_result_type_wrapperIS8_S9_N2at6native12_GLOBAL__N_19CustomMinEEEEE10hipError_tPvRmT0_T1_jT2_SQ_T4_T3_P12ihipStream_tbEUlT_E_NS1_11comp_targetILNS1_3genE3ELNS1_11target_archE908ELNS1_3gpuE7ELNS1_3repE0EEENS1_30default_config_static_selectorELNS0_4arch9wavefront6targetE0EEEvSP_.has_indirect_call, 0
	.section	.AMDGPU.csdata,"",@progbits
; Kernel info:
; codeLenInByte = 0
; TotalNumSgprs: 0
; NumVgprs: 0
; ScratchSize: 0
; MemoryBound: 0
; FloatMode: 240
; IeeeMode: 1
; LDSByteSize: 0 bytes/workgroup (compile time only)
; SGPRBlocks: 0
; VGPRBlocks: 0
; NumSGPRsForWavesPerEU: 1
; NumVGPRsForWavesPerEU: 1
; NamedBarCnt: 0
; Occupancy: 16
; WaveLimiterHint : 0
; COMPUTE_PGM_RSRC2:SCRATCH_EN: 0
; COMPUTE_PGM_RSRC2:USER_SGPR: 2
; COMPUTE_PGM_RSRC2:TRAP_HANDLER: 0
; COMPUTE_PGM_RSRC2:TGID_X_EN: 1
; COMPUTE_PGM_RSRC2:TGID_Y_EN: 0
; COMPUTE_PGM_RSRC2:TGID_Z_EN: 0
; COMPUTE_PGM_RSRC2:TIDIG_COMP_CNT: 0
	.section	.text._ZN7rocprim17ROCPRIM_400000_NS6detail17trampoline_kernelINS0_14default_configENS1_32segmented_reduce_config_selectorIdEEZNS1_21segmented_reduce_implIS3_PKdPdPKldN6hipcub16HIPCUB_304000_NS6detail27convert_result_type_wrapperIS8_S9_N2at6native12_GLOBAL__N_19CustomMinEEEEE10hipError_tPvRmT0_T1_jT2_SQ_T4_T3_P12ihipStream_tbEUlT_E_NS1_11comp_targetILNS1_3genE2ELNS1_11target_archE906ELNS1_3gpuE6ELNS1_3repE0EEENS1_30default_config_static_selectorELNS0_4arch9wavefront6targetE0EEEvSP_,"axG",@progbits,_ZN7rocprim17ROCPRIM_400000_NS6detail17trampoline_kernelINS0_14default_configENS1_32segmented_reduce_config_selectorIdEEZNS1_21segmented_reduce_implIS3_PKdPdPKldN6hipcub16HIPCUB_304000_NS6detail27convert_result_type_wrapperIS8_S9_N2at6native12_GLOBAL__N_19CustomMinEEEEE10hipError_tPvRmT0_T1_jT2_SQ_T4_T3_P12ihipStream_tbEUlT_E_NS1_11comp_targetILNS1_3genE2ELNS1_11target_archE906ELNS1_3gpuE6ELNS1_3repE0EEENS1_30default_config_static_selectorELNS0_4arch9wavefront6targetE0EEEvSP_,comdat
	.globl	_ZN7rocprim17ROCPRIM_400000_NS6detail17trampoline_kernelINS0_14default_configENS1_32segmented_reduce_config_selectorIdEEZNS1_21segmented_reduce_implIS3_PKdPdPKldN6hipcub16HIPCUB_304000_NS6detail27convert_result_type_wrapperIS8_S9_N2at6native12_GLOBAL__N_19CustomMinEEEEE10hipError_tPvRmT0_T1_jT2_SQ_T4_T3_P12ihipStream_tbEUlT_E_NS1_11comp_targetILNS1_3genE2ELNS1_11target_archE906ELNS1_3gpuE6ELNS1_3repE0EEENS1_30default_config_static_selectorELNS0_4arch9wavefront6targetE0EEEvSP_ ; -- Begin function _ZN7rocprim17ROCPRIM_400000_NS6detail17trampoline_kernelINS0_14default_configENS1_32segmented_reduce_config_selectorIdEEZNS1_21segmented_reduce_implIS3_PKdPdPKldN6hipcub16HIPCUB_304000_NS6detail27convert_result_type_wrapperIS8_S9_N2at6native12_GLOBAL__N_19CustomMinEEEEE10hipError_tPvRmT0_T1_jT2_SQ_T4_T3_P12ihipStream_tbEUlT_E_NS1_11comp_targetILNS1_3genE2ELNS1_11target_archE906ELNS1_3gpuE6ELNS1_3repE0EEENS1_30default_config_static_selectorELNS0_4arch9wavefront6targetE0EEEvSP_
	.p2align	8
	.type	_ZN7rocprim17ROCPRIM_400000_NS6detail17trampoline_kernelINS0_14default_configENS1_32segmented_reduce_config_selectorIdEEZNS1_21segmented_reduce_implIS3_PKdPdPKldN6hipcub16HIPCUB_304000_NS6detail27convert_result_type_wrapperIS8_S9_N2at6native12_GLOBAL__N_19CustomMinEEEEE10hipError_tPvRmT0_T1_jT2_SQ_T4_T3_P12ihipStream_tbEUlT_E_NS1_11comp_targetILNS1_3genE2ELNS1_11target_archE906ELNS1_3gpuE6ELNS1_3repE0EEENS1_30default_config_static_selectorELNS0_4arch9wavefront6targetE0EEEvSP_,@function
_ZN7rocprim17ROCPRIM_400000_NS6detail17trampoline_kernelINS0_14default_configENS1_32segmented_reduce_config_selectorIdEEZNS1_21segmented_reduce_implIS3_PKdPdPKldN6hipcub16HIPCUB_304000_NS6detail27convert_result_type_wrapperIS8_S9_N2at6native12_GLOBAL__N_19CustomMinEEEEE10hipError_tPvRmT0_T1_jT2_SQ_T4_T3_P12ihipStream_tbEUlT_E_NS1_11comp_targetILNS1_3genE2ELNS1_11target_archE906ELNS1_3gpuE6ELNS1_3repE0EEENS1_30default_config_static_selectorELNS0_4arch9wavefront6targetE0EEEvSP_: ; @_ZN7rocprim17ROCPRIM_400000_NS6detail17trampoline_kernelINS0_14default_configENS1_32segmented_reduce_config_selectorIdEEZNS1_21segmented_reduce_implIS3_PKdPdPKldN6hipcub16HIPCUB_304000_NS6detail27convert_result_type_wrapperIS8_S9_N2at6native12_GLOBAL__N_19CustomMinEEEEE10hipError_tPvRmT0_T1_jT2_SQ_T4_T3_P12ihipStream_tbEUlT_E_NS1_11comp_targetILNS1_3genE2ELNS1_11target_archE906ELNS1_3gpuE6ELNS1_3repE0EEENS1_30default_config_static_selectorELNS0_4arch9wavefront6targetE0EEEvSP_
; %bb.0:
	.section	.rodata,"a",@progbits
	.p2align	6, 0x0
	.amdhsa_kernel _ZN7rocprim17ROCPRIM_400000_NS6detail17trampoline_kernelINS0_14default_configENS1_32segmented_reduce_config_selectorIdEEZNS1_21segmented_reduce_implIS3_PKdPdPKldN6hipcub16HIPCUB_304000_NS6detail27convert_result_type_wrapperIS8_S9_N2at6native12_GLOBAL__N_19CustomMinEEEEE10hipError_tPvRmT0_T1_jT2_SQ_T4_T3_P12ihipStream_tbEUlT_E_NS1_11comp_targetILNS1_3genE2ELNS1_11target_archE906ELNS1_3gpuE6ELNS1_3repE0EEENS1_30default_config_static_selectorELNS0_4arch9wavefront6targetE0EEEvSP_
		.amdhsa_group_segment_fixed_size 0
		.amdhsa_private_segment_fixed_size 0
		.amdhsa_kernarg_size 56
		.amdhsa_user_sgpr_count 2
		.amdhsa_user_sgpr_dispatch_ptr 0
		.amdhsa_user_sgpr_queue_ptr 0
		.amdhsa_user_sgpr_kernarg_segment_ptr 1
		.amdhsa_user_sgpr_dispatch_id 0
		.amdhsa_user_sgpr_kernarg_preload_length 0
		.amdhsa_user_sgpr_kernarg_preload_offset 0
		.amdhsa_user_sgpr_private_segment_size 0
		.amdhsa_wavefront_size32 1
		.amdhsa_uses_dynamic_stack 0
		.amdhsa_enable_private_segment 0
		.amdhsa_system_sgpr_workgroup_id_x 1
		.amdhsa_system_sgpr_workgroup_id_y 0
		.amdhsa_system_sgpr_workgroup_id_z 0
		.amdhsa_system_sgpr_workgroup_info 0
		.amdhsa_system_vgpr_workitem_id 0
		.amdhsa_next_free_vgpr 1
		.amdhsa_next_free_sgpr 1
		.amdhsa_named_barrier_count 0
		.amdhsa_reserve_vcc 0
		.amdhsa_float_round_mode_32 0
		.amdhsa_float_round_mode_16_64 0
		.amdhsa_float_denorm_mode_32 3
		.amdhsa_float_denorm_mode_16_64 3
		.amdhsa_fp16_overflow 0
		.amdhsa_memory_ordered 1
		.amdhsa_forward_progress 1
		.amdhsa_inst_pref_size 0
		.amdhsa_round_robin_scheduling 0
		.amdhsa_exception_fp_ieee_invalid_op 0
		.amdhsa_exception_fp_denorm_src 0
		.amdhsa_exception_fp_ieee_div_zero 0
		.amdhsa_exception_fp_ieee_overflow 0
		.amdhsa_exception_fp_ieee_underflow 0
		.amdhsa_exception_fp_ieee_inexact 0
		.amdhsa_exception_int_div_zero 0
	.end_amdhsa_kernel
	.section	.text._ZN7rocprim17ROCPRIM_400000_NS6detail17trampoline_kernelINS0_14default_configENS1_32segmented_reduce_config_selectorIdEEZNS1_21segmented_reduce_implIS3_PKdPdPKldN6hipcub16HIPCUB_304000_NS6detail27convert_result_type_wrapperIS8_S9_N2at6native12_GLOBAL__N_19CustomMinEEEEE10hipError_tPvRmT0_T1_jT2_SQ_T4_T3_P12ihipStream_tbEUlT_E_NS1_11comp_targetILNS1_3genE2ELNS1_11target_archE906ELNS1_3gpuE6ELNS1_3repE0EEENS1_30default_config_static_selectorELNS0_4arch9wavefront6targetE0EEEvSP_,"axG",@progbits,_ZN7rocprim17ROCPRIM_400000_NS6detail17trampoline_kernelINS0_14default_configENS1_32segmented_reduce_config_selectorIdEEZNS1_21segmented_reduce_implIS3_PKdPdPKldN6hipcub16HIPCUB_304000_NS6detail27convert_result_type_wrapperIS8_S9_N2at6native12_GLOBAL__N_19CustomMinEEEEE10hipError_tPvRmT0_T1_jT2_SQ_T4_T3_P12ihipStream_tbEUlT_E_NS1_11comp_targetILNS1_3genE2ELNS1_11target_archE906ELNS1_3gpuE6ELNS1_3repE0EEENS1_30default_config_static_selectorELNS0_4arch9wavefront6targetE0EEEvSP_,comdat
.Lfunc_end167:
	.size	_ZN7rocprim17ROCPRIM_400000_NS6detail17trampoline_kernelINS0_14default_configENS1_32segmented_reduce_config_selectorIdEEZNS1_21segmented_reduce_implIS3_PKdPdPKldN6hipcub16HIPCUB_304000_NS6detail27convert_result_type_wrapperIS8_S9_N2at6native12_GLOBAL__N_19CustomMinEEEEE10hipError_tPvRmT0_T1_jT2_SQ_T4_T3_P12ihipStream_tbEUlT_E_NS1_11comp_targetILNS1_3genE2ELNS1_11target_archE906ELNS1_3gpuE6ELNS1_3repE0EEENS1_30default_config_static_selectorELNS0_4arch9wavefront6targetE0EEEvSP_, .Lfunc_end167-_ZN7rocprim17ROCPRIM_400000_NS6detail17trampoline_kernelINS0_14default_configENS1_32segmented_reduce_config_selectorIdEEZNS1_21segmented_reduce_implIS3_PKdPdPKldN6hipcub16HIPCUB_304000_NS6detail27convert_result_type_wrapperIS8_S9_N2at6native12_GLOBAL__N_19CustomMinEEEEE10hipError_tPvRmT0_T1_jT2_SQ_T4_T3_P12ihipStream_tbEUlT_E_NS1_11comp_targetILNS1_3genE2ELNS1_11target_archE906ELNS1_3gpuE6ELNS1_3repE0EEENS1_30default_config_static_selectorELNS0_4arch9wavefront6targetE0EEEvSP_
                                        ; -- End function
	.set _ZN7rocprim17ROCPRIM_400000_NS6detail17trampoline_kernelINS0_14default_configENS1_32segmented_reduce_config_selectorIdEEZNS1_21segmented_reduce_implIS3_PKdPdPKldN6hipcub16HIPCUB_304000_NS6detail27convert_result_type_wrapperIS8_S9_N2at6native12_GLOBAL__N_19CustomMinEEEEE10hipError_tPvRmT0_T1_jT2_SQ_T4_T3_P12ihipStream_tbEUlT_E_NS1_11comp_targetILNS1_3genE2ELNS1_11target_archE906ELNS1_3gpuE6ELNS1_3repE0EEENS1_30default_config_static_selectorELNS0_4arch9wavefront6targetE0EEEvSP_.num_vgpr, 0
	.set _ZN7rocprim17ROCPRIM_400000_NS6detail17trampoline_kernelINS0_14default_configENS1_32segmented_reduce_config_selectorIdEEZNS1_21segmented_reduce_implIS3_PKdPdPKldN6hipcub16HIPCUB_304000_NS6detail27convert_result_type_wrapperIS8_S9_N2at6native12_GLOBAL__N_19CustomMinEEEEE10hipError_tPvRmT0_T1_jT2_SQ_T4_T3_P12ihipStream_tbEUlT_E_NS1_11comp_targetILNS1_3genE2ELNS1_11target_archE906ELNS1_3gpuE6ELNS1_3repE0EEENS1_30default_config_static_selectorELNS0_4arch9wavefront6targetE0EEEvSP_.num_agpr, 0
	.set _ZN7rocprim17ROCPRIM_400000_NS6detail17trampoline_kernelINS0_14default_configENS1_32segmented_reduce_config_selectorIdEEZNS1_21segmented_reduce_implIS3_PKdPdPKldN6hipcub16HIPCUB_304000_NS6detail27convert_result_type_wrapperIS8_S9_N2at6native12_GLOBAL__N_19CustomMinEEEEE10hipError_tPvRmT0_T1_jT2_SQ_T4_T3_P12ihipStream_tbEUlT_E_NS1_11comp_targetILNS1_3genE2ELNS1_11target_archE906ELNS1_3gpuE6ELNS1_3repE0EEENS1_30default_config_static_selectorELNS0_4arch9wavefront6targetE0EEEvSP_.numbered_sgpr, 0
	.set _ZN7rocprim17ROCPRIM_400000_NS6detail17trampoline_kernelINS0_14default_configENS1_32segmented_reduce_config_selectorIdEEZNS1_21segmented_reduce_implIS3_PKdPdPKldN6hipcub16HIPCUB_304000_NS6detail27convert_result_type_wrapperIS8_S9_N2at6native12_GLOBAL__N_19CustomMinEEEEE10hipError_tPvRmT0_T1_jT2_SQ_T4_T3_P12ihipStream_tbEUlT_E_NS1_11comp_targetILNS1_3genE2ELNS1_11target_archE906ELNS1_3gpuE6ELNS1_3repE0EEENS1_30default_config_static_selectorELNS0_4arch9wavefront6targetE0EEEvSP_.num_named_barrier, 0
	.set _ZN7rocprim17ROCPRIM_400000_NS6detail17trampoline_kernelINS0_14default_configENS1_32segmented_reduce_config_selectorIdEEZNS1_21segmented_reduce_implIS3_PKdPdPKldN6hipcub16HIPCUB_304000_NS6detail27convert_result_type_wrapperIS8_S9_N2at6native12_GLOBAL__N_19CustomMinEEEEE10hipError_tPvRmT0_T1_jT2_SQ_T4_T3_P12ihipStream_tbEUlT_E_NS1_11comp_targetILNS1_3genE2ELNS1_11target_archE906ELNS1_3gpuE6ELNS1_3repE0EEENS1_30default_config_static_selectorELNS0_4arch9wavefront6targetE0EEEvSP_.private_seg_size, 0
	.set _ZN7rocprim17ROCPRIM_400000_NS6detail17trampoline_kernelINS0_14default_configENS1_32segmented_reduce_config_selectorIdEEZNS1_21segmented_reduce_implIS3_PKdPdPKldN6hipcub16HIPCUB_304000_NS6detail27convert_result_type_wrapperIS8_S9_N2at6native12_GLOBAL__N_19CustomMinEEEEE10hipError_tPvRmT0_T1_jT2_SQ_T4_T3_P12ihipStream_tbEUlT_E_NS1_11comp_targetILNS1_3genE2ELNS1_11target_archE906ELNS1_3gpuE6ELNS1_3repE0EEENS1_30default_config_static_selectorELNS0_4arch9wavefront6targetE0EEEvSP_.uses_vcc, 0
	.set _ZN7rocprim17ROCPRIM_400000_NS6detail17trampoline_kernelINS0_14default_configENS1_32segmented_reduce_config_selectorIdEEZNS1_21segmented_reduce_implIS3_PKdPdPKldN6hipcub16HIPCUB_304000_NS6detail27convert_result_type_wrapperIS8_S9_N2at6native12_GLOBAL__N_19CustomMinEEEEE10hipError_tPvRmT0_T1_jT2_SQ_T4_T3_P12ihipStream_tbEUlT_E_NS1_11comp_targetILNS1_3genE2ELNS1_11target_archE906ELNS1_3gpuE6ELNS1_3repE0EEENS1_30default_config_static_selectorELNS0_4arch9wavefront6targetE0EEEvSP_.uses_flat_scratch, 0
	.set _ZN7rocprim17ROCPRIM_400000_NS6detail17trampoline_kernelINS0_14default_configENS1_32segmented_reduce_config_selectorIdEEZNS1_21segmented_reduce_implIS3_PKdPdPKldN6hipcub16HIPCUB_304000_NS6detail27convert_result_type_wrapperIS8_S9_N2at6native12_GLOBAL__N_19CustomMinEEEEE10hipError_tPvRmT0_T1_jT2_SQ_T4_T3_P12ihipStream_tbEUlT_E_NS1_11comp_targetILNS1_3genE2ELNS1_11target_archE906ELNS1_3gpuE6ELNS1_3repE0EEENS1_30default_config_static_selectorELNS0_4arch9wavefront6targetE0EEEvSP_.has_dyn_sized_stack, 0
	.set _ZN7rocprim17ROCPRIM_400000_NS6detail17trampoline_kernelINS0_14default_configENS1_32segmented_reduce_config_selectorIdEEZNS1_21segmented_reduce_implIS3_PKdPdPKldN6hipcub16HIPCUB_304000_NS6detail27convert_result_type_wrapperIS8_S9_N2at6native12_GLOBAL__N_19CustomMinEEEEE10hipError_tPvRmT0_T1_jT2_SQ_T4_T3_P12ihipStream_tbEUlT_E_NS1_11comp_targetILNS1_3genE2ELNS1_11target_archE906ELNS1_3gpuE6ELNS1_3repE0EEENS1_30default_config_static_selectorELNS0_4arch9wavefront6targetE0EEEvSP_.has_recursion, 0
	.set _ZN7rocprim17ROCPRIM_400000_NS6detail17trampoline_kernelINS0_14default_configENS1_32segmented_reduce_config_selectorIdEEZNS1_21segmented_reduce_implIS3_PKdPdPKldN6hipcub16HIPCUB_304000_NS6detail27convert_result_type_wrapperIS8_S9_N2at6native12_GLOBAL__N_19CustomMinEEEEE10hipError_tPvRmT0_T1_jT2_SQ_T4_T3_P12ihipStream_tbEUlT_E_NS1_11comp_targetILNS1_3genE2ELNS1_11target_archE906ELNS1_3gpuE6ELNS1_3repE0EEENS1_30default_config_static_selectorELNS0_4arch9wavefront6targetE0EEEvSP_.has_indirect_call, 0
	.section	.AMDGPU.csdata,"",@progbits
; Kernel info:
; codeLenInByte = 0
; TotalNumSgprs: 0
; NumVgprs: 0
; ScratchSize: 0
; MemoryBound: 0
; FloatMode: 240
; IeeeMode: 1
; LDSByteSize: 0 bytes/workgroup (compile time only)
; SGPRBlocks: 0
; VGPRBlocks: 0
; NumSGPRsForWavesPerEU: 1
; NumVGPRsForWavesPerEU: 1
; NamedBarCnt: 0
; Occupancy: 16
; WaveLimiterHint : 0
; COMPUTE_PGM_RSRC2:SCRATCH_EN: 0
; COMPUTE_PGM_RSRC2:USER_SGPR: 2
; COMPUTE_PGM_RSRC2:TRAP_HANDLER: 0
; COMPUTE_PGM_RSRC2:TGID_X_EN: 1
; COMPUTE_PGM_RSRC2:TGID_Y_EN: 0
; COMPUTE_PGM_RSRC2:TGID_Z_EN: 0
; COMPUTE_PGM_RSRC2:TIDIG_COMP_CNT: 0
	.section	.text._ZN7rocprim17ROCPRIM_400000_NS6detail17trampoline_kernelINS0_14default_configENS1_32segmented_reduce_config_selectorIdEEZNS1_21segmented_reduce_implIS3_PKdPdPKldN6hipcub16HIPCUB_304000_NS6detail27convert_result_type_wrapperIS8_S9_N2at6native12_GLOBAL__N_19CustomMinEEEEE10hipError_tPvRmT0_T1_jT2_SQ_T4_T3_P12ihipStream_tbEUlT_E_NS1_11comp_targetILNS1_3genE9ELNS1_11target_archE1100ELNS1_3gpuE3ELNS1_3repE0EEENS1_30default_config_static_selectorELNS0_4arch9wavefront6targetE0EEEvSP_,"axG",@progbits,_ZN7rocprim17ROCPRIM_400000_NS6detail17trampoline_kernelINS0_14default_configENS1_32segmented_reduce_config_selectorIdEEZNS1_21segmented_reduce_implIS3_PKdPdPKldN6hipcub16HIPCUB_304000_NS6detail27convert_result_type_wrapperIS8_S9_N2at6native12_GLOBAL__N_19CustomMinEEEEE10hipError_tPvRmT0_T1_jT2_SQ_T4_T3_P12ihipStream_tbEUlT_E_NS1_11comp_targetILNS1_3genE9ELNS1_11target_archE1100ELNS1_3gpuE3ELNS1_3repE0EEENS1_30default_config_static_selectorELNS0_4arch9wavefront6targetE0EEEvSP_,comdat
	.globl	_ZN7rocprim17ROCPRIM_400000_NS6detail17trampoline_kernelINS0_14default_configENS1_32segmented_reduce_config_selectorIdEEZNS1_21segmented_reduce_implIS3_PKdPdPKldN6hipcub16HIPCUB_304000_NS6detail27convert_result_type_wrapperIS8_S9_N2at6native12_GLOBAL__N_19CustomMinEEEEE10hipError_tPvRmT0_T1_jT2_SQ_T4_T3_P12ihipStream_tbEUlT_E_NS1_11comp_targetILNS1_3genE9ELNS1_11target_archE1100ELNS1_3gpuE3ELNS1_3repE0EEENS1_30default_config_static_selectorELNS0_4arch9wavefront6targetE0EEEvSP_ ; -- Begin function _ZN7rocprim17ROCPRIM_400000_NS6detail17trampoline_kernelINS0_14default_configENS1_32segmented_reduce_config_selectorIdEEZNS1_21segmented_reduce_implIS3_PKdPdPKldN6hipcub16HIPCUB_304000_NS6detail27convert_result_type_wrapperIS8_S9_N2at6native12_GLOBAL__N_19CustomMinEEEEE10hipError_tPvRmT0_T1_jT2_SQ_T4_T3_P12ihipStream_tbEUlT_E_NS1_11comp_targetILNS1_3genE9ELNS1_11target_archE1100ELNS1_3gpuE3ELNS1_3repE0EEENS1_30default_config_static_selectorELNS0_4arch9wavefront6targetE0EEEvSP_
	.p2align	8
	.type	_ZN7rocprim17ROCPRIM_400000_NS6detail17trampoline_kernelINS0_14default_configENS1_32segmented_reduce_config_selectorIdEEZNS1_21segmented_reduce_implIS3_PKdPdPKldN6hipcub16HIPCUB_304000_NS6detail27convert_result_type_wrapperIS8_S9_N2at6native12_GLOBAL__N_19CustomMinEEEEE10hipError_tPvRmT0_T1_jT2_SQ_T4_T3_P12ihipStream_tbEUlT_E_NS1_11comp_targetILNS1_3genE9ELNS1_11target_archE1100ELNS1_3gpuE3ELNS1_3repE0EEENS1_30default_config_static_selectorELNS0_4arch9wavefront6targetE0EEEvSP_,@function
_ZN7rocprim17ROCPRIM_400000_NS6detail17trampoline_kernelINS0_14default_configENS1_32segmented_reduce_config_selectorIdEEZNS1_21segmented_reduce_implIS3_PKdPdPKldN6hipcub16HIPCUB_304000_NS6detail27convert_result_type_wrapperIS8_S9_N2at6native12_GLOBAL__N_19CustomMinEEEEE10hipError_tPvRmT0_T1_jT2_SQ_T4_T3_P12ihipStream_tbEUlT_E_NS1_11comp_targetILNS1_3genE9ELNS1_11target_archE1100ELNS1_3gpuE3ELNS1_3repE0EEENS1_30default_config_static_selectorELNS0_4arch9wavefront6targetE0EEEvSP_: ; @_ZN7rocprim17ROCPRIM_400000_NS6detail17trampoline_kernelINS0_14default_configENS1_32segmented_reduce_config_selectorIdEEZNS1_21segmented_reduce_implIS3_PKdPdPKldN6hipcub16HIPCUB_304000_NS6detail27convert_result_type_wrapperIS8_S9_N2at6native12_GLOBAL__N_19CustomMinEEEEE10hipError_tPvRmT0_T1_jT2_SQ_T4_T3_P12ihipStream_tbEUlT_E_NS1_11comp_targetILNS1_3genE9ELNS1_11target_archE1100ELNS1_3gpuE3ELNS1_3repE0EEENS1_30default_config_static_selectorELNS0_4arch9wavefront6targetE0EEEvSP_
; %bb.0:
	.section	.rodata,"a",@progbits
	.p2align	6, 0x0
	.amdhsa_kernel _ZN7rocprim17ROCPRIM_400000_NS6detail17trampoline_kernelINS0_14default_configENS1_32segmented_reduce_config_selectorIdEEZNS1_21segmented_reduce_implIS3_PKdPdPKldN6hipcub16HIPCUB_304000_NS6detail27convert_result_type_wrapperIS8_S9_N2at6native12_GLOBAL__N_19CustomMinEEEEE10hipError_tPvRmT0_T1_jT2_SQ_T4_T3_P12ihipStream_tbEUlT_E_NS1_11comp_targetILNS1_3genE9ELNS1_11target_archE1100ELNS1_3gpuE3ELNS1_3repE0EEENS1_30default_config_static_selectorELNS0_4arch9wavefront6targetE0EEEvSP_
		.amdhsa_group_segment_fixed_size 0
		.amdhsa_private_segment_fixed_size 0
		.amdhsa_kernarg_size 56
		.amdhsa_user_sgpr_count 2
		.amdhsa_user_sgpr_dispatch_ptr 0
		.amdhsa_user_sgpr_queue_ptr 0
		.amdhsa_user_sgpr_kernarg_segment_ptr 1
		.amdhsa_user_sgpr_dispatch_id 0
		.amdhsa_user_sgpr_kernarg_preload_length 0
		.amdhsa_user_sgpr_kernarg_preload_offset 0
		.amdhsa_user_sgpr_private_segment_size 0
		.amdhsa_wavefront_size32 1
		.amdhsa_uses_dynamic_stack 0
		.amdhsa_enable_private_segment 0
		.amdhsa_system_sgpr_workgroup_id_x 1
		.amdhsa_system_sgpr_workgroup_id_y 0
		.amdhsa_system_sgpr_workgroup_id_z 0
		.amdhsa_system_sgpr_workgroup_info 0
		.amdhsa_system_vgpr_workitem_id 0
		.amdhsa_next_free_vgpr 1
		.amdhsa_next_free_sgpr 1
		.amdhsa_named_barrier_count 0
		.amdhsa_reserve_vcc 0
		.amdhsa_float_round_mode_32 0
		.amdhsa_float_round_mode_16_64 0
		.amdhsa_float_denorm_mode_32 3
		.amdhsa_float_denorm_mode_16_64 3
		.amdhsa_fp16_overflow 0
		.amdhsa_memory_ordered 1
		.amdhsa_forward_progress 1
		.amdhsa_inst_pref_size 0
		.amdhsa_round_robin_scheduling 0
		.amdhsa_exception_fp_ieee_invalid_op 0
		.amdhsa_exception_fp_denorm_src 0
		.amdhsa_exception_fp_ieee_div_zero 0
		.amdhsa_exception_fp_ieee_overflow 0
		.amdhsa_exception_fp_ieee_underflow 0
		.amdhsa_exception_fp_ieee_inexact 0
		.amdhsa_exception_int_div_zero 0
	.end_amdhsa_kernel
	.section	.text._ZN7rocprim17ROCPRIM_400000_NS6detail17trampoline_kernelINS0_14default_configENS1_32segmented_reduce_config_selectorIdEEZNS1_21segmented_reduce_implIS3_PKdPdPKldN6hipcub16HIPCUB_304000_NS6detail27convert_result_type_wrapperIS8_S9_N2at6native12_GLOBAL__N_19CustomMinEEEEE10hipError_tPvRmT0_T1_jT2_SQ_T4_T3_P12ihipStream_tbEUlT_E_NS1_11comp_targetILNS1_3genE9ELNS1_11target_archE1100ELNS1_3gpuE3ELNS1_3repE0EEENS1_30default_config_static_selectorELNS0_4arch9wavefront6targetE0EEEvSP_,"axG",@progbits,_ZN7rocprim17ROCPRIM_400000_NS6detail17trampoline_kernelINS0_14default_configENS1_32segmented_reduce_config_selectorIdEEZNS1_21segmented_reduce_implIS3_PKdPdPKldN6hipcub16HIPCUB_304000_NS6detail27convert_result_type_wrapperIS8_S9_N2at6native12_GLOBAL__N_19CustomMinEEEEE10hipError_tPvRmT0_T1_jT2_SQ_T4_T3_P12ihipStream_tbEUlT_E_NS1_11comp_targetILNS1_3genE9ELNS1_11target_archE1100ELNS1_3gpuE3ELNS1_3repE0EEENS1_30default_config_static_selectorELNS0_4arch9wavefront6targetE0EEEvSP_,comdat
.Lfunc_end168:
	.size	_ZN7rocprim17ROCPRIM_400000_NS6detail17trampoline_kernelINS0_14default_configENS1_32segmented_reduce_config_selectorIdEEZNS1_21segmented_reduce_implIS3_PKdPdPKldN6hipcub16HIPCUB_304000_NS6detail27convert_result_type_wrapperIS8_S9_N2at6native12_GLOBAL__N_19CustomMinEEEEE10hipError_tPvRmT0_T1_jT2_SQ_T4_T3_P12ihipStream_tbEUlT_E_NS1_11comp_targetILNS1_3genE9ELNS1_11target_archE1100ELNS1_3gpuE3ELNS1_3repE0EEENS1_30default_config_static_selectorELNS0_4arch9wavefront6targetE0EEEvSP_, .Lfunc_end168-_ZN7rocprim17ROCPRIM_400000_NS6detail17trampoline_kernelINS0_14default_configENS1_32segmented_reduce_config_selectorIdEEZNS1_21segmented_reduce_implIS3_PKdPdPKldN6hipcub16HIPCUB_304000_NS6detail27convert_result_type_wrapperIS8_S9_N2at6native12_GLOBAL__N_19CustomMinEEEEE10hipError_tPvRmT0_T1_jT2_SQ_T4_T3_P12ihipStream_tbEUlT_E_NS1_11comp_targetILNS1_3genE9ELNS1_11target_archE1100ELNS1_3gpuE3ELNS1_3repE0EEENS1_30default_config_static_selectorELNS0_4arch9wavefront6targetE0EEEvSP_
                                        ; -- End function
	.set _ZN7rocprim17ROCPRIM_400000_NS6detail17trampoline_kernelINS0_14default_configENS1_32segmented_reduce_config_selectorIdEEZNS1_21segmented_reduce_implIS3_PKdPdPKldN6hipcub16HIPCUB_304000_NS6detail27convert_result_type_wrapperIS8_S9_N2at6native12_GLOBAL__N_19CustomMinEEEEE10hipError_tPvRmT0_T1_jT2_SQ_T4_T3_P12ihipStream_tbEUlT_E_NS1_11comp_targetILNS1_3genE9ELNS1_11target_archE1100ELNS1_3gpuE3ELNS1_3repE0EEENS1_30default_config_static_selectorELNS0_4arch9wavefront6targetE0EEEvSP_.num_vgpr, 0
	.set _ZN7rocprim17ROCPRIM_400000_NS6detail17trampoline_kernelINS0_14default_configENS1_32segmented_reduce_config_selectorIdEEZNS1_21segmented_reduce_implIS3_PKdPdPKldN6hipcub16HIPCUB_304000_NS6detail27convert_result_type_wrapperIS8_S9_N2at6native12_GLOBAL__N_19CustomMinEEEEE10hipError_tPvRmT0_T1_jT2_SQ_T4_T3_P12ihipStream_tbEUlT_E_NS1_11comp_targetILNS1_3genE9ELNS1_11target_archE1100ELNS1_3gpuE3ELNS1_3repE0EEENS1_30default_config_static_selectorELNS0_4arch9wavefront6targetE0EEEvSP_.num_agpr, 0
	.set _ZN7rocprim17ROCPRIM_400000_NS6detail17trampoline_kernelINS0_14default_configENS1_32segmented_reduce_config_selectorIdEEZNS1_21segmented_reduce_implIS3_PKdPdPKldN6hipcub16HIPCUB_304000_NS6detail27convert_result_type_wrapperIS8_S9_N2at6native12_GLOBAL__N_19CustomMinEEEEE10hipError_tPvRmT0_T1_jT2_SQ_T4_T3_P12ihipStream_tbEUlT_E_NS1_11comp_targetILNS1_3genE9ELNS1_11target_archE1100ELNS1_3gpuE3ELNS1_3repE0EEENS1_30default_config_static_selectorELNS0_4arch9wavefront6targetE0EEEvSP_.numbered_sgpr, 0
	.set _ZN7rocprim17ROCPRIM_400000_NS6detail17trampoline_kernelINS0_14default_configENS1_32segmented_reduce_config_selectorIdEEZNS1_21segmented_reduce_implIS3_PKdPdPKldN6hipcub16HIPCUB_304000_NS6detail27convert_result_type_wrapperIS8_S9_N2at6native12_GLOBAL__N_19CustomMinEEEEE10hipError_tPvRmT0_T1_jT2_SQ_T4_T3_P12ihipStream_tbEUlT_E_NS1_11comp_targetILNS1_3genE9ELNS1_11target_archE1100ELNS1_3gpuE3ELNS1_3repE0EEENS1_30default_config_static_selectorELNS0_4arch9wavefront6targetE0EEEvSP_.num_named_barrier, 0
	.set _ZN7rocprim17ROCPRIM_400000_NS6detail17trampoline_kernelINS0_14default_configENS1_32segmented_reduce_config_selectorIdEEZNS1_21segmented_reduce_implIS3_PKdPdPKldN6hipcub16HIPCUB_304000_NS6detail27convert_result_type_wrapperIS8_S9_N2at6native12_GLOBAL__N_19CustomMinEEEEE10hipError_tPvRmT0_T1_jT2_SQ_T4_T3_P12ihipStream_tbEUlT_E_NS1_11comp_targetILNS1_3genE9ELNS1_11target_archE1100ELNS1_3gpuE3ELNS1_3repE0EEENS1_30default_config_static_selectorELNS0_4arch9wavefront6targetE0EEEvSP_.private_seg_size, 0
	.set _ZN7rocprim17ROCPRIM_400000_NS6detail17trampoline_kernelINS0_14default_configENS1_32segmented_reduce_config_selectorIdEEZNS1_21segmented_reduce_implIS3_PKdPdPKldN6hipcub16HIPCUB_304000_NS6detail27convert_result_type_wrapperIS8_S9_N2at6native12_GLOBAL__N_19CustomMinEEEEE10hipError_tPvRmT0_T1_jT2_SQ_T4_T3_P12ihipStream_tbEUlT_E_NS1_11comp_targetILNS1_3genE9ELNS1_11target_archE1100ELNS1_3gpuE3ELNS1_3repE0EEENS1_30default_config_static_selectorELNS0_4arch9wavefront6targetE0EEEvSP_.uses_vcc, 0
	.set _ZN7rocprim17ROCPRIM_400000_NS6detail17trampoline_kernelINS0_14default_configENS1_32segmented_reduce_config_selectorIdEEZNS1_21segmented_reduce_implIS3_PKdPdPKldN6hipcub16HIPCUB_304000_NS6detail27convert_result_type_wrapperIS8_S9_N2at6native12_GLOBAL__N_19CustomMinEEEEE10hipError_tPvRmT0_T1_jT2_SQ_T4_T3_P12ihipStream_tbEUlT_E_NS1_11comp_targetILNS1_3genE9ELNS1_11target_archE1100ELNS1_3gpuE3ELNS1_3repE0EEENS1_30default_config_static_selectorELNS0_4arch9wavefront6targetE0EEEvSP_.uses_flat_scratch, 0
	.set _ZN7rocprim17ROCPRIM_400000_NS6detail17trampoline_kernelINS0_14default_configENS1_32segmented_reduce_config_selectorIdEEZNS1_21segmented_reduce_implIS3_PKdPdPKldN6hipcub16HIPCUB_304000_NS6detail27convert_result_type_wrapperIS8_S9_N2at6native12_GLOBAL__N_19CustomMinEEEEE10hipError_tPvRmT0_T1_jT2_SQ_T4_T3_P12ihipStream_tbEUlT_E_NS1_11comp_targetILNS1_3genE9ELNS1_11target_archE1100ELNS1_3gpuE3ELNS1_3repE0EEENS1_30default_config_static_selectorELNS0_4arch9wavefront6targetE0EEEvSP_.has_dyn_sized_stack, 0
	.set _ZN7rocprim17ROCPRIM_400000_NS6detail17trampoline_kernelINS0_14default_configENS1_32segmented_reduce_config_selectorIdEEZNS1_21segmented_reduce_implIS3_PKdPdPKldN6hipcub16HIPCUB_304000_NS6detail27convert_result_type_wrapperIS8_S9_N2at6native12_GLOBAL__N_19CustomMinEEEEE10hipError_tPvRmT0_T1_jT2_SQ_T4_T3_P12ihipStream_tbEUlT_E_NS1_11comp_targetILNS1_3genE9ELNS1_11target_archE1100ELNS1_3gpuE3ELNS1_3repE0EEENS1_30default_config_static_selectorELNS0_4arch9wavefront6targetE0EEEvSP_.has_recursion, 0
	.set _ZN7rocprim17ROCPRIM_400000_NS6detail17trampoline_kernelINS0_14default_configENS1_32segmented_reduce_config_selectorIdEEZNS1_21segmented_reduce_implIS3_PKdPdPKldN6hipcub16HIPCUB_304000_NS6detail27convert_result_type_wrapperIS8_S9_N2at6native12_GLOBAL__N_19CustomMinEEEEE10hipError_tPvRmT0_T1_jT2_SQ_T4_T3_P12ihipStream_tbEUlT_E_NS1_11comp_targetILNS1_3genE9ELNS1_11target_archE1100ELNS1_3gpuE3ELNS1_3repE0EEENS1_30default_config_static_selectorELNS0_4arch9wavefront6targetE0EEEvSP_.has_indirect_call, 0
	.section	.AMDGPU.csdata,"",@progbits
; Kernel info:
; codeLenInByte = 0
; TotalNumSgprs: 0
; NumVgprs: 0
; ScratchSize: 0
; MemoryBound: 0
; FloatMode: 240
; IeeeMode: 1
; LDSByteSize: 0 bytes/workgroup (compile time only)
; SGPRBlocks: 0
; VGPRBlocks: 0
; NumSGPRsForWavesPerEU: 1
; NumVGPRsForWavesPerEU: 1
; NamedBarCnt: 0
; Occupancy: 16
; WaveLimiterHint : 0
; COMPUTE_PGM_RSRC2:SCRATCH_EN: 0
; COMPUTE_PGM_RSRC2:USER_SGPR: 2
; COMPUTE_PGM_RSRC2:TRAP_HANDLER: 0
; COMPUTE_PGM_RSRC2:TGID_X_EN: 1
; COMPUTE_PGM_RSRC2:TGID_Y_EN: 0
; COMPUTE_PGM_RSRC2:TGID_Z_EN: 0
; COMPUTE_PGM_RSRC2:TIDIG_COMP_CNT: 0
	.section	.text._ZN7rocprim17ROCPRIM_400000_NS6detail17trampoline_kernelINS0_14default_configENS1_32segmented_reduce_config_selectorIdEEZNS1_21segmented_reduce_implIS3_PKdPdPKldN6hipcub16HIPCUB_304000_NS6detail27convert_result_type_wrapperIS8_S9_N2at6native12_GLOBAL__N_19CustomMinEEEEE10hipError_tPvRmT0_T1_jT2_SQ_T4_T3_P12ihipStream_tbEUlT_E_NS1_11comp_targetILNS1_3genE8ELNS1_11target_archE1030ELNS1_3gpuE2ELNS1_3repE0EEENS1_30default_config_static_selectorELNS0_4arch9wavefront6targetE0EEEvSP_,"axG",@progbits,_ZN7rocprim17ROCPRIM_400000_NS6detail17trampoline_kernelINS0_14default_configENS1_32segmented_reduce_config_selectorIdEEZNS1_21segmented_reduce_implIS3_PKdPdPKldN6hipcub16HIPCUB_304000_NS6detail27convert_result_type_wrapperIS8_S9_N2at6native12_GLOBAL__N_19CustomMinEEEEE10hipError_tPvRmT0_T1_jT2_SQ_T4_T3_P12ihipStream_tbEUlT_E_NS1_11comp_targetILNS1_3genE8ELNS1_11target_archE1030ELNS1_3gpuE2ELNS1_3repE0EEENS1_30default_config_static_selectorELNS0_4arch9wavefront6targetE0EEEvSP_,comdat
	.globl	_ZN7rocprim17ROCPRIM_400000_NS6detail17trampoline_kernelINS0_14default_configENS1_32segmented_reduce_config_selectorIdEEZNS1_21segmented_reduce_implIS3_PKdPdPKldN6hipcub16HIPCUB_304000_NS6detail27convert_result_type_wrapperIS8_S9_N2at6native12_GLOBAL__N_19CustomMinEEEEE10hipError_tPvRmT0_T1_jT2_SQ_T4_T3_P12ihipStream_tbEUlT_E_NS1_11comp_targetILNS1_3genE8ELNS1_11target_archE1030ELNS1_3gpuE2ELNS1_3repE0EEENS1_30default_config_static_selectorELNS0_4arch9wavefront6targetE0EEEvSP_ ; -- Begin function _ZN7rocprim17ROCPRIM_400000_NS6detail17trampoline_kernelINS0_14default_configENS1_32segmented_reduce_config_selectorIdEEZNS1_21segmented_reduce_implIS3_PKdPdPKldN6hipcub16HIPCUB_304000_NS6detail27convert_result_type_wrapperIS8_S9_N2at6native12_GLOBAL__N_19CustomMinEEEEE10hipError_tPvRmT0_T1_jT2_SQ_T4_T3_P12ihipStream_tbEUlT_E_NS1_11comp_targetILNS1_3genE8ELNS1_11target_archE1030ELNS1_3gpuE2ELNS1_3repE0EEENS1_30default_config_static_selectorELNS0_4arch9wavefront6targetE0EEEvSP_
	.p2align	8
	.type	_ZN7rocprim17ROCPRIM_400000_NS6detail17trampoline_kernelINS0_14default_configENS1_32segmented_reduce_config_selectorIdEEZNS1_21segmented_reduce_implIS3_PKdPdPKldN6hipcub16HIPCUB_304000_NS6detail27convert_result_type_wrapperIS8_S9_N2at6native12_GLOBAL__N_19CustomMinEEEEE10hipError_tPvRmT0_T1_jT2_SQ_T4_T3_P12ihipStream_tbEUlT_E_NS1_11comp_targetILNS1_3genE8ELNS1_11target_archE1030ELNS1_3gpuE2ELNS1_3repE0EEENS1_30default_config_static_selectorELNS0_4arch9wavefront6targetE0EEEvSP_,@function
_ZN7rocprim17ROCPRIM_400000_NS6detail17trampoline_kernelINS0_14default_configENS1_32segmented_reduce_config_selectorIdEEZNS1_21segmented_reduce_implIS3_PKdPdPKldN6hipcub16HIPCUB_304000_NS6detail27convert_result_type_wrapperIS8_S9_N2at6native12_GLOBAL__N_19CustomMinEEEEE10hipError_tPvRmT0_T1_jT2_SQ_T4_T3_P12ihipStream_tbEUlT_E_NS1_11comp_targetILNS1_3genE8ELNS1_11target_archE1030ELNS1_3gpuE2ELNS1_3repE0EEENS1_30default_config_static_selectorELNS0_4arch9wavefront6targetE0EEEvSP_: ; @_ZN7rocprim17ROCPRIM_400000_NS6detail17trampoline_kernelINS0_14default_configENS1_32segmented_reduce_config_selectorIdEEZNS1_21segmented_reduce_implIS3_PKdPdPKldN6hipcub16HIPCUB_304000_NS6detail27convert_result_type_wrapperIS8_S9_N2at6native12_GLOBAL__N_19CustomMinEEEEE10hipError_tPvRmT0_T1_jT2_SQ_T4_T3_P12ihipStream_tbEUlT_E_NS1_11comp_targetILNS1_3genE8ELNS1_11target_archE1030ELNS1_3gpuE2ELNS1_3repE0EEENS1_30default_config_static_selectorELNS0_4arch9wavefront6targetE0EEEvSP_
; %bb.0:
	.section	.rodata,"a",@progbits
	.p2align	6, 0x0
	.amdhsa_kernel _ZN7rocprim17ROCPRIM_400000_NS6detail17trampoline_kernelINS0_14default_configENS1_32segmented_reduce_config_selectorIdEEZNS1_21segmented_reduce_implIS3_PKdPdPKldN6hipcub16HIPCUB_304000_NS6detail27convert_result_type_wrapperIS8_S9_N2at6native12_GLOBAL__N_19CustomMinEEEEE10hipError_tPvRmT0_T1_jT2_SQ_T4_T3_P12ihipStream_tbEUlT_E_NS1_11comp_targetILNS1_3genE8ELNS1_11target_archE1030ELNS1_3gpuE2ELNS1_3repE0EEENS1_30default_config_static_selectorELNS0_4arch9wavefront6targetE0EEEvSP_
		.amdhsa_group_segment_fixed_size 0
		.amdhsa_private_segment_fixed_size 0
		.amdhsa_kernarg_size 56
		.amdhsa_user_sgpr_count 2
		.amdhsa_user_sgpr_dispatch_ptr 0
		.amdhsa_user_sgpr_queue_ptr 0
		.amdhsa_user_sgpr_kernarg_segment_ptr 1
		.amdhsa_user_sgpr_dispatch_id 0
		.amdhsa_user_sgpr_kernarg_preload_length 0
		.amdhsa_user_sgpr_kernarg_preload_offset 0
		.amdhsa_user_sgpr_private_segment_size 0
		.amdhsa_wavefront_size32 1
		.amdhsa_uses_dynamic_stack 0
		.amdhsa_enable_private_segment 0
		.amdhsa_system_sgpr_workgroup_id_x 1
		.amdhsa_system_sgpr_workgroup_id_y 0
		.amdhsa_system_sgpr_workgroup_id_z 0
		.amdhsa_system_sgpr_workgroup_info 0
		.amdhsa_system_vgpr_workitem_id 0
		.amdhsa_next_free_vgpr 1
		.amdhsa_next_free_sgpr 1
		.amdhsa_named_barrier_count 0
		.amdhsa_reserve_vcc 0
		.amdhsa_float_round_mode_32 0
		.amdhsa_float_round_mode_16_64 0
		.amdhsa_float_denorm_mode_32 3
		.amdhsa_float_denorm_mode_16_64 3
		.amdhsa_fp16_overflow 0
		.amdhsa_memory_ordered 1
		.amdhsa_forward_progress 1
		.amdhsa_inst_pref_size 0
		.amdhsa_round_robin_scheduling 0
		.amdhsa_exception_fp_ieee_invalid_op 0
		.amdhsa_exception_fp_denorm_src 0
		.amdhsa_exception_fp_ieee_div_zero 0
		.amdhsa_exception_fp_ieee_overflow 0
		.amdhsa_exception_fp_ieee_underflow 0
		.amdhsa_exception_fp_ieee_inexact 0
		.amdhsa_exception_int_div_zero 0
	.end_amdhsa_kernel
	.section	.text._ZN7rocprim17ROCPRIM_400000_NS6detail17trampoline_kernelINS0_14default_configENS1_32segmented_reduce_config_selectorIdEEZNS1_21segmented_reduce_implIS3_PKdPdPKldN6hipcub16HIPCUB_304000_NS6detail27convert_result_type_wrapperIS8_S9_N2at6native12_GLOBAL__N_19CustomMinEEEEE10hipError_tPvRmT0_T1_jT2_SQ_T4_T3_P12ihipStream_tbEUlT_E_NS1_11comp_targetILNS1_3genE8ELNS1_11target_archE1030ELNS1_3gpuE2ELNS1_3repE0EEENS1_30default_config_static_selectorELNS0_4arch9wavefront6targetE0EEEvSP_,"axG",@progbits,_ZN7rocprim17ROCPRIM_400000_NS6detail17trampoline_kernelINS0_14default_configENS1_32segmented_reduce_config_selectorIdEEZNS1_21segmented_reduce_implIS3_PKdPdPKldN6hipcub16HIPCUB_304000_NS6detail27convert_result_type_wrapperIS8_S9_N2at6native12_GLOBAL__N_19CustomMinEEEEE10hipError_tPvRmT0_T1_jT2_SQ_T4_T3_P12ihipStream_tbEUlT_E_NS1_11comp_targetILNS1_3genE8ELNS1_11target_archE1030ELNS1_3gpuE2ELNS1_3repE0EEENS1_30default_config_static_selectorELNS0_4arch9wavefront6targetE0EEEvSP_,comdat
.Lfunc_end169:
	.size	_ZN7rocprim17ROCPRIM_400000_NS6detail17trampoline_kernelINS0_14default_configENS1_32segmented_reduce_config_selectorIdEEZNS1_21segmented_reduce_implIS3_PKdPdPKldN6hipcub16HIPCUB_304000_NS6detail27convert_result_type_wrapperIS8_S9_N2at6native12_GLOBAL__N_19CustomMinEEEEE10hipError_tPvRmT0_T1_jT2_SQ_T4_T3_P12ihipStream_tbEUlT_E_NS1_11comp_targetILNS1_3genE8ELNS1_11target_archE1030ELNS1_3gpuE2ELNS1_3repE0EEENS1_30default_config_static_selectorELNS0_4arch9wavefront6targetE0EEEvSP_, .Lfunc_end169-_ZN7rocprim17ROCPRIM_400000_NS6detail17trampoline_kernelINS0_14default_configENS1_32segmented_reduce_config_selectorIdEEZNS1_21segmented_reduce_implIS3_PKdPdPKldN6hipcub16HIPCUB_304000_NS6detail27convert_result_type_wrapperIS8_S9_N2at6native12_GLOBAL__N_19CustomMinEEEEE10hipError_tPvRmT0_T1_jT2_SQ_T4_T3_P12ihipStream_tbEUlT_E_NS1_11comp_targetILNS1_3genE8ELNS1_11target_archE1030ELNS1_3gpuE2ELNS1_3repE0EEENS1_30default_config_static_selectorELNS0_4arch9wavefront6targetE0EEEvSP_
                                        ; -- End function
	.set _ZN7rocprim17ROCPRIM_400000_NS6detail17trampoline_kernelINS0_14default_configENS1_32segmented_reduce_config_selectorIdEEZNS1_21segmented_reduce_implIS3_PKdPdPKldN6hipcub16HIPCUB_304000_NS6detail27convert_result_type_wrapperIS8_S9_N2at6native12_GLOBAL__N_19CustomMinEEEEE10hipError_tPvRmT0_T1_jT2_SQ_T4_T3_P12ihipStream_tbEUlT_E_NS1_11comp_targetILNS1_3genE8ELNS1_11target_archE1030ELNS1_3gpuE2ELNS1_3repE0EEENS1_30default_config_static_selectorELNS0_4arch9wavefront6targetE0EEEvSP_.num_vgpr, 0
	.set _ZN7rocprim17ROCPRIM_400000_NS6detail17trampoline_kernelINS0_14default_configENS1_32segmented_reduce_config_selectorIdEEZNS1_21segmented_reduce_implIS3_PKdPdPKldN6hipcub16HIPCUB_304000_NS6detail27convert_result_type_wrapperIS8_S9_N2at6native12_GLOBAL__N_19CustomMinEEEEE10hipError_tPvRmT0_T1_jT2_SQ_T4_T3_P12ihipStream_tbEUlT_E_NS1_11comp_targetILNS1_3genE8ELNS1_11target_archE1030ELNS1_3gpuE2ELNS1_3repE0EEENS1_30default_config_static_selectorELNS0_4arch9wavefront6targetE0EEEvSP_.num_agpr, 0
	.set _ZN7rocprim17ROCPRIM_400000_NS6detail17trampoline_kernelINS0_14default_configENS1_32segmented_reduce_config_selectorIdEEZNS1_21segmented_reduce_implIS3_PKdPdPKldN6hipcub16HIPCUB_304000_NS6detail27convert_result_type_wrapperIS8_S9_N2at6native12_GLOBAL__N_19CustomMinEEEEE10hipError_tPvRmT0_T1_jT2_SQ_T4_T3_P12ihipStream_tbEUlT_E_NS1_11comp_targetILNS1_3genE8ELNS1_11target_archE1030ELNS1_3gpuE2ELNS1_3repE0EEENS1_30default_config_static_selectorELNS0_4arch9wavefront6targetE0EEEvSP_.numbered_sgpr, 0
	.set _ZN7rocprim17ROCPRIM_400000_NS6detail17trampoline_kernelINS0_14default_configENS1_32segmented_reduce_config_selectorIdEEZNS1_21segmented_reduce_implIS3_PKdPdPKldN6hipcub16HIPCUB_304000_NS6detail27convert_result_type_wrapperIS8_S9_N2at6native12_GLOBAL__N_19CustomMinEEEEE10hipError_tPvRmT0_T1_jT2_SQ_T4_T3_P12ihipStream_tbEUlT_E_NS1_11comp_targetILNS1_3genE8ELNS1_11target_archE1030ELNS1_3gpuE2ELNS1_3repE0EEENS1_30default_config_static_selectorELNS0_4arch9wavefront6targetE0EEEvSP_.num_named_barrier, 0
	.set _ZN7rocprim17ROCPRIM_400000_NS6detail17trampoline_kernelINS0_14default_configENS1_32segmented_reduce_config_selectorIdEEZNS1_21segmented_reduce_implIS3_PKdPdPKldN6hipcub16HIPCUB_304000_NS6detail27convert_result_type_wrapperIS8_S9_N2at6native12_GLOBAL__N_19CustomMinEEEEE10hipError_tPvRmT0_T1_jT2_SQ_T4_T3_P12ihipStream_tbEUlT_E_NS1_11comp_targetILNS1_3genE8ELNS1_11target_archE1030ELNS1_3gpuE2ELNS1_3repE0EEENS1_30default_config_static_selectorELNS0_4arch9wavefront6targetE0EEEvSP_.private_seg_size, 0
	.set _ZN7rocprim17ROCPRIM_400000_NS6detail17trampoline_kernelINS0_14default_configENS1_32segmented_reduce_config_selectorIdEEZNS1_21segmented_reduce_implIS3_PKdPdPKldN6hipcub16HIPCUB_304000_NS6detail27convert_result_type_wrapperIS8_S9_N2at6native12_GLOBAL__N_19CustomMinEEEEE10hipError_tPvRmT0_T1_jT2_SQ_T4_T3_P12ihipStream_tbEUlT_E_NS1_11comp_targetILNS1_3genE8ELNS1_11target_archE1030ELNS1_3gpuE2ELNS1_3repE0EEENS1_30default_config_static_selectorELNS0_4arch9wavefront6targetE0EEEvSP_.uses_vcc, 0
	.set _ZN7rocprim17ROCPRIM_400000_NS6detail17trampoline_kernelINS0_14default_configENS1_32segmented_reduce_config_selectorIdEEZNS1_21segmented_reduce_implIS3_PKdPdPKldN6hipcub16HIPCUB_304000_NS6detail27convert_result_type_wrapperIS8_S9_N2at6native12_GLOBAL__N_19CustomMinEEEEE10hipError_tPvRmT0_T1_jT2_SQ_T4_T3_P12ihipStream_tbEUlT_E_NS1_11comp_targetILNS1_3genE8ELNS1_11target_archE1030ELNS1_3gpuE2ELNS1_3repE0EEENS1_30default_config_static_selectorELNS0_4arch9wavefront6targetE0EEEvSP_.uses_flat_scratch, 0
	.set _ZN7rocprim17ROCPRIM_400000_NS6detail17trampoline_kernelINS0_14default_configENS1_32segmented_reduce_config_selectorIdEEZNS1_21segmented_reduce_implIS3_PKdPdPKldN6hipcub16HIPCUB_304000_NS6detail27convert_result_type_wrapperIS8_S9_N2at6native12_GLOBAL__N_19CustomMinEEEEE10hipError_tPvRmT0_T1_jT2_SQ_T4_T3_P12ihipStream_tbEUlT_E_NS1_11comp_targetILNS1_3genE8ELNS1_11target_archE1030ELNS1_3gpuE2ELNS1_3repE0EEENS1_30default_config_static_selectorELNS0_4arch9wavefront6targetE0EEEvSP_.has_dyn_sized_stack, 0
	.set _ZN7rocprim17ROCPRIM_400000_NS6detail17trampoline_kernelINS0_14default_configENS1_32segmented_reduce_config_selectorIdEEZNS1_21segmented_reduce_implIS3_PKdPdPKldN6hipcub16HIPCUB_304000_NS6detail27convert_result_type_wrapperIS8_S9_N2at6native12_GLOBAL__N_19CustomMinEEEEE10hipError_tPvRmT0_T1_jT2_SQ_T4_T3_P12ihipStream_tbEUlT_E_NS1_11comp_targetILNS1_3genE8ELNS1_11target_archE1030ELNS1_3gpuE2ELNS1_3repE0EEENS1_30default_config_static_selectorELNS0_4arch9wavefront6targetE0EEEvSP_.has_recursion, 0
	.set _ZN7rocprim17ROCPRIM_400000_NS6detail17trampoline_kernelINS0_14default_configENS1_32segmented_reduce_config_selectorIdEEZNS1_21segmented_reduce_implIS3_PKdPdPKldN6hipcub16HIPCUB_304000_NS6detail27convert_result_type_wrapperIS8_S9_N2at6native12_GLOBAL__N_19CustomMinEEEEE10hipError_tPvRmT0_T1_jT2_SQ_T4_T3_P12ihipStream_tbEUlT_E_NS1_11comp_targetILNS1_3genE8ELNS1_11target_archE1030ELNS1_3gpuE2ELNS1_3repE0EEENS1_30default_config_static_selectorELNS0_4arch9wavefront6targetE0EEEvSP_.has_indirect_call, 0
	.section	.AMDGPU.csdata,"",@progbits
; Kernel info:
; codeLenInByte = 0
; TotalNumSgprs: 0
; NumVgprs: 0
; ScratchSize: 0
; MemoryBound: 0
; FloatMode: 240
; IeeeMode: 1
; LDSByteSize: 0 bytes/workgroup (compile time only)
; SGPRBlocks: 0
; VGPRBlocks: 0
; NumSGPRsForWavesPerEU: 1
; NumVGPRsForWavesPerEU: 1
; NamedBarCnt: 0
; Occupancy: 16
; WaveLimiterHint : 0
; COMPUTE_PGM_RSRC2:SCRATCH_EN: 0
; COMPUTE_PGM_RSRC2:USER_SGPR: 2
; COMPUTE_PGM_RSRC2:TRAP_HANDLER: 0
; COMPUTE_PGM_RSRC2:TGID_X_EN: 1
; COMPUTE_PGM_RSRC2:TGID_Y_EN: 0
; COMPUTE_PGM_RSRC2:TGID_Z_EN: 0
; COMPUTE_PGM_RSRC2:TIDIG_COMP_CNT: 0
	.section	.text._ZN7rocprim17ROCPRIM_400000_NS6detail17trampoline_kernelINS0_14default_configENS1_32segmented_reduce_config_selectorIdEEZNS1_21segmented_reduce_implIS3_PKdPdPKldN6hipcub16HIPCUB_304000_NS6detail27convert_result_type_wrapperIS8_S9_N2at6native12_GLOBAL__N_110CustomProdEEEEE10hipError_tPvRmT0_T1_jT2_SQ_T4_T3_P12ihipStream_tbEUlT_E_NS1_11comp_targetILNS1_3genE0ELNS1_11target_archE4294967295ELNS1_3gpuE0ELNS1_3repE0EEENS1_30default_config_static_selectorELNS0_4arch9wavefront6targetE0EEEvSP_,"axG",@progbits,_ZN7rocprim17ROCPRIM_400000_NS6detail17trampoline_kernelINS0_14default_configENS1_32segmented_reduce_config_selectorIdEEZNS1_21segmented_reduce_implIS3_PKdPdPKldN6hipcub16HIPCUB_304000_NS6detail27convert_result_type_wrapperIS8_S9_N2at6native12_GLOBAL__N_110CustomProdEEEEE10hipError_tPvRmT0_T1_jT2_SQ_T4_T3_P12ihipStream_tbEUlT_E_NS1_11comp_targetILNS1_3genE0ELNS1_11target_archE4294967295ELNS1_3gpuE0ELNS1_3repE0EEENS1_30default_config_static_selectorELNS0_4arch9wavefront6targetE0EEEvSP_,comdat
	.globl	_ZN7rocprim17ROCPRIM_400000_NS6detail17trampoline_kernelINS0_14default_configENS1_32segmented_reduce_config_selectorIdEEZNS1_21segmented_reduce_implIS3_PKdPdPKldN6hipcub16HIPCUB_304000_NS6detail27convert_result_type_wrapperIS8_S9_N2at6native12_GLOBAL__N_110CustomProdEEEEE10hipError_tPvRmT0_T1_jT2_SQ_T4_T3_P12ihipStream_tbEUlT_E_NS1_11comp_targetILNS1_3genE0ELNS1_11target_archE4294967295ELNS1_3gpuE0ELNS1_3repE0EEENS1_30default_config_static_selectorELNS0_4arch9wavefront6targetE0EEEvSP_ ; -- Begin function _ZN7rocprim17ROCPRIM_400000_NS6detail17trampoline_kernelINS0_14default_configENS1_32segmented_reduce_config_selectorIdEEZNS1_21segmented_reduce_implIS3_PKdPdPKldN6hipcub16HIPCUB_304000_NS6detail27convert_result_type_wrapperIS8_S9_N2at6native12_GLOBAL__N_110CustomProdEEEEE10hipError_tPvRmT0_T1_jT2_SQ_T4_T3_P12ihipStream_tbEUlT_E_NS1_11comp_targetILNS1_3genE0ELNS1_11target_archE4294967295ELNS1_3gpuE0ELNS1_3repE0EEENS1_30default_config_static_selectorELNS0_4arch9wavefront6targetE0EEEvSP_
	.p2align	8
	.type	_ZN7rocprim17ROCPRIM_400000_NS6detail17trampoline_kernelINS0_14default_configENS1_32segmented_reduce_config_selectorIdEEZNS1_21segmented_reduce_implIS3_PKdPdPKldN6hipcub16HIPCUB_304000_NS6detail27convert_result_type_wrapperIS8_S9_N2at6native12_GLOBAL__N_110CustomProdEEEEE10hipError_tPvRmT0_T1_jT2_SQ_T4_T3_P12ihipStream_tbEUlT_E_NS1_11comp_targetILNS1_3genE0ELNS1_11target_archE4294967295ELNS1_3gpuE0ELNS1_3repE0EEENS1_30default_config_static_selectorELNS0_4arch9wavefront6targetE0EEEvSP_,@function
_ZN7rocprim17ROCPRIM_400000_NS6detail17trampoline_kernelINS0_14default_configENS1_32segmented_reduce_config_selectorIdEEZNS1_21segmented_reduce_implIS3_PKdPdPKldN6hipcub16HIPCUB_304000_NS6detail27convert_result_type_wrapperIS8_S9_N2at6native12_GLOBAL__N_110CustomProdEEEEE10hipError_tPvRmT0_T1_jT2_SQ_T4_T3_P12ihipStream_tbEUlT_E_NS1_11comp_targetILNS1_3genE0ELNS1_11target_archE4294967295ELNS1_3gpuE0ELNS1_3repE0EEENS1_30default_config_static_selectorELNS0_4arch9wavefront6targetE0EEEvSP_: ; @_ZN7rocprim17ROCPRIM_400000_NS6detail17trampoline_kernelINS0_14default_configENS1_32segmented_reduce_config_selectorIdEEZNS1_21segmented_reduce_implIS3_PKdPdPKldN6hipcub16HIPCUB_304000_NS6detail27convert_result_type_wrapperIS8_S9_N2at6native12_GLOBAL__N_110CustomProdEEEEE10hipError_tPvRmT0_T1_jT2_SQ_T4_T3_P12ihipStream_tbEUlT_E_NS1_11comp_targetILNS1_3genE0ELNS1_11target_archE4294967295ELNS1_3gpuE0ELNS1_3repE0EEENS1_30default_config_static_selectorELNS0_4arch9wavefront6targetE0EEEvSP_
; %bb.0:
	s_clause 0x1
	s_load_b256 s[8:15], s[0:1], 0x0
	s_load_b64 s[2:3], s[0:1], 0x20
	s_bfe_u32 s4, ttmp6, 0x4000c
	s_and_b32 s5, ttmp6, 15
	s_add_co_i32 s4, s4, 1
	s_getreg_b32 s6, hwreg(HW_REG_IB_STS2, 6, 4)
	s_mul_i32 s4, ttmp9, s4
	s_load_b64 s[18:19], s[0:1], 0x30
	s_add_co_i32 s5, s5, s4
	s_mov_b32 s7, 0
	s_wait_kmcnt 0x0
	s_lshl_b64 s[16:17], s[12:13], 3
	s_cmp_eq_u32 s6, 0
	s_add_nc_u64 s[0:1], s[14:15], s[16:17]
	s_cselect_b32 s12, ttmp9, s5
	s_add_nc_u64 s[2:3], s[2:3], s[16:17]
	s_load_b64 s[20:21], s[0:1], s12 offset:0x0 scale_offset
	s_load_b64 s[14:15], s[2:3], s12 offset:0x0 scale_offset
	s_mov_b32 s13, 0
	s_wait_xcnt 0x0
	s_mov_b32 s1, -1
	s_wait_kmcnt 0x0
	v_cmp_gt_i64_e64 s0, s[14:15], s[20:21]
	s_and_b32 vcc_lo, exec_lo, s0
	v_cmp_eq_u32_e64 s0, 0, v0
	s_cbranch_vccnz .LBB170_2
; %bb.1:
	s_mov_b32 s1, 0
	s_and_b32 s7, s0, exec_lo
.LBB170_2:
	s_and_not1_b32 vcc_lo, exec_lo, s1
	s_cbranch_vccnz .LBB170_28
; %bb.3:
	s_add_nc_u64 s[0:1], s[20:21], 0x800
	s_delay_alu instid0(SALU_CYCLE_1)
	v_cmp_le_i64_e64 s2, s[0:1], s[14:15]
	s_and_b32 vcc_lo, exec_lo, s2
	s_cbranch_vccz .LBB170_29
; %bb.4:
	s_lshl_b64 s[2:3], s[20:21], 3
	s_add_nc_u64 s[4:5], s[20:21], 0x1000
	s_add_nc_u64 s[2:3], s[8:9], s[2:3]
	v_cmp_ge_i64_e64 s4, s[4:5], s[14:15]
	s_clause 0x7
	global_load_b64 v[16:17], v0, s[2:3] scale_offset
	global_load_b64 v[14:15], v0, s[2:3] offset:2048 scale_offset
	global_load_b64 v[12:13], v0, s[2:3] offset:4096 scale_offset
	;; [unrolled: 1-line block ×7, first 2 shown]
	v_mov_b32_e32 v21, 0
	s_and_b32 vcc_lo, exec_lo, s4
	s_wait_loadcnt 0x6
	v_mul_f64_e32 v[18:19], v[16:17], v[14:15]
	s_wait_loadcnt 0x5
	s_delay_alu instid0(VALU_DEP_1) | instskip(SKIP_1) | instid1(VALU_DEP_1)
	v_mul_f64_e32 v[18:19], v[18:19], v[12:13]
	s_wait_loadcnt 0x4
	v_mul_f64_e32 v[18:19], v[18:19], v[10:11]
	s_wait_loadcnt 0x3
	s_delay_alu instid0(VALU_DEP_1) | instskip(SKIP_1) | instid1(VALU_DEP_1)
	v_mul_f64_e32 v[18:19], v[18:19], v[8:9]
	;; [unrolled: 5-line block ×3, first 2 shown]
	s_wait_loadcnt 0x0
	v_mul_f64_e32 v[18:19], v[18:19], v[2:3]
	s_cbranch_vccnz .LBB170_7
; %bb.5:
	v_lshlrev_b32_e32 v20, 3, v0
	s_delay_alu instid0(VALU_DEP_1) | instskip(NEXT) | instid1(VALU_DEP_1)
	v_add_nc_u64_e32 v[2:3], s[2:3], v[20:21]
	v_add_nc_u64_e32 v[20:21], 0x4000, v[2:3]
.LBB170_6:                              ; =>This Inner Loop Header: Depth=1
	s_clause 0x7
	global_load_b64 v[16:17], v[20:21], off
	global_load_b64 v[14:15], v[20:21], off offset:2048
	global_load_b64 v[12:13], v[20:21], off offset:4096
	;; [unrolled: 1-line block ×7, first 2 shown]
	s_add_nc_u64 s[2:3], s[0:1], 0x1000
	s_wait_xcnt 0x0
	v_add_nc_u64_e32 v[20:21], 0x4000, v[20:21]
	v_cmp_lt_i64_e64 s2, s[2:3], s[14:15]
	s_add_nc_u64 s[0:1], s[0:1], 0x800
	s_and_b32 vcc_lo, exec_lo, s2
	s_wait_loadcnt 0x7
	v_mul_f64_e32 v[18:19], v[18:19], v[16:17]
	s_wait_loadcnt 0x6
	s_delay_alu instid0(VALU_DEP_1) | instskip(SKIP_1) | instid1(VALU_DEP_1)
	v_mul_f64_e32 v[18:19], v[18:19], v[14:15]
	s_wait_loadcnt 0x5
	v_mul_f64_e32 v[18:19], v[18:19], v[12:13]
	s_wait_loadcnt 0x4
	s_delay_alu instid0(VALU_DEP_1) | instskip(SKIP_1) | instid1(VALU_DEP_1)
	v_mul_f64_e32 v[18:19], v[18:19], v[10:11]
	;; [unrolled: 5-line block ×3, first 2 shown]
	s_wait_loadcnt 0x1
	v_mul_f64_e32 v[18:19], v[18:19], v[4:5]
	s_wait_loadcnt 0x0
	s_delay_alu instid0(VALU_DEP_1)
	v_mul_f64_e32 v[18:19], v[18:19], v[2:3]
	s_cbranch_vccnz .LBB170_6
.LBB170_7:
	s_sub_co_i32 s6, s14, s0
	s_lshl_b64 s[0:1], s[0:1], 3
	v_cmp_gt_u32_e32 vcc_lo, s6, v0
	s_add_nc_u64 s[22:23], s[8:9], s[0:1]
	s_and_saveexec_b32 s0, vcc_lo
	s_cbranch_execz .LBB170_9
; %bb.8:
	global_load_b64 v[16:17], v0, s[22:23] scale_offset
.LBB170_9:
	s_wait_xcnt 0x0
	s_or_b32 exec_lo, exec_lo, s0
	v_or_b32_e32 v1, 0x100, v0
	s_delay_alu instid0(VALU_DEP_1)
	v_cmp_gt_u32_e64 s0, s6, v1
	s_and_saveexec_b32 s1, s0
	s_cbranch_execz .LBB170_11
; %bb.10:
	global_load_b64 v[14:15], v0, s[22:23] offset:2048 scale_offset
.LBB170_11:
	s_wait_xcnt 0x0
	s_or_b32 exec_lo, exec_lo, s1
	v_or_b32_e32 v1, 0x200, v0
	s_delay_alu instid0(VALU_DEP_1)
	v_cmp_gt_u32_e64 s1, s6, v1
	s_and_saveexec_b32 s2, s1
	s_cbranch_execz .LBB170_13
; %bb.12:
	global_load_b64 v[12:13], v0, s[22:23] offset:4096 scale_offset
.LBB170_13:
	;; [unrolled: 10-line block ×7, first 2 shown]
	s_wait_xcnt 0x0
	s_or_b32 exec_lo, exec_lo, s24
	s_wait_loadcnt 0x0
	v_dual_mul_f64 v[16:17], v[18:19], v[16:17] :: v_dual_mov_b32 v1, 0
	s_delay_alu instid0(VALU_DEP_1) | instskip(NEXT) | instid1(VALU_DEP_1)
	v_dual_cndmask_b32 v17, v19, v17 :: v_dual_cndmask_b32 v16, v18, v16
	v_mul_f64_e32 v[14:15], v[14:15], v[16:17]
	s_delay_alu instid0(VALU_DEP_1) | instskip(SKIP_1) | instid1(VALU_DEP_1)
	v_dual_cndmask_b32 v15, v17, v15, s0 :: v_dual_cndmask_b32 v14, v16, v14, s0
	s_mov_b32 s0, exec_lo
	v_mul_f64_e32 v[12:13], v[12:13], v[14:15]
	s_delay_alu instid0(VALU_DEP_1) | instskip(NEXT) | instid1(VALU_DEP_1)
	v_dual_cndmask_b32 v13, v15, v13, s1 :: v_dual_cndmask_b32 v12, v14, v12, s1
	v_mul_f64_e32 v[10:11], v[10:11], v[12:13]
	s_delay_alu instid0(VALU_DEP_1) | instskip(NEXT) | instid1(VALU_DEP_1)
	v_dual_cndmask_b32 v11, v13, v11, s2 :: v_dual_cndmask_b32 v10, v12, v10, s2
	;; [unrolled: 3-line block ×6, first 2 shown]
	v_mov_b32_dpp v5, v3 quad_perm:[1,0,3,2] row_mask:0xf bank_mask:0xf
	s_delay_alu instid0(VALU_DEP_2) | instskip(NEXT) | instid1(VALU_DEP_1)
	v_mov_b32_dpp v4, v2 quad_perm:[1,0,3,2] row_mask:0xf bank_mask:0xf
	v_mul_f64_e32 v[2:3], v[2:3], v[4:5]
	s_delay_alu instid0(VALU_DEP_1) | instskip(NEXT) | instid1(VALU_DEP_2)
	v_mov_b32_dpp v4, v2 quad_perm:[2,3,0,1] row_mask:0xf bank_mask:0xf
	v_mov_b32_dpp v5, v3 quad_perm:[2,3,0,1] row_mask:0xf bank_mask:0xf
	s_delay_alu instid0(VALU_DEP_1) | instskip(NEXT) | instid1(VALU_DEP_1)
	v_mul_f64_e32 v[2:3], v[2:3], v[4:5]
	v_mov_b32_dpp v4, v2 row_ror:4 row_mask:0xf bank_mask:0xf
	s_delay_alu instid0(VALU_DEP_2) | instskip(NEXT) | instid1(VALU_DEP_1)
	v_mov_b32_dpp v5, v3 row_ror:4 row_mask:0xf bank_mask:0xf
	v_mul_f64_e32 v[2:3], v[2:3], v[4:5]
	s_delay_alu instid0(VALU_DEP_1) | instskip(NEXT) | instid1(VALU_DEP_2)
	v_mov_b32_dpp v4, v2 row_ror:8 row_mask:0xf bank_mask:0xf
	v_mov_b32_dpp v5, v3 row_ror:8 row_mask:0xf bank_mask:0xf
	s_delay_alu instid0(VALU_DEP_1)
	v_mul_f64_e32 v[2:3], v[2:3], v[4:5]
	ds_swizzle_b32 v4, v2 offset:swizzle(BROADCAST,32,15)
	ds_swizzle_b32 v5, v3 offset:swizzle(BROADCAST,32,15)
	s_wait_dscnt 0x0
	v_mul_f64_e32 v[2:3], v[2:3], v[4:5]
	ds_bpermute_b32 v2, v1, v2 offset:124
	ds_bpermute_b32 v3, v1, v3 offset:124
	v_mbcnt_lo_u32_b32 v1, -1, 0
	s_delay_alu instid0(VALU_DEP_1)
	v_cmpx_eq_u32_e32 0, v1
	s_cbranch_execz .LBB170_25
; %bb.24:
	v_lshrrev_b32_e32 v4, 2, v0
	s_delay_alu instid0(VALU_DEP_1)
	v_and_b32_e32 v4, 56, v4
	s_wait_dscnt 0x0
	ds_store_b64 v4, v[2:3]
.LBB170_25:
	s_or_b32 exec_lo, exec_lo, s0
	s_delay_alu instid0(SALU_CYCLE_1)
	s_mov_b32 s0, exec_lo
	s_wait_dscnt 0x0
	s_barrier_signal -1
	s_barrier_wait -1
	v_cmpx_gt_u32_e32 32, v0
	s_cbranch_execz .LBB170_27
; %bb.26:
	v_and_b32_e32 v6, 7, v1
	s_delay_alu instid0(VALU_DEP_1) | instskip(SKIP_1) | instid1(VALU_DEP_1)
	v_cmp_ne_u32_e32 vcc_lo, 7, v6
	v_add_co_ci_u32_e64 v4, null, 0, v1, vcc_lo
	v_dual_lshlrev_b32 v5, 2, v4 :: v_dual_lshlrev_b32 v2, 3, v6
	v_cmp_gt_u32_e32 vcc_lo, 6, v6
	ds_load_b64 v[2:3], v2
	s_wait_dscnt 0x0
	ds_bpermute_b32 v4, v5, v2
	ds_bpermute_b32 v5, v5, v3
	s_wait_dscnt 0x0
	v_mul_f64_e32 v[2:3], v[2:3], v[4:5]
	v_cndmask_b32_e64 v4, 0, 2, vcc_lo
	s_delay_alu instid0(VALU_DEP_1) | instskip(SKIP_1) | instid1(VALU_DEP_1)
	v_add_lshl_u32 v5, v4, v1, 2
	v_lshlrev_b32_e32 v1, 2, v1
	v_or_b32_e32 v1, 16, v1
	ds_bpermute_b32 v4, v5, v2
	ds_bpermute_b32 v5, v5, v3
	s_wait_dscnt 0x0
	v_mul_f64_e32 v[2:3], v[2:3], v[4:5]
	ds_bpermute_b32 v4, v1, v2
	ds_bpermute_b32 v5, v1, v3
	s_wait_dscnt 0x0
	v_mul_f64_e32 v[2:3], v[2:3], v[4:5]
.LBB170_27:
	s_or_b32 exec_lo, exec_lo, s0
	s_branch .LBB170_64
.LBB170_28:
	v_mov_b64_e32 v[4:5], s[18:19]
	s_and_saveexec_b32 s0, s7
	s_cbranch_execnz .LBB170_67
	s_branch .LBB170_68
.LBB170_29:
                                        ; implicit-def: $vgpr2_vgpr3
	s_cbranch_execz .LBB170_64
; %bb.30:
	s_sub_co_i32 s0, s14, s20
	s_mov_b32 s1, exec_lo
                                        ; implicit-def: $vgpr4_vgpr5
	v_cmpx_gt_u32_e64 s0, v0
	s_cbranch_execz .LBB170_36
; %bb.31:
	v_mov_b32_e32 v1, 0
	s_mov_b32 s2, exec_lo
	s_delay_alu instid0(VALU_DEP_1) | instskip(NEXT) | instid1(VALU_DEP_1)
	v_add_nc_u64_e32 v[2:3], s[20:21], v[0:1]
	v_lshl_add_u64 v[6:7], v[2:3], 3, s[8:9]
	v_add_nc_u64_e32 v[2:3], 0x100, v[2:3]
	global_load_b64 v[4:5], v[6:7], off
	s_wait_xcnt 0x0
	v_cmpx_gt_i64_e64 s[14:15], v[2:3]
	s_cbranch_execz .LBB170_35
; %bb.32:
	v_add_nc_u64_e32 v[6:7], 0x800, v[6:7]
	s_mov_b32 s3, 0
.LBB170_33:                             ; =>This Inner Loop Header: Depth=1
	global_load_b64 v[8:9], v[6:7], off
	v_add_nc_u64_e32 v[2:3], 0x100, v[2:3]
	s_wait_xcnt 0x0
	v_add_nc_u64_e32 v[6:7], 0x800, v[6:7]
	s_delay_alu instid0(VALU_DEP_2)
	v_cmp_le_i64_e32 vcc_lo, s[14:15], v[2:3]
	s_or_b32 s3, vcc_lo, s3
	s_wait_loadcnt 0x0
	v_mul_f64_e32 v[4:5], v[4:5], v[8:9]
	s_and_not1_b32 exec_lo, exec_lo, s3
	s_cbranch_execnz .LBB170_33
; %bb.34:
	s_or_b32 exec_lo, exec_lo, s3
.LBB170_35:
	s_delay_alu instid0(SALU_CYCLE_1)
	s_or_b32 exec_lo, exec_lo, s2
.LBB170_36:
	s_delay_alu instid0(SALU_CYCLE_1)
	s_or_b32 exec_lo, exec_lo, s1
	v_mbcnt_lo_u32_b32 v1, -1, 0
	s_cmp_lt_u32 s0, 0x100
	s_cbranch_scc0 .LBB170_58
; %bb.37:
	s_delay_alu instid0(VALU_DEP_1) | instskip(SKIP_1) | instid1(VALU_DEP_3)
	v_cmp_ne_u32_e32 vcc_lo, 31, v1
	s_wait_loadcnt 0x0
	v_dual_mov_b32 v10, v5 :: v_dual_mov_b32 v11, v4
	v_add_co_ci_u32_e64 v2, null, 0, v1, vcc_lo
	s_delay_alu instid0(VALU_DEP_1) | instskip(SKIP_3) | instid1(VALU_DEP_1)
	v_lshlrev_b32_e32 v2, 2, v2
	ds_bpermute_b32 v6, v2, v4
	ds_bpermute_b32 v7, v2, v5
	v_and_b32_e32 v2, 0xe0, v0
	v_sub_nc_u32_e64 v8, s0, v2 clamp
	v_add_nc_u32_e32 v2, 1, v1
	s_delay_alu instid0(VALU_DEP_1)
	v_cmp_lt_u32_e32 vcc_lo, v2, v8
	v_mov_b64_e32 v[2:3], v[4:5]
	s_and_saveexec_b32 s1, vcc_lo
	s_cbranch_execz .LBB170_39
; %bb.38:
	s_wait_dscnt 0x0
	v_mul_f64_e32 v[2:3], v[4:5], v[6:7]
	s_delay_alu instid0(VALU_DEP_1)
	v_dual_mov_b32 v10, v3 :: v_dual_mov_b32 v11, v2
.LBB170_39:
	s_or_b32 exec_lo, exec_lo, s1
	v_cmp_gt_u32_e32 vcc_lo, 30, v1
	v_add_nc_u32_e32 v9, 2, v1
	s_mov_b32 s1, exec_lo
	s_wait_dscnt 0x1
	v_cndmask_b32_e64 v6, 0, 2, vcc_lo
	s_wait_dscnt 0x0
	s_delay_alu instid0(VALU_DEP_1)
	v_add_lshl_u32 v7, v6, v1, 2
	ds_bpermute_b32 v6, v7, v11
	ds_bpermute_b32 v7, v7, v10
	v_cmpx_lt_u32_e64 v9, v8
	s_cbranch_execz .LBB170_41
; %bb.40:
	s_wait_dscnt 0x0
	v_mul_f64_e32 v[2:3], v[2:3], v[6:7]
	s_delay_alu instid0(VALU_DEP_1)
	v_dual_mov_b32 v10, v3 :: v_dual_mov_b32 v11, v2
.LBB170_41:
	s_or_b32 exec_lo, exec_lo, s1
	v_cmp_gt_u32_e32 vcc_lo, 28, v1
	v_add_nc_u32_e32 v9, 4, v1
	s_mov_b32 s1, exec_lo
	s_wait_dscnt 0x1
	v_cndmask_b32_e64 v6, 0, 4, vcc_lo
	s_wait_dscnt 0x0
	s_delay_alu instid0(VALU_DEP_1)
	v_add_lshl_u32 v7, v6, v1, 2
	ds_bpermute_b32 v6, v7, v11
	ds_bpermute_b32 v7, v7, v10
	v_cmpx_lt_u32_e64 v9, v8
	;; [unrolled: 19-line block ×3, first 2 shown]
	s_cbranch_execz .LBB170_45
; %bb.44:
	s_wait_dscnt 0x0
	v_mul_f64_e32 v[2:3], v[2:3], v[6:7]
	s_delay_alu instid0(VALU_DEP_1)
	v_dual_mov_b32 v10, v3 :: v_dual_mov_b32 v11, v2
.LBB170_45:
	s_or_b32 exec_lo, exec_lo, s1
	v_lshlrev_b32_e32 v9, 2, v1
	s_mov_b32 s1, exec_lo
	s_wait_dscnt 0x0
	s_delay_alu instid0(VALU_DEP_1) | instskip(SKIP_3) | instid1(VALU_DEP_1)
	v_or_b32_e32 v7, 64, v9
	ds_bpermute_b32 v6, v7, v11
	ds_bpermute_b32 v7, v7, v10
	v_add_nc_u32_e32 v10, 16, v1
	v_cmpx_lt_u32_e64 v10, v8
	s_cbranch_execz .LBB170_47
; %bb.46:
	s_wait_dscnt 0x0
	v_mul_f64_e32 v[2:3], v[2:3], v[6:7]
.LBB170_47:
	s_or_b32 exec_lo, exec_lo, s1
	s_delay_alu instid0(SALU_CYCLE_1)
	s_mov_b32 s1, exec_lo
	v_cmpx_eq_u32_e32 0, v1
	s_cbranch_execz .LBB170_49
; %bb.48:
	s_wait_dscnt 0x1
	v_lshrrev_b32_e32 v6, 2, v0
	s_delay_alu instid0(VALU_DEP_1)
	v_and_b32_e32 v6, 56, v6
	ds_store_b64 v6, v[2:3]
.LBB170_49:
	s_or_b32 exec_lo, exec_lo, s1
	s_delay_alu instid0(SALU_CYCLE_1)
	s_mov_b32 s1, exec_lo
	s_wait_dscnt 0x0
	s_barrier_signal -1
	s_barrier_wait -1
	v_cmpx_gt_u32_e32 8, v0
	s_cbranch_execz .LBB170_57
; %bb.50:
	v_dual_lshlrev_b32 v2, 3, v1 :: v_dual_bitop2_b32 v8, 7, v1 bitop3:0x40
	s_add_co_i32 s0, s0, 31
	s_mov_b32 s2, exec_lo
	s_lshr_b32 s0, s0, 5
	ds_load_b64 v[2:3], v2
	v_cmp_ne_u32_e32 vcc_lo, 7, v8
	v_add_nc_u32_e32 v10, 1, v8
	v_add_co_ci_u32_e64 v6, null, 0, v1, vcc_lo
	s_delay_alu instid0(VALU_DEP_1)
	v_lshlrev_b32_e32 v7, 2, v6
	s_wait_dscnt 0x0
	ds_bpermute_b32 v6, v7, v2
	ds_bpermute_b32 v7, v7, v3
	v_cmpx_gt_u32_e64 s0, v10
	s_cbranch_execz .LBB170_52
; %bb.51:
	s_wait_dscnt 0x0
	v_mul_f64_e32 v[2:3], v[2:3], v[6:7]
.LBB170_52:
	s_or_b32 exec_lo, exec_lo, s2
	v_cmp_gt_u32_e32 vcc_lo, 6, v8
	v_add_nc_u32_e32 v10, 2, v8
	s_mov_b32 s2, exec_lo
	s_wait_dscnt 0x1
	v_cndmask_b32_e64 v6, 0, 2, vcc_lo
	s_wait_dscnt 0x0
	s_delay_alu instid0(VALU_DEP_1)
	v_add_lshl_u32 v7, v6, v1, 2
	ds_bpermute_b32 v6, v7, v2
	ds_bpermute_b32 v7, v7, v3
	v_cmpx_gt_u32_e64 s0, v10
	s_cbranch_execz .LBB170_54
; %bb.53:
	s_wait_dscnt 0x0
	v_mul_f64_e32 v[2:3], v[2:3], v[6:7]
.LBB170_54:
	s_or_b32 exec_lo, exec_lo, s2
	s_wait_dscnt 0x0
	v_dual_add_nc_u32 v8, 4, v8 :: v_dual_bitop2_b32 v7, 16, v9 bitop3:0x54
	ds_bpermute_b32 v6, v7, v2
	ds_bpermute_b32 v7, v7, v3
	v_cmp_gt_u32_e32 vcc_lo, s0, v8
	s_and_saveexec_b32 s0, vcc_lo
	s_cbranch_execz .LBB170_56
; %bb.55:
	s_wait_dscnt 0x0
	v_mul_f64_e32 v[2:3], v[2:3], v[6:7]
.LBB170_56:
	s_or_b32 exec_lo, exec_lo, s0
.LBB170_57:
	s_delay_alu instid0(SALU_CYCLE_1)
	s_or_b32 exec_lo, exec_lo, s1
	s_branch .LBB170_64
.LBB170_58:
                                        ; implicit-def: $vgpr2_vgpr3
	s_cbranch_execz .LBB170_64
; %bb.59:
	s_wait_loadcnt 0x0
	s_delay_alu instid0(VALU_DEP_2) | instskip(NEXT) | instid1(VALU_DEP_3)
	v_mov_b32_dpp v2, v4 quad_perm:[1,0,3,2] row_mask:0xf bank_mask:0xf
	v_mov_b32_dpp v3, v5 quad_perm:[1,0,3,2] row_mask:0xf bank_mask:0xf
	s_mov_b32 s0, exec_lo
	s_delay_alu instid0(VALU_DEP_1) | instskip(NEXT) | instid1(VALU_DEP_1)
	v_mul_f64_e32 v[2:3], v[4:5], v[2:3]
	v_mov_b32_dpp v4, v2 quad_perm:[2,3,0,1] row_mask:0xf bank_mask:0xf
	s_delay_alu instid0(VALU_DEP_2) | instskip(NEXT) | instid1(VALU_DEP_1)
	v_mov_b32_dpp v5, v3 quad_perm:[2,3,0,1] row_mask:0xf bank_mask:0xf
	v_mul_f64_e32 v[2:3], v[2:3], v[4:5]
	s_delay_alu instid0(VALU_DEP_1) | instskip(NEXT) | instid1(VALU_DEP_2)
	v_mov_b32_dpp v4, v2 row_ror:4 row_mask:0xf bank_mask:0xf
	v_mov_b32_dpp v5, v3 row_ror:4 row_mask:0xf bank_mask:0xf
	s_delay_alu instid0(VALU_DEP_1) | instskip(NEXT) | instid1(VALU_DEP_1)
	v_mul_f64_e32 v[2:3], v[2:3], v[4:5]
	v_mov_b32_dpp v4, v2 row_ror:8 row_mask:0xf bank_mask:0xf
	s_delay_alu instid0(VALU_DEP_2) | instskip(NEXT) | instid1(VALU_DEP_1)
	v_mov_b32_dpp v5, v3 row_ror:8 row_mask:0xf bank_mask:0xf
	v_mul_f64_e32 v[2:3], v[2:3], v[4:5]
	ds_swizzle_b32 v4, v2 offset:swizzle(BROADCAST,32,15)
	ds_swizzle_b32 v5, v3 offset:swizzle(BROADCAST,32,15)
	s_wait_dscnt 0x0
	v_dual_mul_f64 v[2:3], v[2:3], v[4:5] :: v_dual_mov_b32 v4, 0
	ds_bpermute_b32 v2, v4, v2 offset:124
	ds_bpermute_b32 v3, v4, v3 offset:124
	v_cmpx_eq_u32_e32 0, v1
	s_cbranch_execz .LBB170_61
; %bb.60:
	v_lshrrev_b32_e32 v4, 2, v0
	s_delay_alu instid0(VALU_DEP_1)
	v_and_b32_e32 v4, 56, v4
	s_wait_dscnt 0x0
	ds_store_b64 v4, v[2:3]
.LBB170_61:
	s_or_b32 exec_lo, exec_lo, s0
	s_delay_alu instid0(SALU_CYCLE_1)
	s_mov_b32 s0, exec_lo
	s_wait_dscnt 0x0
	s_barrier_signal -1
	s_barrier_wait -1
	v_cmpx_gt_u32_e32 32, v0
	s_cbranch_execz .LBB170_63
; %bb.62:
	v_and_b32_e32 v6, 7, v1
	s_delay_alu instid0(VALU_DEP_1) | instskip(SKIP_1) | instid1(VALU_DEP_1)
	v_cmp_ne_u32_e32 vcc_lo, 7, v6
	v_add_co_ci_u32_e64 v4, null, 0, v1, vcc_lo
	v_dual_lshlrev_b32 v5, 2, v4 :: v_dual_lshlrev_b32 v2, 3, v6
	v_cmp_gt_u32_e32 vcc_lo, 6, v6
	ds_load_b64 v[2:3], v2
	s_wait_dscnt 0x0
	ds_bpermute_b32 v4, v5, v2
	ds_bpermute_b32 v5, v5, v3
	s_wait_dscnt 0x0
	v_mul_f64_e32 v[2:3], v[2:3], v[4:5]
	v_cndmask_b32_e64 v4, 0, 2, vcc_lo
	s_delay_alu instid0(VALU_DEP_1) | instskip(SKIP_1) | instid1(VALU_DEP_1)
	v_add_lshl_u32 v5, v4, v1, 2
	v_lshlrev_b32_e32 v1, 2, v1
	v_or_b32_e32 v1, 16, v1
	ds_bpermute_b32 v4, v5, v2
	ds_bpermute_b32 v5, v5, v3
	s_wait_dscnt 0x0
	v_mul_f64_e32 v[2:3], v[2:3], v[4:5]
	ds_bpermute_b32 v4, v1, v2
	ds_bpermute_b32 v5, v1, v3
	s_wait_dscnt 0x0
	v_mul_f64_e32 v[2:3], v[2:3], v[4:5]
.LBB170_63:
	s_or_b32 exec_lo, exec_lo, s0
.LBB170_64:
	s_delay_alu instid0(SALU_CYCLE_1)
	s_mov_b32 s0, exec_lo
                                        ; implicit-def: $vgpr4_vgpr5
	v_cmpx_eq_u32_e32 0, v0
	s_cbranch_execz .LBB170_66
; %bb.65:
	s_wait_loadcnt 0x0
	s_delay_alu instid0(VALU_DEP_2)
	v_mul_f64_e32 v[4:5], s[18:19], v[2:3]
	s_or_b32 s7, s7, exec_lo
.LBB170_66:
	s_or_b32 exec_lo, exec_lo, s0
	s_and_saveexec_b32 s0, s7
	s_cbranch_execz .LBB170_68
.LBB170_67:
	v_mov_b32_e32 v0, 0
	s_add_nc_u64 s[0:1], s[10:11], s[16:17]
	s_lshl_b64 s[2:3], s[12:13], 3
	s_delay_alu instid0(SALU_CYCLE_1)
	s_add_nc_u64 s[0:1], s[0:1], s[2:3]
	s_wait_loadcnt 0x0
	global_store_b64 v0, v[4:5], s[0:1]
.LBB170_68:
	s_endpgm
	.section	.rodata,"a",@progbits
	.p2align	6, 0x0
	.amdhsa_kernel _ZN7rocprim17ROCPRIM_400000_NS6detail17trampoline_kernelINS0_14default_configENS1_32segmented_reduce_config_selectorIdEEZNS1_21segmented_reduce_implIS3_PKdPdPKldN6hipcub16HIPCUB_304000_NS6detail27convert_result_type_wrapperIS8_S9_N2at6native12_GLOBAL__N_110CustomProdEEEEE10hipError_tPvRmT0_T1_jT2_SQ_T4_T3_P12ihipStream_tbEUlT_E_NS1_11comp_targetILNS1_3genE0ELNS1_11target_archE4294967295ELNS1_3gpuE0ELNS1_3repE0EEENS1_30default_config_static_selectorELNS0_4arch9wavefront6targetE0EEEvSP_
		.amdhsa_group_segment_fixed_size 64
		.amdhsa_private_segment_fixed_size 0
		.amdhsa_kernarg_size 56
		.amdhsa_user_sgpr_count 2
		.amdhsa_user_sgpr_dispatch_ptr 0
		.amdhsa_user_sgpr_queue_ptr 0
		.amdhsa_user_sgpr_kernarg_segment_ptr 1
		.amdhsa_user_sgpr_dispatch_id 0
		.amdhsa_user_sgpr_kernarg_preload_length 0
		.amdhsa_user_sgpr_kernarg_preload_offset 0
		.amdhsa_user_sgpr_private_segment_size 0
		.amdhsa_wavefront_size32 1
		.amdhsa_uses_dynamic_stack 0
		.amdhsa_enable_private_segment 0
		.amdhsa_system_sgpr_workgroup_id_x 1
		.amdhsa_system_sgpr_workgroup_id_y 0
		.amdhsa_system_sgpr_workgroup_id_z 0
		.amdhsa_system_sgpr_workgroup_info 0
		.amdhsa_system_vgpr_workitem_id 0
		.amdhsa_next_free_vgpr 22
		.amdhsa_next_free_sgpr 25
		.amdhsa_named_barrier_count 0
		.amdhsa_reserve_vcc 1
		.amdhsa_float_round_mode_32 0
		.amdhsa_float_round_mode_16_64 0
		.amdhsa_float_denorm_mode_32 3
		.amdhsa_float_denorm_mode_16_64 3
		.amdhsa_fp16_overflow 0
		.amdhsa_memory_ordered 1
		.amdhsa_forward_progress 1
		.amdhsa_inst_pref_size 24
		.amdhsa_round_robin_scheduling 0
		.amdhsa_exception_fp_ieee_invalid_op 0
		.amdhsa_exception_fp_denorm_src 0
		.amdhsa_exception_fp_ieee_div_zero 0
		.amdhsa_exception_fp_ieee_overflow 0
		.amdhsa_exception_fp_ieee_underflow 0
		.amdhsa_exception_fp_ieee_inexact 0
		.amdhsa_exception_int_div_zero 0
	.end_amdhsa_kernel
	.section	.text._ZN7rocprim17ROCPRIM_400000_NS6detail17trampoline_kernelINS0_14default_configENS1_32segmented_reduce_config_selectorIdEEZNS1_21segmented_reduce_implIS3_PKdPdPKldN6hipcub16HIPCUB_304000_NS6detail27convert_result_type_wrapperIS8_S9_N2at6native12_GLOBAL__N_110CustomProdEEEEE10hipError_tPvRmT0_T1_jT2_SQ_T4_T3_P12ihipStream_tbEUlT_E_NS1_11comp_targetILNS1_3genE0ELNS1_11target_archE4294967295ELNS1_3gpuE0ELNS1_3repE0EEENS1_30default_config_static_selectorELNS0_4arch9wavefront6targetE0EEEvSP_,"axG",@progbits,_ZN7rocprim17ROCPRIM_400000_NS6detail17trampoline_kernelINS0_14default_configENS1_32segmented_reduce_config_selectorIdEEZNS1_21segmented_reduce_implIS3_PKdPdPKldN6hipcub16HIPCUB_304000_NS6detail27convert_result_type_wrapperIS8_S9_N2at6native12_GLOBAL__N_110CustomProdEEEEE10hipError_tPvRmT0_T1_jT2_SQ_T4_T3_P12ihipStream_tbEUlT_E_NS1_11comp_targetILNS1_3genE0ELNS1_11target_archE4294967295ELNS1_3gpuE0ELNS1_3repE0EEENS1_30default_config_static_selectorELNS0_4arch9wavefront6targetE0EEEvSP_,comdat
.Lfunc_end170:
	.size	_ZN7rocprim17ROCPRIM_400000_NS6detail17trampoline_kernelINS0_14default_configENS1_32segmented_reduce_config_selectorIdEEZNS1_21segmented_reduce_implIS3_PKdPdPKldN6hipcub16HIPCUB_304000_NS6detail27convert_result_type_wrapperIS8_S9_N2at6native12_GLOBAL__N_110CustomProdEEEEE10hipError_tPvRmT0_T1_jT2_SQ_T4_T3_P12ihipStream_tbEUlT_E_NS1_11comp_targetILNS1_3genE0ELNS1_11target_archE4294967295ELNS1_3gpuE0ELNS1_3repE0EEENS1_30default_config_static_selectorELNS0_4arch9wavefront6targetE0EEEvSP_, .Lfunc_end170-_ZN7rocprim17ROCPRIM_400000_NS6detail17trampoline_kernelINS0_14default_configENS1_32segmented_reduce_config_selectorIdEEZNS1_21segmented_reduce_implIS3_PKdPdPKldN6hipcub16HIPCUB_304000_NS6detail27convert_result_type_wrapperIS8_S9_N2at6native12_GLOBAL__N_110CustomProdEEEEE10hipError_tPvRmT0_T1_jT2_SQ_T4_T3_P12ihipStream_tbEUlT_E_NS1_11comp_targetILNS1_3genE0ELNS1_11target_archE4294967295ELNS1_3gpuE0ELNS1_3repE0EEENS1_30default_config_static_selectorELNS0_4arch9wavefront6targetE0EEEvSP_
                                        ; -- End function
	.set _ZN7rocprim17ROCPRIM_400000_NS6detail17trampoline_kernelINS0_14default_configENS1_32segmented_reduce_config_selectorIdEEZNS1_21segmented_reduce_implIS3_PKdPdPKldN6hipcub16HIPCUB_304000_NS6detail27convert_result_type_wrapperIS8_S9_N2at6native12_GLOBAL__N_110CustomProdEEEEE10hipError_tPvRmT0_T1_jT2_SQ_T4_T3_P12ihipStream_tbEUlT_E_NS1_11comp_targetILNS1_3genE0ELNS1_11target_archE4294967295ELNS1_3gpuE0ELNS1_3repE0EEENS1_30default_config_static_selectorELNS0_4arch9wavefront6targetE0EEEvSP_.num_vgpr, 22
	.set _ZN7rocprim17ROCPRIM_400000_NS6detail17trampoline_kernelINS0_14default_configENS1_32segmented_reduce_config_selectorIdEEZNS1_21segmented_reduce_implIS3_PKdPdPKldN6hipcub16HIPCUB_304000_NS6detail27convert_result_type_wrapperIS8_S9_N2at6native12_GLOBAL__N_110CustomProdEEEEE10hipError_tPvRmT0_T1_jT2_SQ_T4_T3_P12ihipStream_tbEUlT_E_NS1_11comp_targetILNS1_3genE0ELNS1_11target_archE4294967295ELNS1_3gpuE0ELNS1_3repE0EEENS1_30default_config_static_selectorELNS0_4arch9wavefront6targetE0EEEvSP_.num_agpr, 0
	.set _ZN7rocprim17ROCPRIM_400000_NS6detail17trampoline_kernelINS0_14default_configENS1_32segmented_reduce_config_selectorIdEEZNS1_21segmented_reduce_implIS3_PKdPdPKldN6hipcub16HIPCUB_304000_NS6detail27convert_result_type_wrapperIS8_S9_N2at6native12_GLOBAL__N_110CustomProdEEEEE10hipError_tPvRmT0_T1_jT2_SQ_T4_T3_P12ihipStream_tbEUlT_E_NS1_11comp_targetILNS1_3genE0ELNS1_11target_archE4294967295ELNS1_3gpuE0ELNS1_3repE0EEENS1_30default_config_static_selectorELNS0_4arch9wavefront6targetE0EEEvSP_.numbered_sgpr, 25
	.set _ZN7rocprim17ROCPRIM_400000_NS6detail17trampoline_kernelINS0_14default_configENS1_32segmented_reduce_config_selectorIdEEZNS1_21segmented_reduce_implIS3_PKdPdPKldN6hipcub16HIPCUB_304000_NS6detail27convert_result_type_wrapperIS8_S9_N2at6native12_GLOBAL__N_110CustomProdEEEEE10hipError_tPvRmT0_T1_jT2_SQ_T4_T3_P12ihipStream_tbEUlT_E_NS1_11comp_targetILNS1_3genE0ELNS1_11target_archE4294967295ELNS1_3gpuE0ELNS1_3repE0EEENS1_30default_config_static_selectorELNS0_4arch9wavefront6targetE0EEEvSP_.num_named_barrier, 0
	.set _ZN7rocprim17ROCPRIM_400000_NS6detail17trampoline_kernelINS0_14default_configENS1_32segmented_reduce_config_selectorIdEEZNS1_21segmented_reduce_implIS3_PKdPdPKldN6hipcub16HIPCUB_304000_NS6detail27convert_result_type_wrapperIS8_S9_N2at6native12_GLOBAL__N_110CustomProdEEEEE10hipError_tPvRmT0_T1_jT2_SQ_T4_T3_P12ihipStream_tbEUlT_E_NS1_11comp_targetILNS1_3genE0ELNS1_11target_archE4294967295ELNS1_3gpuE0ELNS1_3repE0EEENS1_30default_config_static_selectorELNS0_4arch9wavefront6targetE0EEEvSP_.private_seg_size, 0
	.set _ZN7rocprim17ROCPRIM_400000_NS6detail17trampoline_kernelINS0_14default_configENS1_32segmented_reduce_config_selectorIdEEZNS1_21segmented_reduce_implIS3_PKdPdPKldN6hipcub16HIPCUB_304000_NS6detail27convert_result_type_wrapperIS8_S9_N2at6native12_GLOBAL__N_110CustomProdEEEEE10hipError_tPvRmT0_T1_jT2_SQ_T4_T3_P12ihipStream_tbEUlT_E_NS1_11comp_targetILNS1_3genE0ELNS1_11target_archE4294967295ELNS1_3gpuE0ELNS1_3repE0EEENS1_30default_config_static_selectorELNS0_4arch9wavefront6targetE0EEEvSP_.uses_vcc, 1
	.set _ZN7rocprim17ROCPRIM_400000_NS6detail17trampoline_kernelINS0_14default_configENS1_32segmented_reduce_config_selectorIdEEZNS1_21segmented_reduce_implIS3_PKdPdPKldN6hipcub16HIPCUB_304000_NS6detail27convert_result_type_wrapperIS8_S9_N2at6native12_GLOBAL__N_110CustomProdEEEEE10hipError_tPvRmT0_T1_jT2_SQ_T4_T3_P12ihipStream_tbEUlT_E_NS1_11comp_targetILNS1_3genE0ELNS1_11target_archE4294967295ELNS1_3gpuE0ELNS1_3repE0EEENS1_30default_config_static_selectorELNS0_4arch9wavefront6targetE0EEEvSP_.uses_flat_scratch, 0
	.set _ZN7rocprim17ROCPRIM_400000_NS6detail17trampoline_kernelINS0_14default_configENS1_32segmented_reduce_config_selectorIdEEZNS1_21segmented_reduce_implIS3_PKdPdPKldN6hipcub16HIPCUB_304000_NS6detail27convert_result_type_wrapperIS8_S9_N2at6native12_GLOBAL__N_110CustomProdEEEEE10hipError_tPvRmT0_T1_jT2_SQ_T4_T3_P12ihipStream_tbEUlT_E_NS1_11comp_targetILNS1_3genE0ELNS1_11target_archE4294967295ELNS1_3gpuE0ELNS1_3repE0EEENS1_30default_config_static_selectorELNS0_4arch9wavefront6targetE0EEEvSP_.has_dyn_sized_stack, 0
	.set _ZN7rocprim17ROCPRIM_400000_NS6detail17trampoline_kernelINS0_14default_configENS1_32segmented_reduce_config_selectorIdEEZNS1_21segmented_reduce_implIS3_PKdPdPKldN6hipcub16HIPCUB_304000_NS6detail27convert_result_type_wrapperIS8_S9_N2at6native12_GLOBAL__N_110CustomProdEEEEE10hipError_tPvRmT0_T1_jT2_SQ_T4_T3_P12ihipStream_tbEUlT_E_NS1_11comp_targetILNS1_3genE0ELNS1_11target_archE4294967295ELNS1_3gpuE0ELNS1_3repE0EEENS1_30default_config_static_selectorELNS0_4arch9wavefront6targetE0EEEvSP_.has_recursion, 0
	.set _ZN7rocprim17ROCPRIM_400000_NS6detail17trampoline_kernelINS0_14default_configENS1_32segmented_reduce_config_selectorIdEEZNS1_21segmented_reduce_implIS3_PKdPdPKldN6hipcub16HIPCUB_304000_NS6detail27convert_result_type_wrapperIS8_S9_N2at6native12_GLOBAL__N_110CustomProdEEEEE10hipError_tPvRmT0_T1_jT2_SQ_T4_T3_P12ihipStream_tbEUlT_E_NS1_11comp_targetILNS1_3genE0ELNS1_11target_archE4294967295ELNS1_3gpuE0ELNS1_3repE0EEENS1_30default_config_static_selectorELNS0_4arch9wavefront6targetE0EEEvSP_.has_indirect_call, 0
	.section	.AMDGPU.csdata,"",@progbits
; Kernel info:
; codeLenInByte = 3012
; TotalNumSgprs: 27
; NumVgprs: 22
; ScratchSize: 0
; MemoryBound: 1
; FloatMode: 240
; IeeeMode: 1
; LDSByteSize: 64 bytes/workgroup (compile time only)
; SGPRBlocks: 0
; VGPRBlocks: 1
; NumSGPRsForWavesPerEU: 27
; NumVGPRsForWavesPerEU: 22
; NamedBarCnt: 0
; Occupancy: 16
; WaveLimiterHint : 1
; COMPUTE_PGM_RSRC2:SCRATCH_EN: 0
; COMPUTE_PGM_RSRC2:USER_SGPR: 2
; COMPUTE_PGM_RSRC2:TRAP_HANDLER: 0
; COMPUTE_PGM_RSRC2:TGID_X_EN: 1
; COMPUTE_PGM_RSRC2:TGID_Y_EN: 0
; COMPUTE_PGM_RSRC2:TGID_Z_EN: 0
; COMPUTE_PGM_RSRC2:TIDIG_COMP_CNT: 0
	.section	.text._ZN7rocprim17ROCPRIM_400000_NS6detail17trampoline_kernelINS0_14default_configENS1_32segmented_reduce_config_selectorIdEEZNS1_21segmented_reduce_implIS3_PKdPdPKldN6hipcub16HIPCUB_304000_NS6detail27convert_result_type_wrapperIS8_S9_N2at6native12_GLOBAL__N_110CustomProdEEEEE10hipError_tPvRmT0_T1_jT2_SQ_T4_T3_P12ihipStream_tbEUlT_E_NS1_11comp_targetILNS1_3genE5ELNS1_11target_archE942ELNS1_3gpuE9ELNS1_3repE0EEENS1_30default_config_static_selectorELNS0_4arch9wavefront6targetE0EEEvSP_,"axG",@progbits,_ZN7rocprim17ROCPRIM_400000_NS6detail17trampoline_kernelINS0_14default_configENS1_32segmented_reduce_config_selectorIdEEZNS1_21segmented_reduce_implIS3_PKdPdPKldN6hipcub16HIPCUB_304000_NS6detail27convert_result_type_wrapperIS8_S9_N2at6native12_GLOBAL__N_110CustomProdEEEEE10hipError_tPvRmT0_T1_jT2_SQ_T4_T3_P12ihipStream_tbEUlT_E_NS1_11comp_targetILNS1_3genE5ELNS1_11target_archE942ELNS1_3gpuE9ELNS1_3repE0EEENS1_30default_config_static_selectorELNS0_4arch9wavefront6targetE0EEEvSP_,comdat
	.globl	_ZN7rocprim17ROCPRIM_400000_NS6detail17trampoline_kernelINS0_14default_configENS1_32segmented_reduce_config_selectorIdEEZNS1_21segmented_reduce_implIS3_PKdPdPKldN6hipcub16HIPCUB_304000_NS6detail27convert_result_type_wrapperIS8_S9_N2at6native12_GLOBAL__N_110CustomProdEEEEE10hipError_tPvRmT0_T1_jT2_SQ_T4_T3_P12ihipStream_tbEUlT_E_NS1_11comp_targetILNS1_3genE5ELNS1_11target_archE942ELNS1_3gpuE9ELNS1_3repE0EEENS1_30default_config_static_selectorELNS0_4arch9wavefront6targetE0EEEvSP_ ; -- Begin function _ZN7rocprim17ROCPRIM_400000_NS6detail17trampoline_kernelINS0_14default_configENS1_32segmented_reduce_config_selectorIdEEZNS1_21segmented_reduce_implIS3_PKdPdPKldN6hipcub16HIPCUB_304000_NS6detail27convert_result_type_wrapperIS8_S9_N2at6native12_GLOBAL__N_110CustomProdEEEEE10hipError_tPvRmT0_T1_jT2_SQ_T4_T3_P12ihipStream_tbEUlT_E_NS1_11comp_targetILNS1_3genE5ELNS1_11target_archE942ELNS1_3gpuE9ELNS1_3repE0EEENS1_30default_config_static_selectorELNS0_4arch9wavefront6targetE0EEEvSP_
	.p2align	8
	.type	_ZN7rocprim17ROCPRIM_400000_NS6detail17trampoline_kernelINS0_14default_configENS1_32segmented_reduce_config_selectorIdEEZNS1_21segmented_reduce_implIS3_PKdPdPKldN6hipcub16HIPCUB_304000_NS6detail27convert_result_type_wrapperIS8_S9_N2at6native12_GLOBAL__N_110CustomProdEEEEE10hipError_tPvRmT0_T1_jT2_SQ_T4_T3_P12ihipStream_tbEUlT_E_NS1_11comp_targetILNS1_3genE5ELNS1_11target_archE942ELNS1_3gpuE9ELNS1_3repE0EEENS1_30default_config_static_selectorELNS0_4arch9wavefront6targetE0EEEvSP_,@function
_ZN7rocprim17ROCPRIM_400000_NS6detail17trampoline_kernelINS0_14default_configENS1_32segmented_reduce_config_selectorIdEEZNS1_21segmented_reduce_implIS3_PKdPdPKldN6hipcub16HIPCUB_304000_NS6detail27convert_result_type_wrapperIS8_S9_N2at6native12_GLOBAL__N_110CustomProdEEEEE10hipError_tPvRmT0_T1_jT2_SQ_T4_T3_P12ihipStream_tbEUlT_E_NS1_11comp_targetILNS1_3genE5ELNS1_11target_archE942ELNS1_3gpuE9ELNS1_3repE0EEENS1_30default_config_static_selectorELNS0_4arch9wavefront6targetE0EEEvSP_: ; @_ZN7rocprim17ROCPRIM_400000_NS6detail17trampoline_kernelINS0_14default_configENS1_32segmented_reduce_config_selectorIdEEZNS1_21segmented_reduce_implIS3_PKdPdPKldN6hipcub16HIPCUB_304000_NS6detail27convert_result_type_wrapperIS8_S9_N2at6native12_GLOBAL__N_110CustomProdEEEEE10hipError_tPvRmT0_T1_jT2_SQ_T4_T3_P12ihipStream_tbEUlT_E_NS1_11comp_targetILNS1_3genE5ELNS1_11target_archE942ELNS1_3gpuE9ELNS1_3repE0EEENS1_30default_config_static_selectorELNS0_4arch9wavefront6targetE0EEEvSP_
; %bb.0:
	.section	.rodata,"a",@progbits
	.p2align	6, 0x0
	.amdhsa_kernel _ZN7rocprim17ROCPRIM_400000_NS6detail17trampoline_kernelINS0_14default_configENS1_32segmented_reduce_config_selectorIdEEZNS1_21segmented_reduce_implIS3_PKdPdPKldN6hipcub16HIPCUB_304000_NS6detail27convert_result_type_wrapperIS8_S9_N2at6native12_GLOBAL__N_110CustomProdEEEEE10hipError_tPvRmT0_T1_jT2_SQ_T4_T3_P12ihipStream_tbEUlT_E_NS1_11comp_targetILNS1_3genE5ELNS1_11target_archE942ELNS1_3gpuE9ELNS1_3repE0EEENS1_30default_config_static_selectorELNS0_4arch9wavefront6targetE0EEEvSP_
		.amdhsa_group_segment_fixed_size 0
		.amdhsa_private_segment_fixed_size 0
		.amdhsa_kernarg_size 56
		.amdhsa_user_sgpr_count 2
		.amdhsa_user_sgpr_dispatch_ptr 0
		.amdhsa_user_sgpr_queue_ptr 0
		.amdhsa_user_sgpr_kernarg_segment_ptr 1
		.amdhsa_user_sgpr_dispatch_id 0
		.amdhsa_user_sgpr_kernarg_preload_length 0
		.amdhsa_user_sgpr_kernarg_preload_offset 0
		.amdhsa_user_sgpr_private_segment_size 0
		.amdhsa_wavefront_size32 1
		.amdhsa_uses_dynamic_stack 0
		.amdhsa_enable_private_segment 0
		.amdhsa_system_sgpr_workgroup_id_x 1
		.amdhsa_system_sgpr_workgroup_id_y 0
		.amdhsa_system_sgpr_workgroup_id_z 0
		.amdhsa_system_sgpr_workgroup_info 0
		.amdhsa_system_vgpr_workitem_id 0
		.amdhsa_next_free_vgpr 1
		.amdhsa_next_free_sgpr 1
		.amdhsa_named_barrier_count 0
		.amdhsa_reserve_vcc 0
		.amdhsa_float_round_mode_32 0
		.amdhsa_float_round_mode_16_64 0
		.amdhsa_float_denorm_mode_32 3
		.amdhsa_float_denorm_mode_16_64 3
		.amdhsa_fp16_overflow 0
		.amdhsa_memory_ordered 1
		.amdhsa_forward_progress 1
		.amdhsa_inst_pref_size 0
		.amdhsa_round_robin_scheduling 0
		.amdhsa_exception_fp_ieee_invalid_op 0
		.amdhsa_exception_fp_denorm_src 0
		.amdhsa_exception_fp_ieee_div_zero 0
		.amdhsa_exception_fp_ieee_overflow 0
		.amdhsa_exception_fp_ieee_underflow 0
		.amdhsa_exception_fp_ieee_inexact 0
		.amdhsa_exception_int_div_zero 0
	.end_amdhsa_kernel
	.section	.text._ZN7rocprim17ROCPRIM_400000_NS6detail17trampoline_kernelINS0_14default_configENS1_32segmented_reduce_config_selectorIdEEZNS1_21segmented_reduce_implIS3_PKdPdPKldN6hipcub16HIPCUB_304000_NS6detail27convert_result_type_wrapperIS8_S9_N2at6native12_GLOBAL__N_110CustomProdEEEEE10hipError_tPvRmT0_T1_jT2_SQ_T4_T3_P12ihipStream_tbEUlT_E_NS1_11comp_targetILNS1_3genE5ELNS1_11target_archE942ELNS1_3gpuE9ELNS1_3repE0EEENS1_30default_config_static_selectorELNS0_4arch9wavefront6targetE0EEEvSP_,"axG",@progbits,_ZN7rocprim17ROCPRIM_400000_NS6detail17trampoline_kernelINS0_14default_configENS1_32segmented_reduce_config_selectorIdEEZNS1_21segmented_reduce_implIS3_PKdPdPKldN6hipcub16HIPCUB_304000_NS6detail27convert_result_type_wrapperIS8_S9_N2at6native12_GLOBAL__N_110CustomProdEEEEE10hipError_tPvRmT0_T1_jT2_SQ_T4_T3_P12ihipStream_tbEUlT_E_NS1_11comp_targetILNS1_3genE5ELNS1_11target_archE942ELNS1_3gpuE9ELNS1_3repE0EEENS1_30default_config_static_selectorELNS0_4arch9wavefront6targetE0EEEvSP_,comdat
.Lfunc_end171:
	.size	_ZN7rocprim17ROCPRIM_400000_NS6detail17trampoline_kernelINS0_14default_configENS1_32segmented_reduce_config_selectorIdEEZNS1_21segmented_reduce_implIS3_PKdPdPKldN6hipcub16HIPCUB_304000_NS6detail27convert_result_type_wrapperIS8_S9_N2at6native12_GLOBAL__N_110CustomProdEEEEE10hipError_tPvRmT0_T1_jT2_SQ_T4_T3_P12ihipStream_tbEUlT_E_NS1_11comp_targetILNS1_3genE5ELNS1_11target_archE942ELNS1_3gpuE9ELNS1_3repE0EEENS1_30default_config_static_selectorELNS0_4arch9wavefront6targetE0EEEvSP_, .Lfunc_end171-_ZN7rocprim17ROCPRIM_400000_NS6detail17trampoline_kernelINS0_14default_configENS1_32segmented_reduce_config_selectorIdEEZNS1_21segmented_reduce_implIS3_PKdPdPKldN6hipcub16HIPCUB_304000_NS6detail27convert_result_type_wrapperIS8_S9_N2at6native12_GLOBAL__N_110CustomProdEEEEE10hipError_tPvRmT0_T1_jT2_SQ_T4_T3_P12ihipStream_tbEUlT_E_NS1_11comp_targetILNS1_3genE5ELNS1_11target_archE942ELNS1_3gpuE9ELNS1_3repE0EEENS1_30default_config_static_selectorELNS0_4arch9wavefront6targetE0EEEvSP_
                                        ; -- End function
	.set _ZN7rocprim17ROCPRIM_400000_NS6detail17trampoline_kernelINS0_14default_configENS1_32segmented_reduce_config_selectorIdEEZNS1_21segmented_reduce_implIS3_PKdPdPKldN6hipcub16HIPCUB_304000_NS6detail27convert_result_type_wrapperIS8_S9_N2at6native12_GLOBAL__N_110CustomProdEEEEE10hipError_tPvRmT0_T1_jT2_SQ_T4_T3_P12ihipStream_tbEUlT_E_NS1_11comp_targetILNS1_3genE5ELNS1_11target_archE942ELNS1_3gpuE9ELNS1_3repE0EEENS1_30default_config_static_selectorELNS0_4arch9wavefront6targetE0EEEvSP_.num_vgpr, 0
	.set _ZN7rocprim17ROCPRIM_400000_NS6detail17trampoline_kernelINS0_14default_configENS1_32segmented_reduce_config_selectorIdEEZNS1_21segmented_reduce_implIS3_PKdPdPKldN6hipcub16HIPCUB_304000_NS6detail27convert_result_type_wrapperIS8_S9_N2at6native12_GLOBAL__N_110CustomProdEEEEE10hipError_tPvRmT0_T1_jT2_SQ_T4_T3_P12ihipStream_tbEUlT_E_NS1_11comp_targetILNS1_3genE5ELNS1_11target_archE942ELNS1_3gpuE9ELNS1_3repE0EEENS1_30default_config_static_selectorELNS0_4arch9wavefront6targetE0EEEvSP_.num_agpr, 0
	.set _ZN7rocprim17ROCPRIM_400000_NS6detail17trampoline_kernelINS0_14default_configENS1_32segmented_reduce_config_selectorIdEEZNS1_21segmented_reduce_implIS3_PKdPdPKldN6hipcub16HIPCUB_304000_NS6detail27convert_result_type_wrapperIS8_S9_N2at6native12_GLOBAL__N_110CustomProdEEEEE10hipError_tPvRmT0_T1_jT2_SQ_T4_T3_P12ihipStream_tbEUlT_E_NS1_11comp_targetILNS1_3genE5ELNS1_11target_archE942ELNS1_3gpuE9ELNS1_3repE0EEENS1_30default_config_static_selectorELNS0_4arch9wavefront6targetE0EEEvSP_.numbered_sgpr, 0
	.set _ZN7rocprim17ROCPRIM_400000_NS6detail17trampoline_kernelINS0_14default_configENS1_32segmented_reduce_config_selectorIdEEZNS1_21segmented_reduce_implIS3_PKdPdPKldN6hipcub16HIPCUB_304000_NS6detail27convert_result_type_wrapperIS8_S9_N2at6native12_GLOBAL__N_110CustomProdEEEEE10hipError_tPvRmT0_T1_jT2_SQ_T4_T3_P12ihipStream_tbEUlT_E_NS1_11comp_targetILNS1_3genE5ELNS1_11target_archE942ELNS1_3gpuE9ELNS1_3repE0EEENS1_30default_config_static_selectorELNS0_4arch9wavefront6targetE0EEEvSP_.num_named_barrier, 0
	.set _ZN7rocprim17ROCPRIM_400000_NS6detail17trampoline_kernelINS0_14default_configENS1_32segmented_reduce_config_selectorIdEEZNS1_21segmented_reduce_implIS3_PKdPdPKldN6hipcub16HIPCUB_304000_NS6detail27convert_result_type_wrapperIS8_S9_N2at6native12_GLOBAL__N_110CustomProdEEEEE10hipError_tPvRmT0_T1_jT2_SQ_T4_T3_P12ihipStream_tbEUlT_E_NS1_11comp_targetILNS1_3genE5ELNS1_11target_archE942ELNS1_3gpuE9ELNS1_3repE0EEENS1_30default_config_static_selectorELNS0_4arch9wavefront6targetE0EEEvSP_.private_seg_size, 0
	.set _ZN7rocprim17ROCPRIM_400000_NS6detail17trampoline_kernelINS0_14default_configENS1_32segmented_reduce_config_selectorIdEEZNS1_21segmented_reduce_implIS3_PKdPdPKldN6hipcub16HIPCUB_304000_NS6detail27convert_result_type_wrapperIS8_S9_N2at6native12_GLOBAL__N_110CustomProdEEEEE10hipError_tPvRmT0_T1_jT2_SQ_T4_T3_P12ihipStream_tbEUlT_E_NS1_11comp_targetILNS1_3genE5ELNS1_11target_archE942ELNS1_3gpuE9ELNS1_3repE0EEENS1_30default_config_static_selectorELNS0_4arch9wavefront6targetE0EEEvSP_.uses_vcc, 0
	.set _ZN7rocprim17ROCPRIM_400000_NS6detail17trampoline_kernelINS0_14default_configENS1_32segmented_reduce_config_selectorIdEEZNS1_21segmented_reduce_implIS3_PKdPdPKldN6hipcub16HIPCUB_304000_NS6detail27convert_result_type_wrapperIS8_S9_N2at6native12_GLOBAL__N_110CustomProdEEEEE10hipError_tPvRmT0_T1_jT2_SQ_T4_T3_P12ihipStream_tbEUlT_E_NS1_11comp_targetILNS1_3genE5ELNS1_11target_archE942ELNS1_3gpuE9ELNS1_3repE0EEENS1_30default_config_static_selectorELNS0_4arch9wavefront6targetE0EEEvSP_.uses_flat_scratch, 0
	.set _ZN7rocprim17ROCPRIM_400000_NS6detail17trampoline_kernelINS0_14default_configENS1_32segmented_reduce_config_selectorIdEEZNS1_21segmented_reduce_implIS3_PKdPdPKldN6hipcub16HIPCUB_304000_NS6detail27convert_result_type_wrapperIS8_S9_N2at6native12_GLOBAL__N_110CustomProdEEEEE10hipError_tPvRmT0_T1_jT2_SQ_T4_T3_P12ihipStream_tbEUlT_E_NS1_11comp_targetILNS1_3genE5ELNS1_11target_archE942ELNS1_3gpuE9ELNS1_3repE0EEENS1_30default_config_static_selectorELNS0_4arch9wavefront6targetE0EEEvSP_.has_dyn_sized_stack, 0
	.set _ZN7rocprim17ROCPRIM_400000_NS6detail17trampoline_kernelINS0_14default_configENS1_32segmented_reduce_config_selectorIdEEZNS1_21segmented_reduce_implIS3_PKdPdPKldN6hipcub16HIPCUB_304000_NS6detail27convert_result_type_wrapperIS8_S9_N2at6native12_GLOBAL__N_110CustomProdEEEEE10hipError_tPvRmT0_T1_jT2_SQ_T4_T3_P12ihipStream_tbEUlT_E_NS1_11comp_targetILNS1_3genE5ELNS1_11target_archE942ELNS1_3gpuE9ELNS1_3repE0EEENS1_30default_config_static_selectorELNS0_4arch9wavefront6targetE0EEEvSP_.has_recursion, 0
	.set _ZN7rocprim17ROCPRIM_400000_NS6detail17trampoline_kernelINS0_14default_configENS1_32segmented_reduce_config_selectorIdEEZNS1_21segmented_reduce_implIS3_PKdPdPKldN6hipcub16HIPCUB_304000_NS6detail27convert_result_type_wrapperIS8_S9_N2at6native12_GLOBAL__N_110CustomProdEEEEE10hipError_tPvRmT0_T1_jT2_SQ_T4_T3_P12ihipStream_tbEUlT_E_NS1_11comp_targetILNS1_3genE5ELNS1_11target_archE942ELNS1_3gpuE9ELNS1_3repE0EEENS1_30default_config_static_selectorELNS0_4arch9wavefront6targetE0EEEvSP_.has_indirect_call, 0
	.section	.AMDGPU.csdata,"",@progbits
; Kernel info:
; codeLenInByte = 0
; TotalNumSgprs: 0
; NumVgprs: 0
; ScratchSize: 0
; MemoryBound: 0
; FloatMode: 240
; IeeeMode: 1
; LDSByteSize: 0 bytes/workgroup (compile time only)
; SGPRBlocks: 0
; VGPRBlocks: 0
; NumSGPRsForWavesPerEU: 1
; NumVGPRsForWavesPerEU: 1
; NamedBarCnt: 0
; Occupancy: 16
; WaveLimiterHint : 0
; COMPUTE_PGM_RSRC2:SCRATCH_EN: 0
; COMPUTE_PGM_RSRC2:USER_SGPR: 2
; COMPUTE_PGM_RSRC2:TRAP_HANDLER: 0
; COMPUTE_PGM_RSRC2:TGID_X_EN: 1
; COMPUTE_PGM_RSRC2:TGID_Y_EN: 0
; COMPUTE_PGM_RSRC2:TGID_Z_EN: 0
; COMPUTE_PGM_RSRC2:TIDIG_COMP_CNT: 0
	.section	.text._ZN7rocprim17ROCPRIM_400000_NS6detail17trampoline_kernelINS0_14default_configENS1_32segmented_reduce_config_selectorIdEEZNS1_21segmented_reduce_implIS3_PKdPdPKldN6hipcub16HIPCUB_304000_NS6detail27convert_result_type_wrapperIS8_S9_N2at6native12_GLOBAL__N_110CustomProdEEEEE10hipError_tPvRmT0_T1_jT2_SQ_T4_T3_P12ihipStream_tbEUlT_E_NS1_11comp_targetILNS1_3genE10ELNS1_11target_archE1201ELNS1_3gpuE5ELNS1_3repE0EEENS1_30default_config_static_selectorELNS0_4arch9wavefront6targetE0EEEvSP_,"axG",@progbits,_ZN7rocprim17ROCPRIM_400000_NS6detail17trampoline_kernelINS0_14default_configENS1_32segmented_reduce_config_selectorIdEEZNS1_21segmented_reduce_implIS3_PKdPdPKldN6hipcub16HIPCUB_304000_NS6detail27convert_result_type_wrapperIS8_S9_N2at6native12_GLOBAL__N_110CustomProdEEEEE10hipError_tPvRmT0_T1_jT2_SQ_T4_T3_P12ihipStream_tbEUlT_E_NS1_11comp_targetILNS1_3genE10ELNS1_11target_archE1201ELNS1_3gpuE5ELNS1_3repE0EEENS1_30default_config_static_selectorELNS0_4arch9wavefront6targetE0EEEvSP_,comdat
	.globl	_ZN7rocprim17ROCPRIM_400000_NS6detail17trampoline_kernelINS0_14default_configENS1_32segmented_reduce_config_selectorIdEEZNS1_21segmented_reduce_implIS3_PKdPdPKldN6hipcub16HIPCUB_304000_NS6detail27convert_result_type_wrapperIS8_S9_N2at6native12_GLOBAL__N_110CustomProdEEEEE10hipError_tPvRmT0_T1_jT2_SQ_T4_T3_P12ihipStream_tbEUlT_E_NS1_11comp_targetILNS1_3genE10ELNS1_11target_archE1201ELNS1_3gpuE5ELNS1_3repE0EEENS1_30default_config_static_selectorELNS0_4arch9wavefront6targetE0EEEvSP_ ; -- Begin function _ZN7rocprim17ROCPRIM_400000_NS6detail17trampoline_kernelINS0_14default_configENS1_32segmented_reduce_config_selectorIdEEZNS1_21segmented_reduce_implIS3_PKdPdPKldN6hipcub16HIPCUB_304000_NS6detail27convert_result_type_wrapperIS8_S9_N2at6native12_GLOBAL__N_110CustomProdEEEEE10hipError_tPvRmT0_T1_jT2_SQ_T4_T3_P12ihipStream_tbEUlT_E_NS1_11comp_targetILNS1_3genE10ELNS1_11target_archE1201ELNS1_3gpuE5ELNS1_3repE0EEENS1_30default_config_static_selectorELNS0_4arch9wavefront6targetE0EEEvSP_
	.p2align	8
	.type	_ZN7rocprim17ROCPRIM_400000_NS6detail17trampoline_kernelINS0_14default_configENS1_32segmented_reduce_config_selectorIdEEZNS1_21segmented_reduce_implIS3_PKdPdPKldN6hipcub16HIPCUB_304000_NS6detail27convert_result_type_wrapperIS8_S9_N2at6native12_GLOBAL__N_110CustomProdEEEEE10hipError_tPvRmT0_T1_jT2_SQ_T4_T3_P12ihipStream_tbEUlT_E_NS1_11comp_targetILNS1_3genE10ELNS1_11target_archE1201ELNS1_3gpuE5ELNS1_3repE0EEENS1_30default_config_static_selectorELNS0_4arch9wavefront6targetE0EEEvSP_,@function
_ZN7rocprim17ROCPRIM_400000_NS6detail17trampoline_kernelINS0_14default_configENS1_32segmented_reduce_config_selectorIdEEZNS1_21segmented_reduce_implIS3_PKdPdPKldN6hipcub16HIPCUB_304000_NS6detail27convert_result_type_wrapperIS8_S9_N2at6native12_GLOBAL__N_110CustomProdEEEEE10hipError_tPvRmT0_T1_jT2_SQ_T4_T3_P12ihipStream_tbEUlT_E_NS1_11comp_targetILNS1_3genE10ELNS1_11target_archE1201ELNS1_3gpuE5ELNS1_3repE0EEENS1_30default_config_static_selectorELNS0_4arch9wavefront6targetE0EEEvSP_: ; @_ZN7rocprim17ROCPRIM_400000_NS6detail17trampoline_kernelINS0_14default_configENS1_32segmented_reduce_config_selectorIdEEZNS1_21segmented_reduce_implIS3_PKdPdPKldN6hipcub16HIPCUB_304000_NS6detail27convert_result_type_wrapperIS8_S9_N2at6native12_GLOBAL__N_110CustomProdEEEEE10hipError_tPvRmT0_T1_jT2_SQ_T4_T3_P12ihipStream_tbEUlT_E_NS1_11comp_targetILNS1_3genE10ELNS1_11target_archE1201ELNS1_3gpuE5ELNS1_3repE0EEENS1_30default_config_static_selectorELNS0_4arch9wavefront6targetE0EEEvSP_
; %bb.0:
	.section	.rodata,"a",@progbits
	.p2align	6, 0x0
	.amdhsa_kernel _ZN7rocprim17ROCPRIM_400000_NS6detail17trampoline_kernelINS0_14default_configENS1_32segmented_reduce_config_selectorIdEEZNS1_21segmented_reduce_implIS3_PKdPdPKldN6hipcub16HIPCUB_304000_NS6detail27convert_result_type_wrapperIS8_S9_N2at6native12_GLOBAL__N_110CustomProdEEEEE10hipError_tPvRmT0_T1_jT2_SQ_T4_T3_P12ihipStream_tbEUlT_E_NS1_11comp_targetILNS1_3genE10ELNS1_11target_archE1201ELNS1_3gpuE5ELNS1_3repE0EEENS1_30default_config_static_selectorELNS0_4arch9wavefront6targetE0EEEvSP_
		.amdhsa_group_segment_fixed_size 0
		.amdhsa_private_segment_fixed_size 0
		.amdhsa_kernarg_size 56
		.amdhsa_user_sgpr_count 2
		.amdhsa_user_sgpr_dispatch_ptr 0
		.amdhsa_user_sgpr_queue_ptr 0
		.amdhsa_user_sgpr_kernarg_segment_ptr 1
		.amdhsa_user_sgpr_dispatch_id 0
		.amdhsa_user_sgpr_kernarg_preload_length 0
		.amdhsa_user_sgpr_kernarg_preload_offset 0
		.amdhsa_user_sgpr_private_segment_size 0
		.amdhsa_wavefront_size32 1
		.amdhsa_uses_dynamic_stack 0
		.amdhsa_enable_private_segment 0
		.amdhsa_system_sgpr_workgroup_id_x 1
		.amdhsa_system_sgpr_workgroup_id_y 0
		.amdhsa_system_sgpr_workgroup_id_z 0
		.amdhsa_system_sgpr_workgroup_info 0
		.amdhsa_system_vgpr_workitem_id 0
		.amdhsa_next_free_vgpr 1
		.amdhsa_next_free_sgpr 1
		.amdhsa_named_barrier_count 0
		.amdhsa_reserve_vcc 0
		.amdhsa_float_round_mode_32 0
		.amdhsa_float_round_mode_16_64 0
		.amdhsa_float_denorm_mode_32 3
		.amdhsa_float_denorm_mode_16_64 3
		.amdhsa_fp16_overflow 0
		.amdhsa_memory_ordered 1
		.amdhsa_forward_progress 1
		.amdhsa_inst_pref_size 0
		.amdhsa_round_robin_scheduling 0
		.amdhsa_exception_fp_ieee_invalid_op 0
		.amdhsa_exception_fp_denorm_src 0
		.amdhsa_exception_fp_ieee_div_zero 0
		.amdhsa_exception_fp_ieee_overflow 0
		.amdhsa_exception_fp_ieee_underflow 0
		.amdhsa_exception_fp_ieee_inexact 0
		.amdhsa_exception_int_div_zero 0
	.end_amdhsa_kernel
	.section	.text._ZN7rocprim17ROCPRIM_400000_NS6detail17trampoline_kernelINS0_14default_configENS1_32segmented_reduce_config_selectorIdEEZNS1_21segmented_reduce_implIS3_PKdPdPKldN6hipcub16HIPCUB_304000_NS6detail27convert_result_type_wrapperIS8_S9_N2at6native12_GLOBAL__N_110CustomProdEEEEE10hipError_tPvRmT0_T1_jT2_SQ_T4_T3_P12ihipStream_tbEUlT_E_NS1_11comp_targetILNS1_3genE10ELNS1_11target_archE1201ELNS1_3gpuE5ELNS1_3repE0EEENS1_30default_config_static_selectorELNS0_4arch9wavefront6targetE0EEEvSP_,"axG",@progbits,_ZN7rocprim17ROCPRIM_400000_NS6detail17trampoline_kernelINS0_14default_configENS1_32segmented_reduce_config_selectorIdEEZNS1_21segmented_reduce_implIS3_PKdPdPKldN6hipcub16HIPCUB_304000_NS6detail27convert_result_type_wrapperIS8_S9_N2at6native12_GLOBAL__N_110CustomProdEEEEE10hipError_tPvRmT0_T1_jT2_SQ_T4_T3_P12ihipStream_tbEUlT_E_NS1_11comp_targetILNS1_3genE10ELNS1_11target_archE1201ELNS1_3gpuE5ELNS1_3repE0EEENS1_30default_config_static_selectorELNS0_4arch9wavefront6targetE0EEEvSP_,comdat
.Lfunc_end172:
	.size	_ZN7rocprim17ROCPRIM_400000_NS6detail17trampoline_kernelINS0_14default_configENS1_32segmented_reduce_config_selectorIdEEZNS1_21segmented_reduce_implIS3_PKdPdPKldN6hipcub16HIPCUB_304000_NS6detail27convert_result_type_wrapperIS8_S9_N2at6native12_GLOBAL__N_110CustomProdEEEEE10hipError_tPvRmT0_T1_jT2_SQ_T4_T3_P12ihipStream_tbEUlT_E_NS1_11comp_targetILNS1_3genE10ELNS1_11target_archE1201ELNS1_3gpuE5ELNS1_3repE0EEENS1_30default_config_static_selectorELNS0_4arch9wavefront6targetE0EEEvSP_, .Lfunc_end172-_ZN7rocprim17ROCPRIM_400000_NS6detail17trampoline_kernelINS0_14default_configENS1_32segmented_reduce_config_selectorIdEEZNS1_21segmented_reduce_implIS3_PKdPdPKldN6hipcub16HIPCUB_304000_NS6detail27convert_result_type_wrapperIS8_S9_N2at6native12_GLOBAL__N_110CustomProdEEEEE10hipError_tPvRmT0_T1_jT2_SQ_T4_T3_P12ihipStream_tbEUlT_E_NS1_11comp_targetILNS1_3genE10ELNS1_11target_archE1201ELNS1_3gpuE5ELNS1_3repE0EEENS1_30default_config_static_selectorELNS0_4arch9wavefront6targetE0EEEvSP_
                                        ; -- End function
	.set _ZN7rocprim17ROCPRIM_400000_NS6detail17trampoline_kernelINS0_14default_configENS1_32segmented_reduce_config_selectorIdEEZNS1_21segmented_reduce_implIS3_PKdPdPKldN6hipcub16HIPCUB_304000_NS6detail27convert_result_type_wrapperIS8_S9_N2at6native12_GLOBAL__N_110CustomProdEEEEE10hipError_tPvRmT0_T1_jT2_SQ_T4_T3_P12ihipStream_tbEUlT_E_NS1_11comp_targetILNS1_3genE10ELNS1_11target_archE1201ELNS1_3gpuE5ELNS1_3repE0EEENS1_30default_config_static_selectorELNS0_4arch9wavefront6targetE0EEEvSP_.num_vgpr, 0
	.set _ZN7rocprim17ROCPRIM_400000_NS6detail17trampoline_kernelINS0_14default_configENS1_32segmented_reduce_config_selectorIdEEZNS1_21segmented_reduce_implIS3_PKdPdPKldN6hipcub16HIPCUB_304000_NS6detail27convert_result_type_wrapperIS8_S9_N2at6native12_GLOBAL__N_110CustomProdEEEEE10hipError_tPvRmT0_T1_jT2_SQ_T4_T3_P12ihipStream_tbEUlT_E_NS1_11comp_targetILNS1_3genE10ELNS1_11target_archE1201ELNS1_3gpuE5ELNS1_3repE0EEENS1_30default_config_static_selectorELNS0_4arch9wavefront6targetE0EEEvSP_.num_agpr, 0
	.set _ZN7rocprim17ROCPRIM_400000_NS6detail17trampoline_kernelINS0_14default_configENS1_32segmented_reduce_config_selectorIdEEZNS1_21segmented_reduce_implIS3_PKdPdPKldN6hipcub16HIPCUB_304000_NS6detail27convert_result_type_wrapperIS8_S9_N2at6native12_GLOBAL__N_110CustomProdEEEEE10hipError_tPvRmT0_T1_jT2_SQ_T4_T3_P12ihipStream_tbEUlT_E_NS1_11comp_targetILNS1_3genE10ELNS1_11target_archE1201ELNS1_3gpuE5ELNS1_3repE0EEENS1_30default_config_static_selectorELNS0_4arch9wavefront6targetE0EEEvSP_.numbered_sgpr, 0
	.set _ZN7rocprim17ROCPRIM_400000_NS6detail17trampoline_kernelINS0_14default_configENS1_32segmented_reduce_config_selectorIdEEZNS1_21segmented_reduce_implIS3_PKdPdPKldN6hipcub16HIPCUB_304000_NS6detail27convert_result_type_wrapperIS8_S9_N2at6native12_GLOBAL__N_110CustomProdEEEEE10hipError_tPvRmT0_T1_jT2_SQ_T4_T3_P12ihipStream_tbEUlT_E_NS1_11comp_targetILNS1_3genE10ELNS1_11target_archE1201ELNS1_3gpuE5ELNS1_3repE0EEENS1_30default_config_static_selectorELNS0_4arch9wavefront6targetE0EEEvSP_.num_named_barrier, 0
	.set _ZN7rocprim17ROCPRIM_400000_NS6detail17trampoline_kernelINS0_14default_configENS1_32segmented_reduce_config_selectorIdEEZNS1_21segmented_reduce_implIS3_PKdPdPKldN6hipcub16HIPCUB_304000_NS6detail27convert_result_type_wrapperIS8_S9_N2at6native12_GLOBAL__N_110CustomProdEEEEE10hipError_tPvRmT0_T1_jT2_SQ_T4_T3_P12ihipStream_tbEUlT_E_NS1_11comp_targetILNS1_3genE10ELNS1_11target_archE1201ELNS1_3gpuE5ELNS1_3repE0EEENS1_30default_config_static_selectorELNS0_4arch9wavefront6targetE0EEEvSP_.private_seg_size, 0
	.set _ZN7rocprim17ROCPRIM_400000_NS6detail17trampoline_kernelINS0_14default_configENS1_32segmented_reduce_config_selectorIdEEZNS1_21segmented_reduce_implIS3_PKdPdPKldN6hipcub16HIPCUB_304000_NS6detail27convert_result_type_wrapperIS8_S9_N2at6native12_GLOBAL__N_110CustomProdEEEEE10hipError_tPvRmT0_T1_jT2_SQ_T4_T3_P12ihipStream_tbEUlT_E_NS1_11comp_targetILNS1_3genE10ELNS1_11target_archE1201ELNS1_3gpuE5ELNS1_3repE0EEENS1_30default_config_static_selectorELNS0_4arch9wavefront6targetE0EEEvSP_.uses_vcc, 0
	.set _ZN7rocprim17ROCPRIM_400000_NS6detail17trampoline_kernelINS0_14default_configENS1_32segmented_reduce_config_selectorIdEEZNS1_21segmented_reduce_implIS3_PKdPdPKldN6hipcub16HIPCUB_304000_NS6detail27convert_result_type_wrapperIS8_S9_N2at6native12_GLOBAL__N_110CustomProdEEEEE10hipError_tPvRmT0_T1_jT2_SQ_T4_T3_P12ihipStream_tbEUlT_E_NS1_11comp_targetILNS1_3genE10ELNS1_11target_archE1201ELNS1_3gpuE5ELNS1_3repE0EEENS1_30default_config_static_selectorELNS0_4arch9wavefront6targetE0EEEvSP_.uses_flat_scratch, 0
	.set _ZN7rocprim17ROCPRIM_400000_NS6detail17trampoline_kernelINS0_14default_configENS1_32segmented_reduce_config_selectorIdEEZNS1_21segmented_reduce_implIS3_PKdPdPKldN6hipcub16HIPCUB_304000_NS6detail27convert_result_type_wrapperIS8_S9_N2at6native12_GLOBAL__N_110CustomProdEEEEE10hipError_tPvRmT0_T1_jT2_SQ_T4_T3_P12ihipStream_tbEUlT_E_NS1_11comp_targetILNS1_3genE10ELNS1_11target_archE1201ELNS1_3gpuE5ELNS1_3repE0EEENS1_30default_config_static_selectorELNS0_4arch9wavefront6targetE0EEEvSP_.has_dyn_sized_stack, 0
	.set _ZN7rocprim17ROCPRIM_400000_NS6detail17trampoline_kernelINS0_14default_configENS1_32segmented_reduce_config_selectorIdEEZNS1_21segmented_reduce_implIS3_PKdPdPKldN6hipcub16HIPCUB_304000_NS6detail27convert_result_type_wrapperIS8_S9_N2at6native12_GLOBAL__N_110CustomProdEEEEE10hipError_tPvRmT0_T1_jT2_SQ_T4_T3_P12ihipStream_tbEUlT_E_NS1_11comp_targetILNS1_3genE10ELNS1_11target_archE1201ELNS1_3gpuE5ELNS1_3repE0EEENS1_30default_config_static_selectorELNS0_4arch9wavefront6targetE0EEEvSP_.has_recursion, 0
	.set _ZN7rocprim17ROCPRIM_400000_NS6detail17trampoline_kernelINS0_14default_configENS1_32segmented_reduce_config_selectorIdEEZNS1_21segmented_reduce_implIS3_PKdPdPKldN6hipcub16HIPCUB_304000_NS6detail27convert_result_type_wrapperIS8_S9_N2at6native12_GLOBAL__N_110CustomProdEEEEE10hipError_tPvRmT0_T1_jT2_SQ_T4_T3_P12ihipStream_tbEUlT_E_NS1_11comp_targetILNS1_3genE10ELNS1_11target_archE1201ELNS1_3gpuE5ELNS1_3repE0EEENS1_30default_config_static_selectorELNS0_4arch9wavefront6targetE0EEEvSP_.has_indirect_call, 0
	.section	.AMDGPU.csdata,"",@progbits
; Kernel info:
; codeLenInByte = 0
; TotalNumSgprs: 0
; NumVgprs: 0
; ScratchSize: 0
; MemoryBound: 0
; FloatMode: 240
; IeeeMode: 1
; LDSByteSize: 0 bytes/workgroup (compile time only)
; SGPRBlocks: 0
; VGPRBlocks: 0
; NumSGPRsForWavesPerEU: 1
; NumVGPRsForWavesPerEU: 1
; NamedBarCnt: 0
; Occupancy: 16
; WaveLimiterHint : 0
; COMPUTE_PGM_RSRC2:SCRATCH_EN: 0
; COMPUTE_PGM_RSRC2:USER_SGPR: 2
; COMPUTE_PGM_RSRC2:TRAP_HANDLER: 0
; COMPUTE_PGM_RSRC2:TGID_X_EN: 1
; COMPUTE_PGM_RSRC2:TGID_Y_EN: 0
; COMPUTE_PGM_RSRC2:TGID_Z_EN: 0
; COMPUTE_PGM_RSRC2:TIDIG_COMP_CNT: 0
	.section	.text._ZN7rocprim17ROCPRIM_400000_NS6detail17trampoline_kernelINS0_14default_configENS1_32segmented_reduce_config_selectorIdEEZNS1_21segmented_reduce_implIS3_PKdPdPKldN6hipcub16HIPCUB_304000_NS6detail27convert_result_type_wrapperIS8_S9_N2at6native12_GLOBAL__N_110CustomProdEEEEE10hipError_tPvRmT0_T1_jT2_SQ_T4_T3_P12ihipStream_tbEUlT_E_NS1_11comp_targetILNS1_3genE4ELNS1_11target_archE910ELNS1_3gpuE8ELNS1_3repE0EEENS1_30default_config_static_selectorELNS0_4arch9wavefront6targetE0EEEvSP_,"axG",@progbits,_ZN7rocprim17ROCPRIM_400000_NS6detail17trampoline_kernelINS0_14default_configENS1_32segmented_reduce_config_selectorIdEEZNS1_21segmented_reduce_implIS3_PKdPdPKldN6hipcub16HIPCUB_304000_NS6detail27convert_result_type_wrapperIS8_S9_N2at6native12_GLOBAL__N_110CustomProdEEEEE10hipError_tPvRmT0_T1_jT2_SQ_T4_T3_P12ihipStream_tbEUlT_E_NS1_11comp_targetILNS1_3genE4ELNS1_11target_archE910ELNS1_3gpuE8ELNS1_3repE0EEENS1_30default_config_static_selectorELNS0_4arch9wavefront6targetE0EEEvSP_,comdat
	.globl	_ZN7rocprim17ROCPRIM_400000_NS6detail17trampoline_kernelINS0_14default_configENS1_32segmented_reduce_config_selectorIdEEZNS1_21segmented_reduce_implIS3_PKdPdPKldN6hipcub16HIPCUB_304000_NS6detail27convert_result_type_wrapperIS8_S9_N2at6native12_GLOBAL__N_110CustomProdEEEEE10hipError_tPvRmT0_T1_jT2_SQ_T4_T3_P12ihipStream_tbEUlT_E_NS1_11comp_targetILNS1_3genE4ELNS1_11target_archE910ELNS1_3gpuE8ELNS1_3repE0EEENS1_30default_config_static_selectorELNS0_4arch9wavefront6targetE0EEEvSP_ ; -- Begin function _ZN7rocprim17ROCPRIM_400000_NS6detail17trampoline_kernelINS0_14default_configENS1_32segmented_reduce_config_selectorIdEEZNS1_21segmented_reduce_implIS3_PKdPdPKldN6hipcub16HIPCUB_304000_NS6detail27convert_result_type_wrapperIS8_S9_N2at6native12_GLOBAL__N_110CustomProdEEEEE10hipError_tPvRmT0_T1_jT2_SQ_T4_T3_P12ihipStream_tbEUlT_E_NS1_11comp_targetILNS1_3genE4ELNS1_11target_archE910ELNS1_3gpuE8ELNS1_3repE0EEENS1_30default_config_static_selectorELNS0_4arch9wavefront6targetE0EEEvSP_
	.p2align	8
	.type	_ZN7rocprim17ROCPRIM_400000_NS6detail17trampoline_kernelINS0_14default_configENS1_32segmented_reduce_config_selectorIdEEZNS1_21segmented_reduce_implIS3_PKdPdPKldN6hipcub16HIPCUB_304000_NS6detail27convert_result_type_wrapperIS8_S9_N2at6native12_GLOBAL__N_110CustomProdEEEEE10hipError_tPvRmT0_T1_jT2_SQ_T4_T3_P12ihipStream_tbEUlT_E_NS1_11comp_targetILNS1_3genE4ELNS1_11target_archE910ELNS1_3gpuE8ELNS1_3repE0EEENS1_30default_config_static_selectorELNS0_4arch9wavefront6targetE0EEEvSP_,@function
_ZN7rocprim17ROCPRIM_400000_NS6detail17trampoline_kernelINS0_14default_configENS1_32segmented_reduce_config_selectorIdEEZNS1_21segmented_reduce_implIS3_PKdPdPKldN6hipcub16HIPCUB_304000_NS6detail27convert_result_type_wrapperIS8_S9_N2at6native12_GLOBAL__N_110CustomProdEEEEE10hipError_tPvRmT0_T1_jT2_SQ_T4_T3_P12ihipStream_tbEUlT_E_NS1_11comp_targetILNS1_3genE4ELNS1_11target_archE910ELNS1_3gpuE8ELNS1_3repE0EEENS1_30default_config_static_selectorELNS0_4arch9wavefront6targetE0EEEvSP_: ; @_ZN7rocprim17ROCPRIM_400000_NS6detail17trampoline_kernelINS0_14default_configENS1_32segmented_reduce_config_selectorIdEEZNS1_21segmented_reduce_implIS3_PKdPdPKldN6hipcub16HIPCUB_304000_NS6detail27convert_result_type_wrapperIS8_S9_N2at6native12_GLOBAL__N_110CustomProdEEEEE10hipError_tPvRmT0_T1_jT2_SQ_T4_T3_P12ihipStream_tbEUlT_E_NS1_11comp_targetILNS1_3genE4ELNS1_11target_archE910ELNS1_3gpuE8ELNS1_3repE0EEENS1_30default_config_static_selectorELNS0_4arch9wavefront6targetE0EEEvSP_
; %bb.0:
	.section	.rodata,"a",@progbits
	.p2align	6, 0x0
	.amdhsa_kernel _ZN7rocprim17ROCPRIM_400000_NS6detail17trampoline_kernelINS0_14default_configENS1_32segmented_reduce_config_selectorIdEEZNS1_21segmented_reduce_implIS3_PKdPdPKldN6hipcub16HIPCUB_304000_NS6detail27convert_result_type_wrapperIS8_S9_N2at6native12_GLOBAL__N_110CustomProdEEEEE10hipError_tPvRmT0_T1_jT2_SQ_T4_T3_P12ihipStream_tbEUlT_E_NS1_11comp_targetILNS1_3genE4ELNS1_11target_archE910ELNS1_3gpuE8ELNS1_3repE0EEENS1_30default_config_static_selectorELNS0_4arch9wavefront6targetE0EEEvSP_
		.amdhsa_group_segment_fixed_size 0
		.amdhsa_private_segment_fixed_size 0
		.amdhsa_kernarg_size 56
		.amdhsa_user_sgpr_count 2
		.amdhsa_user_sgpr_dispatch_ptr 0
		.amdhsa_user_sgpr_queue_ptr 0
		.amdhsa_user_sgpr_kernarg_segment_ptr 1
		.amdhsa_user_sgpr_dispatch_id 0
		.amdhsa_user_sgpr_kernarg_preload_length 0
		.amdhsa_user_sgpr_kernarg_preload_offset 0
		.amdhsa_user_sgpr_private_segment_size 0
		.amdhsa_wavefront_size32 1
		.amdhsa_uses_dynamic_stack 0
		.amdhsa_enable_private_segment 0
		.amdhsa_system_sgpr_workgroup_id_x 1
		.amdhsa_system_sgpr_workgroup_id_y 0
		.amdhsa_system_sgpr_workgroup_id_z 0
		.amdhsa_system_sgpr_workgroup_info 0
		.amdhsa_system_vgpr_workitem_id 0
		.amdhsa_next_free_vgpr 1
		.amdhsa_next_free_sgpr 1
		.amdhsa_named_barrier_count 0
		.amdhsa_reserve_vcc 0
		.amdhsa_float_round_mode_32 0
		.amdhsa_float_round_mode_16_64 0
		.amdhsa_float_denorm_mode_32 3
		.amdhsa_float_denorm_mode_16_64 3
		.amdhsa_fp16_overflow 0
		.amdhsa_memory_ordered 1
		.amdhsa_forward_progress 1
		.amdhsa_inst_pref_size 0
		.amdhsa_round_robin_scheduling 0
		.amdhsa_exception_fp_ieee_invalid_op 0
		.amdhsa_exception_fp_denorm_src 0
		.amdhsa_exception_fp_ieee_div_zero 0
		.amdhsa_exception_fp_ieee_overflow 0
		.amdhsa_exception_fp_ieee_underflow 0
		.amdhsa_exception_fp_ieee_inexact 0
		.amdhsa_exception_int_div_zero 0
	.end_amdhsa_kernel
	.section	.text._ZN7rocprim17ROCPRIM_400000_NS6detail17trampoline_kernelINS0_14default_configENS1_32segmented_reduce_config_selectorIdEEZNS1_21segmented_reduce_implIS3_PKdPdPKldN6hipcub16HIPCUB_304000_NS6detail27convert_result_type_wrapperIS8_S9_N2at6native12_GLOBAL__N_110CustomProdEEEEE10hipError_tPvRmT0_T1_jT2_SQ_T4_T3_P12ihipStream_tbEUlT_E_NS1_11comp_targetILNS1_3genE4ELNS1_11target_archE910ELNS1_3gpuE8ELNS1_3repE0EEENS1_30default_config_static_selectorELNS0_4arch9wavefront6targetE0EEEvSP_,"axG",@progbits,_ZN7rocprim17ROCPRIM_400000_NS6detail17trampoline_kernelINS0_14default_configENS1_32segmented_reduce_config_selectorIdEEZNS1_21segmented_reduce_implIS3_PKdPdPKldN6hipcub16HIPCUB_304000_NS6detail27convert_result_type_wrapperIS8_S9_N2at6native12_GLOBAL__N_110CustomProdEEEEE10hipError_tPvRmT0_T1_jT2_SQ_T4_T3_P12ihipStream_tbEUlT_E_NS1_11comp_targetILNS1_3genE4ELNS1_11target_archE910ELNS1_3gpuE8ELNS1_3repE0EEENS1_30default_config_static_selectorELNS0_4arch9wavefront6targetE0EEEvSP_,comdat
.Lfunc_end173:
	.size	_ZN7rocprim17ROCPRIM_400000_NS6detail17trampoline_kernelINS0_14default_configENS1_32segmented_reduce_config_selectorIdEEZNS1_21segmented_reduce_implIS3_PKdPdPKldN6hipcub16HIPCUB_304000_NS6detail27convert_result_type_wrapperIS8_S9_N2at6native12_GLOBAL__N_110CustomProdEEEEE10hipError_tPvRmT0_T1_jT2_SQ_T4_T3_P12ihipStream_tbEUlT_E_NS1_11comp_targetILNS1_3genE4ELNS1_11target_archE910ELNS1_3gpuE8ELNS1_3repE0EEENS1_30default_config_static_selectorELNS0_4arch9wavefront6targetE0EEEvSP_, .Lfunc_end173-_ZN7rocprim17ROCPRIM_400000_NS6detail17trampoline_kernelINS0_14default_configENS1_32segmented_reduce_config_selectorIdEEZNS1_21segmented_reduce_implIS3_PKdPdPKldN6hipcub16HIPCUB_304000_NS6detail27convert_result_type_wrapperIS8_S9_N2at6native12_GLOBAL__N_110CustomProdEEEEE10hipError_tPvRmT0_T1_jT2_SQ_T4_T3_P12ihipStream_tbEUlT_E_NS1_11comp_targetILNS1_3genE4ELNS1_11target_archE910ELNS1_3gpuE8ELNS1_3repE0EEENS1_30default_config_static_selectorELNS0_4arch9wavefront6targetE0EEEvSP_
                                        ; -- End function
	.set _ZN7rocprim17ROCPRIM_400000_NS6detail17trampoline_kernelINS0_14default_configENS1_32segmented_reduce_config_selectorIdEEZNS1_21segmented_reduce_implIS3_PKdPdPKldN6hipcub16HIPCUB_304000_NS6detail27convert_result_type_wrapperIS8_S9_N2at6native12_GLOBAL__N_110CustomProdEEEEE10hipError_tPvRmT0_T1_jT2_SQ_T4_T3_P12ihipStream_tbEUlT_E_NS1_11comp_targetILNS1_3genE4ELNS1_11target_archE910ELNS1_3gpuE8ELNS1_3repE0EEENS1_30default_config_static_selectorELNS0_4arch9wavefront6targetE0EEEvSP_.num_vgpr, 0
	.set _ZN7rocprim17ROCPRIM_400000_NS6detail17trampoline_kernelINS0_14default_configENS1_32segmented_reduce_config_selectorIdEEZNS1_21segmented_reduce_implIS3_PKdPdPKldN6hipcub16HIPCUB_304000_NS6detail27convert_result_type_wrapperIS8_S9_N2at6native12_GLOBAL__N_110CustomProdEEEEE10hipError_tPvRmT0_T1_jT2_SQ_T4_T3_P12ihipStream_tbEUlT_E_NS1_11comp_targetILNS1_3genE4ELNS1_11target_archE910ELNS1_3gpuE8ELNS1_3repE0EEENS1_30default_config_static_selectorELNS0_4arch9wavefront6targetE0EEEvSP_.num_agpr, 0
	.set _ZN7rocprim17ROCPRIM_400000_NS6detail17trampoline_kernelINS0_14default_configENS1_32segmented_reduce_config_selectorIdEEZNS1_21segmented_reduce_implIS3_PKdPdPKldN6hipcub16HIPCUB_304000_NS6detail27convert_result_type_wrapperIS8_S9_N2at6native12_GLOBAL__N_110CustomProdEEEEE10hipError_tPvRmT0_T1_jT2_SQ_T4_T3_P12ihipStream_tbEUlT_E_NS1_11comp_targetILNS1_3genE4ELNS1_11target_archE910ELNS1_3gpuE8ELNS1_3repE0EEENS1_30default_config_static_selectorELNS0_4arch9wavefront6targetE0EEEvSP_.numbered_sgpr, 0
	.set _ZN7rocprim17ROCPRIM_400000_NS6detail17trampoline_kernelINS0_14default_configENS1_32segmented_reduce_config_selectorIdEEZNS1_21segmented_reduce_implIS3_PKdPdPKldN6hipcub16HIPCUB_304000_NS6detail27convert_result_type_wrapperIS8_S9_N2at6native12_GLOBAL__N_110CustomProdEEEEE10hipError_tPvRmT0_T1_jT2_SQ_T4_T3_P12ihipStream_tbEUlT_E_NS1_11comp_targetILNS1_3genE4ELNS1_11target_archE910ELNS1_3gpuE8ELNS1_3repE0EEENS1_30default_config_static_selectorELNS0_4arch9wavefront6targetE0EEEvSP_.num_named_barrier, 0
	.set _ZN7rocprim17ROCPRIM_400000_NS6detail17trampoline_kernelINS0_14default_configENS1_32segmented_reduce_config_selectorIdEEZNS1_21segmented_reduce_implIS3_PKdPdPKldN6hipcub16HIPCUB_304000_NS6detail27convert_result_type_wrapperIS8_S9_N2at6native12_GLOBAL__N_110CustomProdEEEEE10hipError_tPvRmT0_T1_jT2_SQ_T4_T3_P12ihipStream_tbEUlT_E_NS1_11comp_targetILNS1_3genE4ELNS1_11target_archE910ELNS1_3gpuE8ELNS1_3repE0EEENS1_30default_config_static_selectorELNS0_4arch9wavefront6targetE0EEEvSP_.private_seg_size, 0
	.set _ZN7rocprim17ROCPRIM_400000_NS6detail17trampoline_kernelINS0_14default_configENS1_32segmented_reduce_config_selectorIdEEZNS1_21segmented_reduce_implIS3_PKdPdPKldN6hipcub16HIPCUB_304000_NS6detail27convert_result_type_wrapperIS8_S9_N2at6native12_GLOBAL__N_110CustomProdEEEEE10hipError_tPvRmT0_T1_jT2_SQ_T4_T3_P12ihipStream_tbEUlT_E_NS1_11comp_targetILNS1_3genE4ELNS1_11target_archE910ELNS1_3gpuE8ELNS1_3repE0EEENS1_30default_config_static_selectorELNS0_4arch9wavefront6targetE0EEEvSP_.uses_vcc, 0
	.set _ZN7rocprim17ROCPRIM_400000_NS6detail17trampoline_kernelINS0_14default_configENS1_32segmented_reduce_config_selectorIdEEZNS1_21segmented_reduce_implIS3_PKdPdPKldN6hipcub16HIPCUB_304000_NS6detail27convert_result_type_wrapperIS8_S9_N2at6native12_GLOBAL__N_110CustomProdEEEEE10hipError_tPvRmT0_T1_jT2_SQ_T4_T3_P12ihipStream_tbEUlT_E_NS1_11comp_targetILNS1_3genE4ELNS1_11target_archE910ELNS1_3gpuE8ELNS1_3repE0EEENS1_30default_config_static_selectorELNS0_4arch9wavefront6targetE0EEEvSP_.uses_flat_scratch, 0
	.set _ZN7rocprim17ROCPRIM_400000_NS6detail17trampoline_kernelINS0_14default_configENS1_32segmented_reduce_config_selectorIdEEZNS1_21segmented_reduce_implIS3_PKdPdPKldN6hipcub16HIPCUB_304000_NS6detail27convert_result_type_wrapperIS8_S9_N2at6native12_GLOBAL__N_110CustomProdEEEEE10hipError_tPvRmT0_T1_jT2_SQ_T4_T3_P12ihipStream_tbEUlT_E_NS1_11comp_targetILNS1_3genE4ELNS1_11target_archE910ELNS1_3gpuE8ELNS1_3repE0EEENS1_30default_config_static_selectorELNS0_4arch9wavefront6targetE0EEEvSP_.has_dyn_sized_stack, 0
	.set _ZN7rocprim17ROCPRIM_400000_NS6detail17trampoline_kernelINS0_14default_configENS1_32segmented_reduce_config_selectorIdEEZNS1_21segmented_reduce_implIS3_PKdPdPKldN6hipcub16HIPCUB_304000_NS6detail27convert_result_type_wrapperIS8_S9_N2at6native12_GLOBAL__N_110CustomProdEEEEE10hipError_tPvRmT0_T1_jT2_SQ_T4_T3_P12ihipStream_tbEUlT_E_NS1_11comp_targetILNS1_3genE4ELNS1_11target_archE910ELNS1_3gpuE8ELNS1_3repE0EEENS1_30default_config_static_selectorELNS0_4arch9wavefront6targetE0EEEvSP_.has_recursion, 0
	.set _ZN7rocprim17ROCPRIM_400000_NS6detail17trampoline_kernelINS0_14default_configENS1_32segmented_reduce_config_selectorIdEEZNS1_21segmented_reduce_implIS3_PKdPdPKldN6hipcub16HIPCUB_304000_NS6detail27convert_result_type_wrapperIS8_S9_N2at6native12_GLOBAL__N_110CustomProdEEEEE10hipError_tPvRmT0_T1_jT2_SQ_T4_T3_P12ihipStream_tbEUlT_E_NS1_11comp_targetILNS1_3genE4ELNS1_11target_archE910ELNS1_3gpuE8ELNS1_3repE0EEENS1_30default_config_static_selectorELNS0_4arch9wavefront6targetE0EEEvSP_.has_indirect_call, 0
	.section	.AMDGPU.csdata,"",@progbits
; Kernel info:
; codeLenInByte = 0
; TotalNumSgprs: 0
; NumVgprs: 0
; ScratchSize: 0
; MemoryBound: 0
; FloatMode: 240
; IeeeMode: 1
; LDSByteSize: 0 bytes/workgroup (compile time only)
; SGPRBlocks: 0
; VGPRBlocks: 0
; NumSGPRsForWavesPerEU: 1
; NumVGPRsForWavesPerEU: 1
; NamedBarCnt: 0
; Occupancy: 16
; WaveLimiterHint : 0
; COMPUTE_PGM_RSRC2:SCRATCH_EN: 0
; COMPUTE_PGM_RSRC2:USER_SGPR: 2
; COMPUTE_PGM_RSRC2:TRAP_HANDLER: 0
; COMPUTE_PGM_RSRC2:TGID_X_EN: 1
; COMPUTE_PGM_RSRC2:TGID_Y_EN: 0
; COMPUTE_PGM_RSRC2:TGID_Z_EN: 0
; COMPUTE_PGM_RSRC2:TIDIG_COMP_CNT: 0
	.section	.text._ZN7rocprim17ROCPRIM_400000_NS6detail17trampoline_kernelINS0_14default_configENS1_32segmented_reduce_config_selectorIdEEZNS1_21segmented_reduce_implIS3_PKdPdPKldN6hipcub16HIPCUB_304000_NS6detail27convert_result_type_wrapperIS8_S9_N2at6native12_GLOBAL__N_110CustomProdEEEEE10hipError_tPvRmT0_T1_jT2_SQ_T4_T3_P12ihipStream_tbEUlT_E_NS1_11comp_targetILNS1_3genE3ELNS1_11target_archE908ELNS1_3gpuE7ELNS1_3repE0EEENS1_30default_config_static_selectorELNS0_4arch9wavefront6targetE0EEEvSP_,"axG",@progbits,_ZN7rocprim17ROCPRIM_400000_NS6detail17trampoline_kernelINS0_14default_configENS1_32segmented_reduce_config_selectorIdEEZNS1_21segmented_reduce_implIS3_PKdPdPKldN6hipcub16HIPCUB_304000_NS6detail27convert_result_type_wrapperIS8_S9_N2at6native12_GLOBAL__N_110CustomProdEEEEE10hipError_tPvRmT0_T1_jT2_SQ_T4_T3_P12ihipStream_tbEUlT_E_NS1_11comp_targetILNS1_3genE3ELNS1_11target_archE908ELNS1_3gpuE7ELNS1_3repE0EEENS1_30default_config_static_selectorELNS0_4arch9wavefront6targetE0EEEvSP_,comdat
	.globl	_ZN7rocprim17ROCPRIM_400000_NS6detail17trampoline_kernelINS0_14default_configENS1_32segmented_reduce_config_selectorIdEEZNS1_21segmented_reduce_implIS3_PKdPdPKldN6hipcub16HIPCUB_304000_NS6detail27convert_result_type_wrapperIS8_S9_N2at6native12_GLOBAL__N_110CustomProdEEEEE10hipError_tPvRmT0_T1_jT2_SQ_T4_T3_P12ihipStream_tbEUlT_E_NS1_11comp_targetILNS1_3genE3ELNS1_11target_archE908ELNS1_3gpuE7ELNS1_3repE0EEENS1_30default_config_static_selectorELNS0_4arch9wavefront6targetE0EEEvSP_ ; -- Begin function _ZN7rocprim17ROCPRIM_400000_NS6detail17trampoline_kernelINS0_14default_configENS1_32segmented_reduce_config_selectorIdEEZNS1_21segmented_reduce_implIS3_PKdPdPKldN6hipcub16HIPCUB_304000_NS6detail27convert_result_type_wrapperIS8_S9_N2at6native12_GLOBAL__N_110CustomProdEEEEE10hipError_tPvRmT0_T1_jT2_SQ_T4_T3_P12ihipStream_tbEUlT_E_NS1_11comp_targetILNS1_3genE3ELNS1_11target_archE908ELNS1_3gpuE7ELNS1_3repE0EEENS1_30default_config_static_selectorELNS0_4arch9wavefront6targetE0EEEvSP_
	.p2align	8
	.type	_ZN7rocprim17ROCPRIM_400000_NS6detail17trampoline_kernelINS0_14default_configENS1_32segmented_reduce_config_selectorIdEEZNS1_21segmented_reduce_implIS3_PKdPdPKldN6hipcub16HIPCUB_304000_NS6detail27convert_result_type_wrapperIS8_S9_N2at6native12_GLOBAL__N_110CustomProdEEEEE10hipError_tPvRmT0_T1_jT2_SQ_T4_T3_P12ihipStream_tbEUlT_E_NS1_11comp_targetILNS1_3genE3ELNS1_11target_archE908ELNS1_3gpuE7ELNS1_3repE0EEENS1_30default_config_static_selectorELNS0_4arch9wavefront6targetE0EEEvSP_,@function
_ZN7rocprim17ROCPRIM_400000_NS6detail17trampoline_kernelINS0_14default_configENS1_32segmented_reduce_config_selectorIdEEZNS1_21segmented_reduce_implIS3_PKdPdPKldN6hipcub16HIPCUB_304000_NS6detail27convert_result_type_wrapperIS8_S9_N2at6native12_GLOBAL__N_110CustomProdEEEEE10hipError_tPvRmT0_T1_jT2_SQ_T4_T3_P12ihipStream_tbEUlT_E_NS1_11comp_targetILNS1_3genE3ELNS1_11target_archE908ELNS1_3gpuE7ELNS1_3repE0EEENS1_30default_config_static_selectorELNS0_4arch9wavefront6targetE0EEEvSP_: ; @_ZN7rocprim17ROCPRIM_400000_NS6detail17trampoline_kernelINS0_14default_configENS1_32segmented_reduce_config_selectorIdEEZNS1_21segmented_reduce_implIS3_PKdPdPKldN6hipcub16HIPCUB_304000_NS6detail27convert_result_type_wrapperIS8_S9_N2at6native12_GLOBAL__N_110CustomProdEEEEE10hipError_tPvRmT0_T1_jT2_SQ_T4_T3_P12ihipStream_tbEUlT_E_NS1_11comp_targetILNS1_3genE3ELNS1_11target_archE908ELNS1_3gpuE7ELNS1_3repE0EEENS1_30default_config_static_selectorELNS0_4arch9wavefront6targetE0EEEvSP_
; %bb.0:
	.section	.rodata,"a",@progbits
	.p2align	6, 0x0
	.amdhsa_kernel _ZN7rocprim17ROCPRIM_400000_NS6detail17trampoline_kernelINS0_14default_configENS1_32segmented_reduce_config_selectorIdEEZNS1_21segmented_reduce_implIS3_PKdPdPKldN6hipcub16HIPCUB_304000_NS6detail27convert_result_type_wrapperIS8_S9_N2at6native12_GLOBAL__N_110CustomProdEEEEE10hipError_tPvRmT0_T1_jT2_SQ_T4_T3_P12ihipStream_tbEUlT_E_NS1_11comp_targetILNS1_3genE3ELNS1_11target_archE908ELNS1_3gpuE7ELNS1_3repE0EEENS1_30default_config_static_selectorELNS0_4arch9wavefront6targetE0EEEvSP_
		.amdhsa_group_segment_fixed_size 0
		.amdhsa_private_segment_fixed_size 0
		.amdhsa_kernarg_size 56
		.amdhsa_user_sgpr_count 2
		.amdhsa_user_sgpr_dispatch_ptr 0
		.amdhsa_user_sgpr_queue_ptr 0
		.amdhsa_user_sgpr_kernarg_segment_ptr 1
		.amdhsa_user_sgpr_dispatch_id 0
		.amdhsa_user_sgpr_kernarg_preload_length 0
		.amdhsa_user_sgpr_kernarg_preload_offset 0
		.amdhsa_user_sgpr_private_segment_size 0
		.amdhsa_wavefront_size32 1
		.amdhsa_uses_dynamic_stack 0
		.amdhsa_enable_private_segment 0
		.amdhsa_system_sgpr_workgroup_id_x 1
		.amdhsa_system_sgpr_workgroup_id_y 0
		.amdhsa_system_sgpr_workgroup_id_z 0
		.amdhsa_system_sgpr_workgroup_info 0
		.amdhsa_system_vgpr_workitem_id 0
		.amdhsa_next_free_vgpr 1
		.amdhsa_next_free_sgpr 1
		.amdhsa_named_barrier_count 0
		.amdhsa_reserve_vcc 0
		.amdhsa_float_round_mode_32 0
		.amdhsa_float_round_mode_16_64 0
		.amdhsa_float_denorm_mode_32 3
		.amdhsa_float_denorm_mode_16_64 3
		.amdhsa_fp16_overflow 0
		.amdhsa_memory_ordered 1
		.amdhsa_forward_progress 1
		.amdhsa_inst_pref_size 0
		.amdhsa_round_robin_scheduling 0
		.amdhsa_exception_fp_ieee_invalid_op 0
		.amdhsa_exception_fp_denorm_src 0
		.amdhsa_exception_fp_ieee_div_zero 0
		.amdhsa_exception_fp_ieee_overflow 0
		.amdhsa_exception_fp_ieee_underflow 0
		.amdhsa_exception_fp_ieee_inexact 0
		.amdhsa_exception_int_div_zero 0
	.end_amdhsa_kernel
	.section	.text._ZN7rocprim17ROCPRIM_400000_NS6detail17trampoline_kernelINS0_14default_configENS1_32segmented_reduce_config_selectorIdEEZNS1_21segmented_reduce_implIS3_PKdPdPKldN6hipcub16HIPCUB_304000_NS6detail27convert_result_type_wrapperIS8_S9_N2at6native12_GLOBAL__N_110CustomProdEEEEE10hipError_tPvRmT0_T1_jT2_SQ_T4_T3_P12ihipStream_tbEUlT_E_NS1_11comp_targetILNS1_3genE3ELNS1_11target_archE908ELNS1_3gpuE7ELNS1_3repE0EEENS1_30default_config_static_selectorELNS0_4arch9wavefront6targetE0EEEvSP_,"axG",@progbits,_ZN7rocprim17ROCPRIM_400000_NS6detail17trampoline_kernelINS0_14default_configENS1_32segmented_reduce_config_selectorIdEEZNS1_21segmented_reduce_implIS3_PKdPdPKldN6hipcub16HIPCUB_304000_NS6detail27convert_result_type_wrapperIS8_S9_N2at6native12_GLOBAL__N_110CustomProdEEEEE10hipError_tPvRmT0_T1_jT2_SQ_T4_T3_P12ihipStream_tbEUlT_E_NS1_11comp_targetILNS1_3genE3ELNS1_11target_archE908ELNS1_3gpuE7ELNS1_3repE0EEENS1_30default_config_static_selectorELNS0_4arch9wavefront6targetE0EEEvSP_,comdat
.Lfunc_end174:
	.size	_ZN7rocprim17ROCPRIM_400000_NS6detail17trampoline_kernelINS0_14default_configENS1_32segmented_reduce_config_selectorIdEEZNS1_21segmented_reduce_implIS3_PKdPdPKldN6hipcub16HIPCUB_304000_NS6detail27convert_result_type_wrapperIS8_S9_N2at6native12_GLOBAL__N_110CustomProdEEEEE10hipError_tPvRmT0_T1_jT2_SQ_T4_T3_P12ihipStream_tbEUlT_E_NS1_11comp_targetILNS1_3genE3ELNS1_11target_archE908ELNS1_3gpuE7ELNS1_3repE0EEENS1_30default_config_static_selectorELNS0_4arch9wavefront6targetE0EEEvSP_, .Lfunc_end174-_ZN7rocprim17ROCPRIM_400000_NS6detail17trampoline_kernelINS0_14default_configENS1_32segmented_reduce_config_selectorIdEEZNS1_21segmented_reduce_implIS3_PKdPdPKldN6hipcub16HIPCUB_304000_NS6detail27convert_result_type_wrapperIS8_S9_N2at6native12_GLOBAL__N_110CustomProdEEEEE10hipError_tPvRmT0_T1_jT2_SQ_T4_T3_P12ihipStream_tbEUlT_E_NS1_11comp_targetILNS1_3genE3ELNS1_11target_archE908ELNS1_3gpuE7ELNS1_3repE0EEENS1_30default_config_static_selectorELNS0_4arch9wavefront6targetE0EEEvSP_
                                        ; -- End function
	.set _ZN7rocprim17ROCPRIM_400000_NS6detail17trampoline_kernelINS0_14default_configENS1_32segmented_reduce_config_selectorIdEEZNS1_21segmented_reduce_implIS3_PKdPdPKldN6hipcub16HIPCUB_304000_NS6detail27convert_result_type_wrapperIS8_S9_N2at6native12_GLOBAL__N_110CustomProdEEEEE10hipError_tPvRmT0_T1_jT2_SQ_T4_T3_P12ihipStream_tbEUlT_E_NS1_11comp_targetILNS1_3genE3ELNS1_11target_archE908ELNS1_3gpuE7ELNS1_3repE0EEENS1_30default_config_static_selectorELNS0_4arch9wavefront6targetE0EEEvSP_.num_vgpr, 0
	.set _ZN7rocprim17ROCPRIM_400000_NS6detail17trampoline_kernelINS0_14default_configENS1_32segmented_reduce_config_selectorIdEEZNS1_21segmented_reduce_implIS3_PKdPdPKldN6hipcub16HIPCUB_304000_NS6detail27convert_result_type_wrapperIS8_S9_N2at6native12_GLOBAL__N_110CustomProdEEEEE10hipError_tPvRmT0_T1_jT2_SQ_T4_T3_P12ihipStream_tbEUlT_E_NS1_11comp_targetILNS1_3genE3ELNS1_11target_archE908ELNS1_3gpuE7ELNS1_3repE0EEENS1_30default_config_static_selectorELNS0_4arch9wavefront6targetE0EEEvSP_.num_agpr, 0
	.set _ZN7rocprim17ROCPRIM_400000_NS6detail17trampoline_kernelINS0_14default_configENS1_32segmented_reduce_config_selectorIdEEZNS1_21segmented_reduce_implIS3_PKdPdPKldN6hipcub16HIPCUB_304000_NS6detail27convert_result_type_wrapperIS8_S9_N2at6native12_GLOBAL__N_110CustomProdEEEEE10hipError_tPvRmT0_T1_jT2_SQ_T4_T3_P12ihipStream_tbEUlT_E_NS1_11comp_targetILNS1_3genE3ELNS1_11target_archE908ELNS1_3gpuE7ELNS1_3repE0EEENS1_30default_config_static_selectorELNS0_4arch9wavefront6targetE0EEEvSP_.numbered_sgpr, 0
	.set _ZN7rocprim17ROCPRIM_400000_NS6detail17trampoline_kernelINS0_14default_configENS1_32segmented_reduce_config_selectorIdEEZNS1_21segmented_reduce_implIS3_PKdPdPKldN6hipcub16HIPCUB_304000_NS6detail27convert_result_type_wrapperIS8_S9_N2at6native12_GLOBAL__N_110CustomProdEEEEE10hipError_tPvRmT0_T1_jT2_SQ_T4_T3_P12ihipStream_tbEUlT_E_NS1_11comp_targetILNS1_3genE3ELNS1_11target_archE908ELNS1_3gpuE7ELNS1_3repE0EEENS1_30default_config_static_selectorELNS0_4arch9wavefront6targetE0EEEvSP_.num_named_barrier, 0
	.set _ZN7rocprim17ROCPRIM_400000_NS6detail17trampoline_kernelINS0_14default_configENS1_32segmented_reduce_config_selectorIdEEZNS1_21segmented_reduce_implIS3_PKdPdPKldN6hipcub16HIPCUB_304000_NS6detail27convert_result_type_wrapperIS8_S9_N2at6native12_GLOBAL__N_110CustomProdEEEEE10hipError_tPvRmT0_T1_jT2_SQ_T4_T3_P12ihipStream_tbEUlT_E_NS1_11comp_targetILNS1_3genE3ELNS1_11target_archE908ELNS1_3gpuE7ELNS1_3repE0EEENS1_30default_config_static_selectorELNS0_4arch9wavefront6targetE0EEEvSP_.private_seg_size, 0
	.set _ZN7rocprim17ROCPRIM_400000_NS6detail17trampoline_kernelINS0_14default_configENS1_32segmented_reduce_config_selectorIdEEZNS1_21segmented_reduce_implIS3_PKdPdPKldN6hipcub16HIPCUB_304000_NS6detail27convert_result_type_wrapperIS8_S9_N2at6native12_GLOBAL__N_110CustomProdEEEEE10hipError_tPvRmT0_T1_jT2_SQ_T4_T3_P12ihipStream_tbEUlT_E_NS1_11comp_targetILNS1_3genE3ELNS1_11target_archE908ELNS1_3gpuE7ELNS1_3repE0EEENS1_30default_config_static_selectorELNS0_4arch9wavefront6targetE0EEEvSP_.uses_vcc, 0
	.set _ZN7rocprim17ROCPRIM_400000_NS6detail17trampoline_kernelINS0_14default_configENS1_32segmented_reduce_config_selectorIdEEZNS1_21segmented_reduce_implIS3_PKdPdPKldN6hipcub16HIPCUB_304000_NS6detail27convert_result_type_wrapperIS8_S9_N2at6native12_GLOBAL__N_110CustomProdEEEEE10hipError_tPvRmT0_T1_jT2_SQ_T4_T3_P12ihipStream_tbEUlT_E_NS1_11comp_targetILNS1_3genE3ELNS1_11target_archE908ELNS1_3gpuE7ELNS1_3repE0EEENS1_30default_config_static_selectorELNS0_4arch9wavefront6targetE0EEEvSP_.uses_flat_scratch, 0
	.set _ZN7rocprim17ROCPRIM_400000_NS6detail17trampoline_kernelINS0_14default_configENS1_32segmented_reduce_config_selectorIdEEZNS1_21segmented_reduce_implIS3_PKdPdPKldN6hipcub16HIPCUB_304000_NS6detail27convert_result_type_wrapperIS8_S9_N2at6native12_GLOBAL__N_110CustomProdEEEEE10hipError_tPvRmT0_T1_jT2_SQ_T4_T3_P12ihipStream_tbEUlT_E_NS1_11comp_targetILNS1_3genE3ELNS1_11target_archE908ELNS1_3gpuE7ELNS1_3repE0EEENS1_30default_config_static_selectorELNS0_4arch9wavefront6targetE0EEEvSP_.has_dyn_sized_stack, 0
	.set _ZN7rocprim17ROCPRIM_400000_NS6detail17trampoline_kernelINS0_14default_configENS1_32segmented_reduce_config_selectorIdEEZNS1_21segmented_reduce_implIS3_PKdPdPKldN6hipcub16HIPCUB_304000_NS6detail27convert_result_type_wrapperIS8_S9_N2at6native12_GLOBAL__N_110CustomProdEEEEE10hipError_tPvRmT0_T1_jT2_SQ_T4_T3_P12ihipStream_tbEUlT_E_NS1_11comp_targetILNS1_3genE3ELNS1_11target_archE908ELNS1_3gpuE7ELNS1_3repE0EEENS1_30default_config_static_selectorELNS0_4arch9wavefront6targetE0EEEvSP_.has_recursion, 0
	.set _ZN7rocprim17ROCPRIM_400000_NS6detail17trampoline_kernelINS0_14default_configENS1_32segmented_reduce_config_selectorIdEEZNS1_21segmented_reduce_implIS3_PKdPdPKldN6hipcub16HIPCUB_304000_NS6detail27convert_result_type_wrapperIS8_S9_N2at6native12_GLOBAL__N_110CustomProdEEEEE10hipError_tPvRmT0_T1_jT2_SQ_T4_T3_P12ihipStream_tbEUlT_E_NS1_11comp_targetILNS1_3genE3ELNS1_11target_archE908ELNS1_3gpuE7ELNS1_3repE0EEENS1_30default_config_static_selectorELNS0_4arch9wavefront6targetE0EEEvSP_.has_indirect_call, 0
	.section	.AMDGPU.csdata,"",@progbits
; Kernel info:
; codeLenInByte = 0
; TotalNumSgprs: 0
; NumVgprs: 0
; ScratchSize: 0
; MemoryBound: 0
; FloatMode: 240
; IeeeMode: 1
; LDSByteSize: 0 bytes/workgroup (compile time only)
; SGPRBlocks: 0
; VGPRBlocks: 0
; NumSGPRsForWavesPerEU: 1
; NumVGPRsForWavesPerEU: 1
; NamedBarCnt: 0
; Occupancy: 16
; WaveLimiterHint : 0
; COMPUTE_PGM_RSRC2:SCRATCH_EN: 0
; COMPUTE_PGM_RSRC2:USER_SGPR: 2
; COMPUTE_PGM_RSRC2:TRAP_HANDLER: 0
; COMPUTE_PGM_RSRC2:TGID_X_EN: 1
; COMPUTE_PGM_RSRC2:TGID_Y_EN: 0
; COMPUTE_PGM_RSRC2:TGID_Z_EN: 0
; COMPUTE_PGM_RSRC2:TIDIG_COMP_CNT: 0
	.section	.text._ZN7rocprim17ROCPRIM_400000_NS6detail17trampoline_kernelINS0_14default_configENS1_32segmented_reduce_config_selectorIdEEZNS1_21segmented_reduce_implIS3_PKdPdPKldN6hipcub16HIPCUB_304000_NS6detail27convert_result_type_wrapperIS8_S9_N2at6native12_GLOBAL__N_110CustomProdEEEEE10hipError_tPvRmT0_T1_jT2_SQ_T4_T3_P12ihipStream_tbEUlT_E_NS1_11comp_targetILNS1_3genE2ELNS1_11target_archE906ELNS1_3gpuE6ELNS1_3repE0EEENS1_30default_config_static_selectorELNS0_4arch9wavefront6targetE0EEEvSP_,"axG",@progbits,_ZN7rocprim17ROCPRIM_400000_NS6detail17trampoline_kernelINS0_14default_configENS1_32segmented_reduce_config_selectorIdEEZNS1_21segmented_reduce_implIS3_PKdPdPKldN6hipcub16HIPCUB_304000_NS6detail27convert_result_type_wrapperIS8_S9_N2at6native12_GLOBAL__N_110CustomProdEEEEE10hipError_tPvRmT0_T1_jT2_SQ_T4_T3_P12ihipStream_tbEUlT_E_NS1_11comp_targetILNS1_3genE2ELNS1_11target_archE906ELNS1_3gpuE6ELNS1_3repE0EEENS1_30default_config_static_selectorELNS0_4arch9wavefront6targetE0EEEvSP_,comdat
	.globl	_ZN7rocprim17ROCPRIM_400000_NS6detail17trampoline_kernelINS0_14default_configENS1_32segmented_reduce_config_selectorIdEEZNS1_21segmented_reduce_implIS3_PKdPdPKldN6hipcub16HIPCUB_304000_NS6detail27convert_result_type_wrapperIS8_S9_N2at6native12_GLOBAL__N_110CustomProdEEEEE10hipError_tPvRmT0_T1_jT2_SQ_T4_T3_P12ihipStream_tbEUlT_E_NS1_11comp_targetILNS1_3genE2ELNS1_11target_archE906ELNS1_3gpuE6ELNS1_3repE0EEENS1_30default_config_static_selectorELNS0_4arch9wavefront6targetE0EEEvSP_ ; -- Begin function _ZN7rocprim17ROCPRIM_400000_NS6detail17trampoline_kernelINS0_14default_configENS1_32segmented_reduce_config_selectorIdEEZNS1_21segmented_reduce_implIS3_PKdPdPKldN6hipcub16HIPCUB_304000_NS6detail27convert_result_type_wrapperIS8_S9_N2at6native12_GLOBAL__N_110CustomProdEEEEE10hipError_tPvRmT0_T1_jT2_SQ_T4_T3_P12ihipStream_tbEUlT_E_NS1_11comp_targetILNS1_3genE2ELNS1_11target_archE906ELNS1_3gpuE6ELNS1_3repE0EEENS1_30default_config_static_selectorELNS0_4arch9wavefront6targetE0EEEvSP_
	.p2align	8
	.type	_ZN7rocprim17ROCPRIM_400000_NS6detail17trampoline_kernelINS0_14default_configENS1_32segmented_reduce_config_selectorIdEEZNS1_21segmented_reduce_implIS3_PKdPdPKldN6hipcub16HIPCUB_304000_NS6detail27convert_result_type_wrapperIS8_S9_N2at6native12_GLOBAL__N_110CustomProdEEEEE10hipError_tPvRmT0_T1_jT2_SQ_T4_T3_P12ihipStream_tbEUlT_E_NS1_11comp_targetILNS1_3genE2ELNS1_11target_archE906ELNS1_3gpuE6ELNS1_3repE0EEENS1_30default_config_static_selectorELNS0_4arch9wavefront6targetE0EEEvSP_,@function
_ZN7rocprim17ROCPRIM_400000_NS6detail17trampoline_kernelINS0_14default_configENS1_32segmented_reduce_config_selectorIdEEZNS1_21segmented_reduce_implIS3_PKdPdPKldN6hipcub16HIPCUB_304000_NS6detail27convert_result_type_wrapperIS8_S9_N2at6native12_GLOBAL__N_110CustomProdEEEEE10hipError_tPvRmT0_T1_jT2_SQ_T4_T3_P12ihipStream_tbEUlT_E_NS1_11comp_targetILNS1_3genE2ELNS1_11target_archE906ELNS1_3gpuE6ELNS1_3repE0EEENS1_30default_config_static_selectorELNS0_4arch9wavefront6targetE0EEEvSP_: ; @_ZN7rocprim17ROCPRIM_400000_NS6detail17trampoline_kernelINS0_14default_configENS1_32segmented_reduce_config_selectorIdEEZNS1_21segmented_reduce_implIS3_PKdPdPKldN6hipcub16HIPCUB_304000_NS6detail27convert_result_type_wrapperIS8_S9_N2at6native12_GLOBAL__N_110CustomProdEEEEE10hipError_tPvRmT0_T1_jT2_SQ_T4_T3_P12ihipStream_tbEUlT_E_NS1_11comp_targetILNS1_3genE2ELNS1_11target_archE906ELNS1_3gpuE6ELNS1_3repE0EEENS1_30default_config_static_selectorELNS0_4arch9wavefront6targetE0EEEvSP_
; %bb.0:
	.section	.rodata,"a",@progbits
	.p2align	6, 0x0
	.amdhsa_kernel _ZN7rocprim17ROCPRIM_400000_NS6detail17trampoline_kernelINS0_14default_configENS1_32segmented_reduce_config_selectorIdEEZNS1_21segmented_reduce_implIS3_PKdPdPKldN6hipcub16HIPCUB_304000_NS6detail27convert_result_type_wrapperIS8_S9_N2at6native12_GLOBAL__N_110CustomProdEEEEE10hipError_tPvRmT0_T1_jT2_SQ_T4_T3_P12ihipStream_tbEUlT_E_NS1_11comp_targetILNS1_3genE2ELNS1_11target_archE906ELNS1_3gpuE6ELNS1_3repE0EEENS1_30default_config_static_selectorELNS0_4arch9wavefront6targetE0EEEvSP_
		.amdhsa_group_segment_fixed_size 0
		.amdhsa_private_segment_fixed_size 0
		.amdhsa_kernarg_size 56
		.amdhsa_user_sgpr_count 2
		.amdhsa_user_sgpr_dispatch_ptr 0
		.amdhsa_user_sgpr_queue_ptr 0
		.amdhsa_user_sgpr_kernarg_segment_ptr 1
		.amdhsa_user_sgpr_dispatch_id 0
		.amdhsa_user_sgpr_kernarg_preload_length 0
		.amdhsa_user_sgpr_kernarg_preload_offset 0
		.amdhsa_user_sgpr_private_segment_size 0
		.amdhsa_wavefront_size32 1
		.amdhsa_uses_dynamic_stack 0
		.amdhsa_enable_private_segment 0
		.amdhsa_system_sgpr_workgroup_id_x 1
		.amdhsa_system_sgpr_workgroup_id_y 0
		.amdhsa_system_sgpr_workgroup_id_z 0
		.amdhsa_system_sgpr_workgroup_info 0
		.amdhsa_system_vgpr_workitem_id 0
		.amdhsa_next_free_vgpr 1
		.amdhsa_next_free_sgpr 1
		.amdhsa_named_barrier_count 0
		.amdhsa_reserve_vcc 0
		.amdhsa_float_round_mode_32 0
		.amdhsa_float_round_mode_16_64 0
		.amdhsa_float_denorm_mode_32 3
		.amdhsa_float_denorm_mode_16_64 3
		.amdhsa_fp16_overflow 0
		.amdhsa_memory_ordered 1
		.amdhsa_forward_progress 1
		.amdhsa_inst_pref_size 0
		.amdhsa_round_robin_scheduling 0
		.amdhsa_exception_fp_ieee_invalid_op 0
		.amdhsa_exception_fp_denorm_src 0
		.amdhsa_exception_fp_ieee_div_zero 0
		.amdhsa_exception_fp_ieee_overflow 0
		.amdhsa_exception_fp_ieee_underflow 0
		.amdhsa_exception_fp_ieee_inexact 0
		.amdhsa_exception_int_div_zero 0
	.end_amdhsa_kernel
	.section	.text._ZN7rocprim17ROCPRIM_400000_NS6detail17trampoline_kernelINS0_14default_configENS1_32segmented_reduce_config_selectorIdEEZNS1_21segmented_reduce_implIS3_PKdPdPKldN6hipcub16HIPCUB_304000_NS6detail27convert_result_type_wrapperIS8_S9_N2at6native12_GLOBAL__N_110CustomProdEEEEE10hipError_tPvRmT0_T1_jT2_SQ_T4_T3_P12ihipStream_tbEUlT_E_NS1_11comp_targetILNS1_3genE2ELNS1_11target_archE906ELNS1_3gpuE6ELNS1_3repE0EEENS1_30default_config_static_selectorELNS0_4arch9wavefront6targetE0EEEvSP_,"axG",@progbits,_ZN7rocprim17ROCPRIM_400000_NS6detail17trampoline_kernelINS0_14default_configENS1_32segmented_reduce_config_selectorIdEEZNS1_21segmented_reduce_implIS3_PKdPdPKldN6hipcub16HIPCUB_304000_NS6detail27convert_result_type_wrapperIS8_S9_N2at6native12_GLOBAL__N_110CustomProdEEEEE10hipError_tPvRmT0_T1_jT2_SQ_T4_T3_P12ihipStream_tbEUlT_E_NS1_11comp_targetILNS1_3genE2ELNS1_11target_archE906ELNS1_3gpuE6ELNS1_3repE0EEENS1_30default_config_static_selectorELNS0_4arch9wavefront6targetE0EEEvSP_,comdat
.Lfunc_end175:
	.size	_ZN7rocprim17ROCPRIM_400000_NS6detail17trampoline_kernelINS0_14default_configENS1_32segmented_reduce_config_selectorIdEEZNS1_21segmented_reduce_implIS3_PKdPdPKldN6hipcub16HIPCUB_304000_NS6detail27convert_result_type_wrapperIS8_S9_N2at6native12_GLOBAL__N_110CustomProdEEEEE10hipError_tPvRmT0_T1_jT2_SQ_T4_T3_P12ihipStream_tbEUlT_E_NS1_11comp_targetILNS1_3genE2ELNS1_11target_archE906ELNS1_3gpuE6ELNS1_3repE0EEENS1_30default_config_static_selectorELNS0_4arch9wavefront6targetE0EEEvSP_, .Lfunc_end175-_ZN7rocprim17ROCPRIM_400000_NS6detail17trampoline_kernelINS0_14default_configENS1_32segmented_reduce_config_selectorIdEEZNS1_21segmented_reduce_implIS3_PKdPdPKldN6hipcub16HIPCUB_304000_NS6detail27convert_result_type_wrapperIS8_S9_N2at6native12_GLOBAL__N_110CustomProdEEEEE10hipError_tPvRmT0_T1_jT2_SQ_T4_T3_P12ihipStream_tbEUlT_E_NS1_11comp_targetILNS1_3genE2ELNS1_11target_archE906ELNS1_3gpuE6ELNS1_3repE0EEENS1_30default_config_static_selectorELNS0_4arch9wavefront6targetE0EEEvSP_
                                        ; -- End function
	.set _ZN7rocprim17ROCPRIM_400000_NS6detail17trampoline_kernelINS0_14default_configENS1_32segmented_reduce_config_selectorIdEEZNS1_21segmented_reduce_implIS3_PKdPdPKldN6hipcub16HIPCUB_304000_NS6detail27convert_result_type_wrapperIS8_S9_N2at6native12_GLOBAL__N_110CustomProdEEEEE10hipError_tPvRmT0_T1_jT2_SQ_T4_T3_P12ihipStream_tbEUlT_E_NS1_11comp_targetILNS1_3genE2ELNS1_11target_archE906ELNS1_3gpuE6ELNS1_3repE0EEENS1_30default_config_static_selectorELNS0_4arch9wavefront6targetE0EEEvSP_.num_vgpr, 0
	.set _ZN7rocprim17ROCPRIM_400000_NS6detail17trampoline_kernelINS0_14default_configENS1_32segmented_reduce_config_selectorIdEEZNS1_21segmented_reduce_implIS3_PKdPdPKldN6hipcub16HIPCUB_304000_NS6detail27convert_result_type_wrapperIS8_S9_N2at6native12_GLOBAL__N_110CustomProdEEEEE10hipError_tPvRmT0_T1_jT2_SQ_T4_T3_P12ihipStream_tbEUlT_E_NS1_11comp_targetILNS1_3genE2ELNS1_11target_archE906ELNS1_3gpuE6ELNS1_3repE0EEENS1_30default_config_static_selectorELNS0_4arch9wavefront6targetE0EEEvSP_.num_agpr, 0
	.set _ZN7rocprim17ROCPRIM_400000_NS6detail17trampoline_kernelINS0_14default_configENS1_32segmented_reduce_config_selectorIdEEZNS1_21segmented_reduce_implIS3_PKdPdPKldN6hipcub16HIPCUB_304000_NS6detail27convert_result_type_wrapperIS8_S9_N2at6native12_GLOBAL__N_110CustomProdEEEEE10hipError_tPvRmT0_T1_jT2_SQ_T4_T3_P12ihipStream_tbEUlT_E_NS1_11comp_targetILNS1_3genE2ELNS1_11target_archE906ELNS1_3gpuE6ELNS1_3repE0EEENS1_30default_config_static_selectorELNS0_4arch9wavefront6targetE0EEEvSP_.numbered_sgpr, 0
	.set _ZN7rocprim17ROCPRIM_400000_NS6detail17trampoline_kernelINS0_14default_configENS1_32segmented_reduce_config_selectorIdEEZNS1_21segmented_reduce_implIS3_PKdPdPKldN6hipcub16HIPCUB_304000_NS6detail27convert_result_type_wrapperIS8_S9_N2at6native12_GLOBAL__N_110CustomProdEEEEE10hipError_tPvRmT0_T1_jT2_SQ_T4_T3_P12ihipStream_tbEUlT_E_NS1_11comp_targetILNS1_3genE2ELNS1_11target_archE906ELNS1_3gpuE6ELNS1_3repE0EEENS1_30default_config_static_selectorELNS0_4arch9wavefront6targetE0EEEvSP_.num_named_barrier, 0
	.set _ZN7rocprim17ROCPRIM_400000_NS6detail17trampoline_kernelINS0_14default_configENS1_32segmented_reduce_config_selectorIdEEZNS1_21segmented_reduce_implIS3_PKdPdPKldN6hipcub16HIPCUB_304000_NS6detail27convert_result_type_wrapperIS8_S9_N2at6native12_GLOBAL__N_110CustomProdEEEEE10hipError_tPvRmT0_T1_jT2_SQ_T4_T3_P12ihipStream_tbEUlT_E_NS1_11comp_targetILNS1_3genE2ELNS1_11target_archE906ELNS1_3gpuE6ELNS1_3repE0EEENS1_30default_config_static_selectorELNS0_4arch9wavefront6targetE0EEEvSP_.private_seg_size, 0
	.set _ZN7rocprim17ROCPRIM_400000_NS6detail17trampoline_kernelINS0_14default_configENS1_32segmented_reduce_config_selectorIdEEZNS1_21segmented_reduce_implIS3_PKdPdPKldN6hipcub16HIPCUB_304000_NS6detail27convert_result_type_wrapperIS8_S9_N2at6native12_GLOBAL__N_110CustomProdEEEEE10hipError_tPvRmT0_T1_jT2_SQ_T4_T3_P12ihipStream_tbEUlT_E_NS1_11comp_targetILNS1_3genE2ELNS1_11target_archE906ELNS1_3gpuE6ELNS1_3repE0EEENS1_30default_config_static_selectorELNS0_4arch9wavefront6targetE0EEEvSP_.uses_vcc, 0
	.set _ZN7rocprim17ROCPRIM_400000_NS6detail17trampoline_kernelINS0_14default_configENS1_32segmented_reduce_config_selectorIdEEZNS1_21segmented_reduce_implIS3_PKdPdPKldN6hipcub16HIPCUB_304000_NS6detail27convert_result_type_wrapperIS8_S9_N2at6native12_GLOBAL__N_110CustomProdEEEEE10hipError_tPvRmT0_T1_jT2_SQ_T4_T3_P12ihipStream_tbEUlT_E_NS1_11comp_targetILNS1_3genE2ELNS1_11target_archE906ELNS1_3gpuE6ELNS1_3repE0EEENS1_30default_config_static_selectorELNS0_4arch9wavefront6targetE0EEEvSP_.uses_flat_scratch, 0
	.set _ZN7rocprim17ROCPRIM_400000_NS6detail17trampoline_kernelINS0_14default_configENS1_32segmented_reduce_config_selectorIdEEZNS1_21segmented_reduce_implIS3_PKdPdPKldN6hipcub16HIPCUB_304000_NS6detail27convert_result_type_wrapperIS8_S9_N2at6native12_GLOBAL__N_110CustomProdEEEEE10hipError_tPvRmT0_T1_jT2_SQ_T4_T3_P12ihipStream_tbEUlT_E_NS1_11comp_targetILNS1_3genE2ELNS1_11target_archE906ELNS1_3gpuE6ELNS1_3repE0EEENS1_30default_config_static_selectorELNS0_4arch9wavefront6targetE0EEEvSP_.has_dyn_sized_stack, 0
	.set _ZN7rocprim17ROCPRIM_400000_NS6detail17trampoline_kernelINS0_14default_configENS1_32segmented_reduce_config_selectorIdEEZNS1_21segmented_reduce_implIS3_PKdPdPKldN6hipcub16HIPCUB_304000_NS6detail27convert_result_type_wrapperIS8_S9_N2at6native12_GLOBAL__N_110CustomProdEEEEE10hipError_tPvRmT0_T1_jT2_SQ_T4_T3_P12ihipStream_tbEUlT_E_NS1_11comp_targetILNS1_3genE2ELNS1_11target_archE906ELNS1_3gpuE6ELNS1_3repE0EEENS1_30default_config_static_selectorELNS0_4arch9wavefront6targetE0EEEvSP_.has_recursion, 0
	.set _ZN7rocprim17ROCPRIM_400000_NS6detail17trampoline_kernelINS0_14default_configENS1_32segmented_reduce_config_selectorIdEEZNS1_21segmented_reduce_implIS3_PKdPdPKldN6hipcub16HIPCUB_304000_NS6detail27convert_result_type_wrapperIS8_S9_N2at6native12_GLOBAL__N_110CustomProdEEEEE10hipError_tPvRmT0_T1_jT2_SQ_T4_T3_P12ihipStream_tbEUlT_E_NS1_11comp_targetILNS1_3genE2ELNS1_11target_archE906ELNS1_3gpuE6ELNS1_3repE0EEENS1_30default_config_static_selectorELNS0_4arch9wavefront6targetE0EEEvSP_.has_indirect_call, 0
	.section	.AMDGPU.csdata,"",@progbits
; Kernel info:
; codeLenInByte = 0
; TotalNumSgprs: 0
; NumVgprs: 0
; ScratchSize: 0
; MemoryBound: 0
; FloatMode: 240
; IeeeMode: 1
; LDSByteSize: 0 bytes/workgroup (compile time only)
; SGPRBlocks: 0
; VGPRBlocks: 0
; NumSGPRsForWavesPerEU: 1
; NumVGPRsForWavesPerEU: 1
; NamedBarCnt: 0
; Occupancy: 16
; WaveLimiterHint : 0
; COMPUTE_PGM_RSRC2:SCRATCH_EN: 0
; COMPUTE_PGM_RSRC2:USER_SGPR: 2
; COMPUTE_PGM_RSRC2:TRAP_HANDLER: 0
; COMPUTE_PGM_RSRC2:TGID_X_EN: 1
; COMPUTE_PGM_RSRC2:TGID_Y_EN: 0
; COMPUTE_PGM_RSRC2:TGID_Z_EN: 0
; COMPUTE_PGM_RSRC2:TIDIG_COMP_CNT: 0
	.section	.text._ZN7rocprim17ROCPRIM_400000_NS6detail17trampoline_kernelINS0_14default_configENS1_32segmented_reduce_config_selectorIdEEZNS1_21segmented_reduce_implIS3_PKdPdPKldN6hipcub16HIPCUB_304000_NS6detail27convert_result_type_wrapperIS8_S9_N2at6native12_GLOBAL__N_110CustomProdEEEEE10hipError_tPvRmT0_T1_jT2_SQ_T4_T3_P12ihipStream_tbEUlT_E_NS1_11comp_targetILNS1_3genE9ELNS1_11target_archE1100ELNS1_3gpuE3ELNS1_3repE0EEENS1_30default_config_static_selectorELNS0_4arch9wavefront6targetE0EEEvSP_,"axG",@progbits,_ZN7rocprim17ROCPRIM_400000_NS6detail17trampoline_kernelINS0_14default_configENS1_32segmented_reduce_config_selectorIdEEZNS1_21segmented_reduce_implIS3_PKdPdPKldN6hipcub16HIPCUB_304000_NS6detail27convert_result_type_wrapperIS8_S9_N2at6native12_GLOBAL__N_110CustomProdEEEEE10hipError_tPvRmT0_T1_jT2_SQ_T4_T3_P12ihipStream_tbEUlT_E_NS1_11comp_targetILNS1_3genE9ELNS1_11target_archE1100ELNS1_3gpuE3ELNS1_3repE0EEENS1_30default_config_static_selectorELNS0_4arch9wavefront6targetE0EEEvSP_,comdat
	.globl	_ZN7rocprim17ROCPRIM_400000_NS6detail17trampoline_kernelINS0_14default_configENS1_32segmented_reduce_config_selectorIdEEZNS1_21segmented_reduce_implIS3_PKdPdPKldN6hipcub16HIPCUB_304000_NS6detail27convert_result_type_wrapperIS8_S9_N2at6native12_GLOBAL__N_110CustomProdEEEEE10hipError_tPvRmT0_T1_jT2_SQ_T4_T3_P12ihipStream_tbEUlT_E_NS1_11comp_targetILNS1_3genE9ELNS1_11target_archE1100ELNS1_3gpuE3ELNS1_3repE0EEENS1_30default_config_static_selectorELNS0_4arch9wavefront6targetE0EEEvSP_ ; -- Begin function _ZN7rocprim17ROCPRIM_400000_NS6detail17trampoline_kernelINS0_14default_configENS1_32segmented_reduce_config_selectorIdEEZNS1_21segmented_reduce_implIS3_PKdPdPKldN6hipcub16HIPCUB_304000_NS6detail27convert_result_type_wrapperIS8_S9_N2at6native12_GLOBAL__N_110CustomProdEEEEE10hipError_tPvRmT0_T1_jT2_SQ_T4_T3_P12ihipStream_tbEUlT_E_NS1_11comp_targetILNS1_3genE9ELNS1_11target_archE1100ELNS1_3gpuE3ELNS1_3repE0EEENS1_30default_config_static_selectorELNS0_4arch9wavefront6targetE0EEEvSP_
	.p2align	8
	.type	_ZN7rocprim17ROCPRIM_400000_NS6detail17trampoline_kernelINS0_14default_configENS1_32segmented_reduce_config_selectorIdEEZNS1_21segmented_reduce_implIS3_PKdPdPKldN6hipcub16HIPCUB_304000_NS6detail27convert_result_type_wrapperIS8_S9_N2at6native12_GLOBAL__N_110CustomProdEEEEE10hipError_tPvRmT0_T1_jT2_SQ_T4_T3_P12ihipStream_tbEUlT_E_NS1_11comp_targetILNS1_3genE9ELNS1_11target_archE1100ELNS1_3gpuE3ELNS1_3repE0EEENS1_30default_config_static_selectorELNS0_4arch9wavefront6targetE0EEEvSP_,@function
_ZN7rocprim17ROCPRIM_400000_NS6detail17trampoline_kernelINS0_14default_configENS1_32segmented_reduce_config_selectorIdEEZNS1_21segmented_reduce_implIS3_PKdPdPKldN6hipcub16HIPCUB_304000_NS6detail27convert_result_type_wrapperIS8_S9_N2at6native12_GLOBAL__N_110CustomProdEEEEE10hipError_tPvRmT0_T1_jT2_SQ_T4_T3_P12ihipStream_tbEUlT_E_NS1_11comp_targetILNS1_3genE9ELNS1_11target_archE1100ELNS1_3gpuE3ELNS1_3repE0EEENS1_30default_config_static_selectorELNS0_4arch9wavefront6targetE0EEEvSP_: ; @_ZN7rocprim17ROCPRIM_400000_NS6detail17trampoline_kernelINS0_14default_configENS1_32segmented_reduce_config_selectorIdEEZNS1_21segmented_reduce_implIS3_PKdPdPKldN6hipcub16HIPCUB_304000_NS6detail27convert_result_type_wrapperIS8_S9_N2at6native12_GLOBAL__N_110CustomProdEEEEE10hipError_tPvRmT0_T1_jT2_SQ_T4_T3_P12ihipStream_tbEUlT_E_NS1_11comp_targetILNS1_3genE9ELNS1_11target_archE1100ELNS1_3gpuE3ELNS1_3repE0EEENS1_30default_config_static_selectorELNS0_4arch9wavefront6targetE0EEEvSP_
; %bb.0:
	.section	.rodata,"a",@progbits
	.p2align	6, 0x0
	.amdhsa_kernel _ZN7rocprim17ROCPRIM_400000_NS6detail17trampoline_kernelINS0_14default_configENS1_32segmented_reduce_config_selectorIdEEZNS1_21segmented_reduce_implIS3_PKdPdPKldN6hipcub16HIPCUB_304000_NS6detail27convert_result_type_wrapperIS8_S9_N2at6native12_GLOBAL__N_110CustomProdEEEEE10hipError_tPvRmT0_T1_jT2_SQ_T4_T3_P12ihipStream_tbEUlT_E_NS1_11comp_targetILNS1_3genE9ELNS1_11target_archE1100ELNS1_3gpuE3ELNS1_3repE0EEENS1_30default_config_static_selectorELNS0_4arch9wavefront6targetE0EEEvSP_
		.amdhsa_group_segment_fixed_size 0
		.amdhsa_private_segment_fixed_size 0
		.amdhsa_kernarg_size 56
		.amdhsa_user_sgpr_count 2
		.amdhsa_user_sgpr_dispatch_ptr 0
		.amdhsa_user_sgpr_queue_ptr 0
		.amdhsa_user_sgpr_kernarg_segment_ptr 1
		.amdhsa_user_sgpr_dispatch_id 0
		.amdhsa_user_sgpr_kernarg_preload_length 0
		.amdhsa_user_sgpr_kernarg_preload_offset 0
		.amdhsa_user_sgpr_private_segment_size 0
		.amdhsa_wavefront_size32 1
		.amdhsa_uses_dynamic_stack 0
		.amdhsa_enable_private_segment 0
		.amdhsa_system_sgpr_workgroup_id_x 1
		.amdhsa_system_sgpr_workgroup_id_y 0
		.amdhsa_system_sgpr_workgroup_id_z 0
		.amdhsa_system_sgpr_workgroup_info 0
		.amdhsa_system_vgpr_workitem_id 0
		.amdhsa_next_free_vgpr 1
		.amdhsa_next_free_sgpr 1
		.amdhsa_named_barrier_count 0
		.amdhsa_reserve_vcc 0
		.amdhsa_float_round_mode_32 0
		.amdhsa_float_round_mode_16_64 0
		.amdhsa_float_denorm_mode_32 3
		.amdhsa_float_denorm_mode_16_64 3
		.amdhsa_fp16_overflow 0
		.amdhsa_memory_ordered 1
		.amdhsa_forward_progress 1
		.amdhsa_inst_pref_size 0
		.amdhsa_round_robin_scheduling 0
		.amdhsa_exception_fp_ieee_invalid_op 0
		.amdhsa_exception_fp_denorm_src 0
		.amdhsa_exception_fp_ieee_div_zero 0
		.amdhsa_exception_fp_ieee_overflow 0
		.amdhsa_exception_fp_ieee_underflow 0
		.amdhsa_exception_fp_ieee_inexact 0
		.amdhsa_exception_int_div_zero 0
	.end_amdhsa_kernel
	.section	.text._ZN7rocprim17ROCPRIM_400000_NS6detail17trampoline_kernelINS0_14default_configENS1_32segmented_reduce_config_selectorIdEEZNS1_21segmented_reduce_implIS3_PKdPdPKldN6hipcub16HIPCUB_304000_NS6detail27convert_result_type_wrapperIS8_S9_N2at6native12_GLOBAL__N_110CustomProdEEEEE10hipError_tPvRmT0_T1_jT2_SQ_T4_T3_P12ihipStream_tbEUlT_E_NS1_11comp_targetILNS1_3genE9ELNS1_11target_archE1100ELNS1_3gpuE3ELNS1_3repE0EEENS1_30default_config_static_selectorELNS0_4arch9wavefront6targetE0EEEvSP_,"axG",@progbits,_ZN7rocprim17ROCPRIM_400000_NS6detail17trampoline_kernelINS0_14default_configENS1_32segmented_reduce_config_selectorIdEEZNS1_21segmented_reduce_implIS3_PKdPdPKldN6hipcub16HIPCUB_304000_NS6detail27convert_result_type_wrapperIS8_S9_N2at6native12_GLOBAL__N_110CustomProdEEEEE10hipError_tPvRmT0_T1_jT2_SQ_T4_T3_P12ihipStream_tbEUlT_E_NS1_11comp_targetILNS1_3genE9ELNS1_11target_archE1100ELNS1_3gpuE3ELNS1_3repE0EEENS1_30default_config_static_selectorELNS0_4arch9wavefront6targetE0EEEvSP_,comdat
.Lfunc_end176:
	.size	_ZN7rocprim17ROCPRIM_400000_NS6detail17trampoline_kernelINS0_14default_configENS1_32segmented_reduce_config_selectorIdEEZNS1_21segmented_reduce_implIS3_PKdPdPKldN6hipcub16HIPCUB_304000_NS6detail27convert_result_type_wrapperIS8_S9_N2at6native12_GLOBAL__N_110CustomProdEEEEE10hipError_tPvRmT0_T1_jT2_SQ_T4_T3_P12ihipStream_tbEUlT_E_NS1_11comp_targetILNS1_3genE9ELNS1_11target_archE1100ELNS1_3gpuE3ELNS1_3repE0EEENS1_30default_config_static_selectorELNS0_4arch9wavefront6targetE0EEEvSP_, .Lfunc_end176-_ZN7rocprim17ROCPRIM_400000_NS6detail17trampoline_kernelINS0_14default_configENS1_32segmented_reduce_config_selectorIdEEZNS1_21segmented_reduce_implIS3_PKdPdPKldN6hipcub16HIPCUB_304000_NS6detail27convert_result_type_wrapperIS8_S9_N2at6native12_GLOBAL__N_110CustomProdEEEEE10hipError_tPvRmT0_T1_jT2_SQ_T4_T3_P12ihipStream_tbEUlT_E_NS1_11comp_targetILNS1_3genE9ELNS1_11target_archE1100ELNS1_3gpuE3ELNS1_3repE0EEENS1_30default_config_static_selectorELNS0_4arch9wavefront6targetE0EEEvSP_
                                        ; -- End function
	.set _ZN7rocprim17ROCPRIM_400000_NS6detail17trampoline_kernelINS0_14default_configENS1_32segmented_reduce_config_selectorIdEEZNS1_21segmented_reduce_implIS3_PKdPdPKldN6hipcub16HIPCUB_304000_NS6detail27convert_result_type_wrapperIS8_S9_N2at6native12_GLOBAL__N_110CustomProdEEEEE10hipError_tPvRmT0_T1_jT2_SQ_T4_T3_P12ihipStream_tbEUlT_E_NS1_11comp_targetILNS1_3genE9ELNS1_11target_archE1100ELNS1_3gpuE3ELNS1_3repE0EEENS1_30default_config_static_selectorELNS0_4arch9wavefront6targetE0EEEvSP_.num_vgpr, 0
	.set _ZN7rocprim17ROCPRIM_400000_NS6detail17trampoline_kernelINS0_14default_configENS1_32segmented_reduce_config_selectorIdEEZNS1_21segmented_reduce_implIS3_PKdPdPKldN6hipcub16HIPCUB_304000_NS6detail27convert_result_type_wrapperIS8_S9_N2at6native12_GLOBAL__N_110CustomProdEEEEE10hipError_tPvRmT0_T1_jT2_SQ_T4_T3_P12ihipStream_tbEUlT_E_NS1_11comp_targetILNS1_3genE9ELNS1_11target_archE1100ELNS1_3gpuE3ELNS1_3repE0EEENS1_30default_config_static_selectorELNS0_4arch9wavefront6targetE0EEEvSP_.num_agpr, 0
	.set _ZN7rocprim17ROCPRIM_400000_NS6detail17trampoline_kernelINS0_14default_configENS1_32segmented_reduce_config_selectorIdEEZNS1_21segmented_reduce_implIS3_PKdPdPKldN6hipcub16HIPCUB_304000_NS6detail27convert_result_type_wrapperIS8_S9_N2at6native12_GLOBAL__N_110CustomProdEEEEE10hipError_tPvRmT0_T1_jT2_SQ_T4_T3_P12ihipStream_tbEUlT_E_NS1_11comp_targetILNS1_3genE9ELNS1_11target_archE1100ELNS1_3gpuE3ELNS1_3repE0EEENS1_30default_config_static_selectorELNS0_4arch9wavefront6targetE0EEEvSP_.numbered_sgpr, 0
	.set _ZN7rocprim17ROCPRIM_400000_NS6detail17trampoline_kernelINS0_14default_configENS1_32segmented_reduce_config_selectorIdEEZNS1_21segmented_reduce_implIS3_PKdPdPKldN6hipcub16HIPCUB_304000_NS6detail27convert_result_type_wrapperIS8_S9_N2at6native12_GLOBAL__N_110CustomProdEEEEE10hipError_tPvRmT0_T1_jT2_SQ_T4_T3_P12ihipStream_tbEUlT_E_NS1_11comp_targetILNS1_3genE9ELNS1_11target_archE1100ELNS1_3gpuE3ELNS1_3repE0EEENS1_30default_config_static_selectorELNS0_4arch9wavefront6targetE0EEEvSP_.num_named_barrier, 0
	.set _ZN7rocprim17ROCPRIM_400000_NS6detail17trampoline_kernelINS0_14default_configENS1_32segmented_reduce_config_selectorIdEEZNS1_21segmented_reduce_implIS3_PKdPdPKldN6hipcub16HIPCUB_304000_NS6detail27convert_result_type_wrapperIS8_S9_N2at6native12_GLOBAL__N_110CustomProdEEEEE10hipError_tPvRmT0_T1_jT2_SQ_T4_T3_P12ihipStream_tbEUlT_E_NS1_11comp_targetILNS1_3genE9ELNS1_11target_archE1100ELNS1_3gpuE3ELNS1_3repE0EEENS1_30default_config_static_selectorELNS0_4arch9wavefront6targetE0EEEvSP_.private_seg_size, 0
	.set _ZN7rocprim17ROCPRIM_400000_NS6detail17trampoline_kernelINS0_14default_configENS1_32segmented_reduce_config_selectorIdEEZNS1_21segmented_reduce_implIS3_PKdPdPKldN6hipcub16HIPCUB_304000_NS6detail27convert_result_type_wrapperIS8_S9_N2at6native12_GLOBAL__N_110CustomProdEEEEE10hipError_tPvRmT0_T1_jT2_SQ_T4_T3_P12ihipStream_tbEUlT_E_NS1_11comp_targetILNS1_3genE9ELNS1_11target_archE1100ELNS1_3gpuE3ELNS1_3repE0EEENS1_30default_config_static_selectorELNS0_4arch9wavefront6targetE0EEEvSP_.uses_vcc, 0
	.set _ZN7rocprim17ROCPRIM_400000_NS6detail17trampoline_kernelINS0_14default_configENS1_32segmented_reduce_config_selectorIdEEZNS1_21segmented_reduce_implIS3_PKdPdPKldN6hipcub16HIPCUB_304000_NS6detail27convert_result_type_wrapperIS8_S9_N2at6native12_GLOBAL__N_110CustomProdEEEEE10hipError_tPvRmT0_T1_jT2_SQ_T4_T3_P12ihipStream_tbEUlT_E_NS1_11comp_targetILNS1_3genE9ELNS1_11target_archE1100ELNS1_3gpuE3ELNS1_3repE0EEENS1_30default_config_static_selectorELNS0_4arch9wavefront6targetE0EEEvSP_.uses_flat_scratch, 0
	.set _ZN7rocprim17ROCPRIM_400000_NS6detail17trampoline_kernelINS0_14default_configENS1_32segmented_reduce_config_selectorIdEEZNS1_21segmented_reduce_implIS3_PKdPdPKldN6hipcub16HIPCUB_304000_NS6detail27convert_result_type_wrapperIS8_S9_N2at6native12_GLOBAL__N_110CustomProdEEEEE10hipError_tPvRmT0_T1_jT2_SQ_T4_T3_P12ihipStream_tbEUlT_E_NS1_11comp_targetILNS1_3genE9ELNS1_11target_archE1100ELNS1_3gpuE3ELNS1_3repE0EEENS1_30default_config_static_selectorELNS0_4arch9wavefront6targetE0EEEvSP_.has_dyn_sized_stack, 0
	.set _ZN7rocprim17ROCPRIM_400000_NS6detail17trampoline_kernelINS0_14default_configENS1_32segmented_reduce_config_selectorIdEEZNS1_21segmented_reduce_implIS3_PKdPdPKldN6hipcub16HIPCUB_304000_NS6detail27convert_result_type_wrapperIS8_S9_N2at6native12_GLOBAL__N_110CustomProdEEEEE10hipError_tPvRmT0_T1_jT2_SQ_T4_T3_P12ihipStream_tbEUlT_E_NS1_11comp_targetILNS1_3genE9ELNS1_11target_archE1100ELNS1_3gpuE3ELNS1_3repE0EEENS1_30default_config_static_selectorELNS0_4arch9wavefront6targetE0EEEvSP_.has_recursion, 0
	.set _ZN7rocprim17ROCPRIM_400000_NS6detail17trampoline_kernelINS0_14default_configENS1_32segmented_reduce_config_selectorIdEEZNS1_21segmented_reduce_implIS3_PKdPdPKldN6hipcub16HIPCUB_304000_NS6detail27convert_result_type_wrapperIS8_S9_N2at6native12_GLOBAL__N_110CustomProdEEEEE10hipError_tPvRmT0_T1_jT2_SQ_T4_T3_P12ihipStream_tbEUlT_E_NS1_11comp_targetILNS1_3genE9ELNS1_11target_archE1100ELNS1_3gpuE3ELNS1_3repE0EEENS1_30default_config_static_selectorELNS0_4arch9wavefront6targetE0EEEvSP_.has_indirect_call, 0
	.section	.AMDGPU.csdata,"",@progbits
; Kernel info:
; codeLenInByte = 0
; TotalNumSgprs: 0
; NumVgprs: 0
; ScratchSize: 0
; MemoryBound: 0
; FloatMode: 240
; IeeeMode: 1
; LDSByteSize: 0 bytes/workgroup (compile time only)
; SGPRBlocks: 0
; VGPRBlocks: 0
; NumSGPRsForWavesPerEU: 1
; NumVGPRsForWavesPerEU: 1
; NamedBarCnt: 0
; Occupancy: 16
; WaveLimiterHint : 0
; COMPUTE_PGM_RSRC2:SCRATCH_EN: 0
; COMPUTE_PGM_RSRC2:USER_SGPR: 2
; COMPUTE_PGM_RSRC2:TRAP_HANDLER: 0
; COMPUTE_PGM_RSRC2:TGID_X_EN: 1
; COMPUTE_PGM_RSRC2:TGID_Y_EN: 0
; COMPUTE_PGM_RSRC2:TGID_Z_EN: 0
; COMPUTE_PGM_RSRC2:TIDIG_COMP_CNT: 0
	.section	.text._ZN7rocprim17ROCPRIM_400000_NS6detail17trampoline_kernelINS0_14default_configENS1_32segmented_reduce_config_selectorIdEEZNS1_21segmented_reduce_implIS3_PKdPdPKldN6hipcub16HIPCUB_304000_NS6detail27convert_result_type_wrapperIS8_S9_N2at6native12_GLOBAL__N_110CustomProdEEEEE10hipError_tPvRmT0_T1_jT2_SQ_T4_T3_P12ihipStream_tbEUlT_E_NS1_11comp_targetILNS1_3genE8ELNS1_11target_archE1030ELNS1_3gpuE2ELNS1_3repE0EEENS1_30default_config_static_selectorELNS0_4arch9wavefront6targetE0EEEvSP_,"axG",@progbits,_ZN7rocprim17ROCPRIM_400000_NS6detail17trampoline_kernelINS0_14default_configENS1_32segmented_reduce_config_selectorIdEEZNS1_21segmented_reduce_implIS3_PKdPdPKldN6hipcub16HIPCUB_304000_NS6detail27convert_result_type_wrapperIS8_S9_N2at6native12_GLOBAL__N_110CustomProdEEEEE10hipError_tPvRmT0_T1_jT2_SQ_T4_T3_P12ihipStream_tbEUlT_E_NS1_11comp_targetILNS1_3genE8ELNS1_11target_archE1030ELNS1_3gpuE2ELNS1_3repE0EEENS1_30default_config_static_selectorELNS0_4arch9wavefront6targetE0EEEvSP_,comdat
	.globl	_ZN7rocprim17ROCPRIM_400000_NS6detail17trampoline_kernelINS0_14default_configENS1_32segmented_reduce_config_selectorIdEEZNS1_21segmented_reduce_implIS3_PKdPdPKldN6hipcub16HIPCUB_304000_NS6detail27convert_result_type_wrapperIS8_S9_N2at6native12_GLOBAL__N_110CustomProdEEEEE10hipError_tPvRmT0_T1_jT2_SQ_T4_T3_P12ihipStream_tbEUlT_E_NS1_11comp_targetILNS1_3genE8ELNS1_11target_archE1030ELNS1_3gpuE2ELNS1_3repE0EEENS1_30default_config_static_selectorELNS0_4arch9wavefront6targetE0EEEvSP_ ; -- Begin function _ZN7rocprim17ROCPRIM_400000_NS6detail17trampoline_kernelINS0_14default_configENS1_32segmented_reduce_config_selectorIdEEZNS1_21segmented_reduce_implIS3_PKdPdPKldN6hipcub16HIPCUB_304000_NS6detail27convert_result_type_wrapperIS8_S9_N2at6native12_GLOBAL__N_110CustomProdEEEEE10hipError_tPvRmT0_T1_jT2_SQ_T4_T3_P12ihipStream_tbEUlT_E_NS1_11comp_targetILNS1_3genE8ELNS1_11target_archE1030ELNS1_3gpuE2ELNS1_3repE0EEENS1_30default_config_static_selectorELNS0_4arch9wavefront6targetE0EEEvSP_
	.p2align	8
	.type	_ZN7rocprim17ROCPRIM_400000_NS6detail17trampoline_kernelINS0_14default_configENS1_32segmented_reduce_config_selectorIdEEZNS1_21segmented_reduce_implIS3_PKdPdPKldN6hipcub16HIPCUB_304000_NS6detail27convert_result_type_wrapperIS8_S9_N2at6native12_GLOBAL__N_110CustomProdEEEEE10hipError_tPvRmT0_T1_jT2_SQ_T4_T3_P12ihipStream_tbEUlT_E_NS1_11comp_targetILNS1_3genE8ELNS1_11target_archE1030ELNS1_3gpuE2ELNS1_3repE0EEENS1_30default_config_static_selectorELNS0_4arch9wavefront6targetE0EEEvSP_,@function
_ZN7rocprim17ROCPRIM_400000_NS6detail17trampoline_kernelINS0_14default_configENS1_32segmented_reduce_config_selectorIdEEZNS1_21segmented_reduce_implIS3_PKdPdPKldN6hipcub16HIPCUB_304000_NS6detail27convert_result_type_wrapperIS8_S9_N2at6native12_GLOBAL__N_110CustomProdEEEEE10hipError_tPvRmT0_T1_jT2_SQ_T4_T3_P12ihipStream_tbEUlT_E_NS1_11comp_targetILNS1_3genE8ELNS1_11target_archE1030ELNS1_3gpuE2ELNS1_3repE0EEENS1_30default_config_static_selectorELNS0_4arch9wavefront6targetE0EEEvSP_: ; @_ZN7rocprim17ROCPRIM_400000_NS6detail17trampoline_kernelINS0_14default_configENS1_32segmented_reduce_config_selectorIdEEZNS1_21segmented_reduce_implIS3_PKdPdPKldN6hipcub16HIPCUB_304000_NS6detail27convert_result_type_wrapperIS8_S9_N2at6native12_GLOBAL__N_110CustomProdEEEEE10hipError_tPvRmT0_T1_jT2_SQ_T4_T3_P12ihipStream_tbEUlT_E_NS1_11comp_targetILNS1_3genE8ELNS1_11target_archE1030ELNS1_3gpuE2ELNS1_3repE0EEENS1_30default_config_static_selectorELNS0_4arch9wavefront6targetE0EEEvSP_
; %bb.0:
	.section	.rodata,"a",@progbits
	.p2align	6, 0x0
	.amdhsa_kernel _ZN7rocprim17ROCPRIM_400000_NS6detail17trampoline_kernelINS0_14default_configENS1_32segmented_reduce_config_selectorIdEEZNS1_21segmented_reduce_implIS3_PKdPdPKldN6hipcub16HIPCUB_304000_NS6detail27convert_result_type_wrapperIS8_S9_N2at6native12_GLOBAL__N_110CustomProdEEEEE10hipError_tPvRmT0_T1_jT2_SQ_T4_T3_P12ihipStream_tbEUlT_E_NS1_11comp_targetILNS1_3genE8ELNS1_11target_archE1030ELNS1_3gpuE2ELNS1_3repE0EEENS1_30default_config_static_selectorELNS0_4arch9wavefront6targetE0EEEvSP_
		.amdhsa_group_segment_fixed_size 0
		.amdhsa_private_segment_fixed_size 0
		.amdhsa_kernarg_size 56
		.amdhsa_user_sgpr_count 2
		.amdhsa_user_sgpr_dispatch_ptr 0
		.amdhsa_user_sgpr_queue_ptr 0
		.amdhsa_user_sgpr_kernarg_segment_ptr 1
		.amdhsa_user_sgpr_dispatch_id 0
		.amdhsa_user_sgpr_kernarg_preload_length 0
		.amdhsa_user_sgpr_kernarg_preload_offset 0
		.amdhsa_user_sgpr_private_segment_size 0
		.amdhsa_wavefront_size32 1
		.amdhsa_uses_dynamic_stack 0
		.amdhsa_enable_private_segment 0
		.amdhsa_system_sgpr_workgroup_id_x 1
		.amdhsa_system_sgpr_workgroup_id_y 0
		.amdhsa_system_sgpr_workgroup_id_z 0
		.amdhsa_system_sgpr_workgroup_info 0
		.amdhsa_system_vgpr_workitem_id 0
		.amdhsa_next_free_vgpr 1
		.amdhsa_next_free_sgpr 1
		.amdhsa_named_barrier_count 0
		.amdhsa_reserve_vcc 0
		.amdhsa_float_round_mode_32 0
		.amdhsa_float_round_mode_16_64 0
		.amdhsa_float_denorm_mode_32 3
		.amdhsa_float_denorm_mode_16_64 3
		.amdhsa_fp16_overflow 0
		.amdhsa_memory_ordered 1
		.amdhsa_forward_progress 1
		.amdhsa_inst_pref_size 0
		.amdhsa_round_robin_scheduling 0
		.amdhsa_exception_fp_ieee_invalid_op 0
		.amdhsa_exception_fp_denorm_src 0
		.amdhsa_exception_fp_ieee_div_zero 0
		.amdhsa_exception_fp_ieee_overflow 0
		.amdhsa_exception_fp_ieee_underflow 0
		.amdhsa_exception_fp_ieee_inexact 0
		.amdhsa_exception_int_div_zero 0
	.end_amdhsa_kernel
	.section	.text._ZN7rocprim17ROCPRIM_400000_NS6detail17trampoline_kernelINS0_14default_configENS1_32segmented_reduce_config_selectorIdEEZNS1_21segmented_reduce_implIS3_PKdPdPKldN6hipcub16HIPCUB_304000_NS6detail27convert_result_type_wrapperIS8_S9_N2at6native12_GLOBAL__N_110CustomProdEEEEE10hipError_tPvRmT0_T1_jT2_SQ_T4_T3_P12ihipStream_tbEUlT_E_NS1_11comp_targetILNS1_3genE8ELNS1_11target_archE1030ELNS1_3gpuE2ELNS1_3repE0EEENS1_30default_config_static_selectorELNS0_4arch9wavefront6targetE0EEEvSP_,"axG",@progbits,_ZN7rocprim17ROCPRIM_400000_NS6detail17trampoline_kernelINS0_14default_configENS1_32segmented_reduce_config_selectorIdEEZNS1_21segmented_reduce_implIS3_PKdPdPKldN6hipcub16HIPCUB_304000_NS6detail27convert_result_type_wrapperIS8_S9_N2at6native12_GLOBAL__N_110CustomProdEEEEE10hipError_tPvRmT0_T1_jT2_SQ_T4_T3_P12ihipStream_tbEUlT_E_NS1_11comp_targetILNS1_3genE8ELNS1_11target_archE1030ELNS1_3gpuE2ELNS1_3repE0EEENS1_30default_config_static_selectorELNS0_4arch9wavefront6targetE0EEEvSP_,comdat
.Lfunc_end177:
	.size	_ZN7rocprim17ROCPRIM_400000_NS6detail17trampoline_kernelINS0_14default_configENS1_32segmented_reduce_config_selectorIdEEZNS1_21segmented_reduce_implIS3_PKdPdPKldN6hipcub16HIPCUB_304000_NS6detail27convert_result_type_wrapperIS8_S9_N2at6native12_GLOBAL__N_110CustomProdEEEEE10hipError_tPvRmT0_T1_jT2_SQ_T4_T3_P12ihipStream_tbEUlT_E_NS1_11comp_targetILNS1_3genE8ELNS1_11target_archE1030ELNS1_3gpuE2ELNS1_3repE0EEENS1_30default_config_static_selectorELNS0_4arch9wavefront6targetE0EEEvSP_, .Lfunc_end177-_ZN7rocprim17ROCPRIM_400000_NS6detail17trampoline_kernelINS0_14default_configENS1_32segmented_reduce_config_selectorIdEEZNS1_21segmented_reduce_implIS3_PKdPdPKldN6hipcub16HIPCUB_304000_NS6detail27convert_result_type_wrapperIS8_S9_N2at6native12_GLOBAL__N_110CustomProdEEEEE10hipError_tPvRmT0_T1_jT2_SQ_T4_T3_P12ihipStream_tbEUlT_E_NS1_11comp_targetILNS1_3genE8ELNS1_11target_archE1030ELNS1_3gpuE2ELNS1_3repE0EEENS1_30default_config_static_selectorELNS0_4arch9wavefront6targetE0EEEvSP_
                                        ; -- End function
	.set _ZN7rocprim17ROCPRIM_400000_NS6detail17trampoline_kernelINS0_14default_configENS1_32segmented_reduce_config_selectorIdEEZNS1_21segmented_reduce_implIS3_PKdPdPKldN6hipcub16HIPCUB_304000_NS6detail27convert_result_type_wrapperIS8_S9_N2at6native12_GLOBAL__N_110CustomProdEEEEE10hipError_tPvRmT0_T1_jT2_SQ_T4_T3_P12ihipStream_tbEUlT_E_NS1_11comp_targetILNS1_3genE8ELNS1_11target_archE1030ELNS1_3gpuE2ELNS1_3repE0EEENS1_30default_config_static_selectorELNS0_4arch9wavefront6targetE0EEEvSP_.num_vgpr, 0
	.set _ZN7rocprim17ROCPRIM_400000_NS6detail17trampoline_kernelINS0_14default_configENS1_32segmented_reduce_config_selectorIdEEZNS1_21segmented_reduce_implIS3_PKdPdPKldN6hipcub16HIPCUB_304000_NS6detail27convert_result_type_wrapperIS8_S9_N2at6native12_GLOBAL__N_110CustomProdEEEEE10hipError_tPvRmT0_T1_jT2_SQ_T4_T3_P12ihipStream_tbEUlT_E_NS1_11comp_targetILNS1_3genE8ELNS1_11target_archE1030ELNS1_3gpuE2ELNS1_3repE0EEENS1_30default_config_static_selectorELNS0_4arch9wavefront6targetE0EEEvSP_.num_agpr, 0
	.set _ZN7rocprim17ROCPRIM_400000_NS6detail17trampoline_kernelINS0_14default_configENS1_32segmented_reduce_config_selectorIdEEZNS1_21segmented_reduce_implIS3_PKdPdPKldN6hipcub16HIPCUB_304000_NS6detail27convert_result_type_wrapperIS8_S9_N2at6native12_GLOBAL__N_110CustomProdEEEEE10hipError_tPvRmT0_T1_jT2_SQ_T4_T3_P12ihipStream_tbEUlT_E_NS1_11comp_targetILNS1_3genE8ELNS1_11target_archE1030ELNS1_3gpuE2ELNS1_3repE0EEENS1_30default_config_static_selectorELNS0_4arch9wavefront6targetE0EEEvSP_.numbered_sgpr, 0
	.set _ZN7rocprim17ROCPRIM_400000_NS6detail17trampoline_kernelINS0_14default_configENS1_32segmented_reduce_config_selectorIdEEZNS1_21segmented_reduce_implIS3_PKdPdPKldN6hipcub16HIPCUB_304000_NS6detail27convert_result_type_wrapperIS8_S9_N2at6native12_GLOBAL__N_110CustomProdEEEEE10hipError_tPvRmT0_T1_jT2_SQ_T4_T3_P12ihipStream_tbEUlT_E_NS1_11comp_targetILNS1_3genE8ELNS1_11target_archE1030ELNS1_3gpuE2ELNS1_3repE0EEENS1_30default_config_static_selectorELNS0_4arch9wavefront6targetE0EEEvSP_.num_named_barrier, 0
	.set _ZN7rocprim17ROCPRIM_400000_NS6detail17trampoline_kernelINS0_14default_configENS1_32segmented_reduce_config_selectorIdEEZNS1_21segmented_reduce_implIS3_PKdPdPKldN6hipcub16HIPCUB_304000_NS6detail27convert_result_type_wrapperIS8_S9_N2at6native12_GLOBAL__N_110CustomProdEEEEE10hipError_tPvRmT0_T1_jT2_SQ_T4_T3_P12ihipStream_tbEUlT_E_NS1_11comp_targetILNS1_3genE8ELNS1_11target_archE1030ELNS1_3gpuE2ELNS1_3repE0EEENS1_30default_config_static_selectorELNS0_4arch9wavefront6targetE0EEEvSP_.private_seg_size, 0
	.set _ZN7rocprim17ROCPRIM_400000_NS6detail17trampoline_kernelINS0_14default_configENS1_32segmented_reduce_config_selectorIdEEZNS1_21segmented_reduce_implIS3_PKdPdPKldN6hipcub16HIPCUB_304000_NS6detail27convert_result_type_wrapperIS8_S9_N2at6native12_GLOBAL__N_110CustomProdEEEEE10hipError_tPvRmT0_T1_jT2_SQ_T4_T3_P12ihipStream_tbEUlT_E_NS1_11comp_targetILNS1_3genE8ELNS1_11target_archE1030ELNS1_3gpuE2ELNS1_3repE0EEENS1_30default_config_static_selectorELNS0_4arch9wavefront6targetE0EEEvSP_.uses_vcc, 0
	.set _ZN7rocprim17ROCPRIM_400000_NS6detail17trampoline_kernelINS0_14default_configENS1_32segmented_reduce_config_selectorIdEEZNS1_21segmented_reduce_implIS3_PKdPdPKldN6hipcub16HIPCUB_304000_NS6detail27convert_result_type_wrapperIS8_S9_N2at6native12_GLOBAL__N_110CustomProdEEEEE10hipError_tPvRmT0_T1_jT2_SQ_T4_T3_P12ihipStream_tbEUlT_E_NS1_11comp_targetILNS1_3genE8ELNS1_11target_archE1030ELNS1_3gpuE2ELNS1_3repE0EEENS1_30default_config_static_selectorELNS0_4arch9wavefront6targetE0EEEvSP_.uses_flat_scratch, 0
	.set _ZN7rocprim17ROCPRIM_400000_NS6detail17trampoline_kernelINS0_14default_configENS1_32segmented_reduce_config_selectorIdEEZNS1_21segmented_reduce_implIS3_PKdPdPKldN6hipcub16HIPCUB_304000_NS6detail27convert_result_type_wrapperIS8_S9_N2at6native12_GLOBAL__N_110CustomProdEEEEE10hipError_tPvRmT0_T1_jT2_SQ_T4_T3_P12ihipStream_tbEUlT_E_NS1_11comp_targetILNS1_3genE8ELNS1_11target_archE1030ELNS1_3gpuE2ELNS1_3repE0EEENS1_30default_config_static_selectorELNS0_4arch9wavefront6targetE0EEEvSP_.has_dyn_sized_stack, 0
	.set _ZN7rocprim17ROCPRIM_400000_NS6detail17trampoline_kernelINS0_14default_configENS1_32segmented_reduce_config_selectorIdEEZNS1_21segmented_reduce_implIS3_PKdPdPKldN6hipcub16HIPCUB_304000_NS6detail27convert_result_type_wrapperIS8_S9_N2at6native12_GLOBAL__N_110CustomProdEEEEE10hipError_tPvRmT0_T1_jT2_SQ_T4_T3_P12ihipStream_tbEUlT_E_NS1_11comp_targetILNS1_3genE8ELNS1_11target_archE1030ELNS1_3gpuE2ELNS1_3repE0EEENS1_30default_config_static_selectorELNS0_4arch9wavefront6targetE0EEEvSP_.has_recursion, 0
	.set _ZN7rocprim17ROCPRIM_400000_NS6detail17trampoline_kernelINS0_14default_configENS1_32segmented_reduce_config_selectorIdEEZNS1_21segmented_reduce_implIS3_PKdPdPKldN6hipcub16HIPCUB_304000_NS6detail27convert_result_type_wrapperIS8_S9_N2at6native12_GLOBAL__N_110CustomProdEEEEE10hipError_tPvRmT0_T1_jT2_SQ_T4_T3_P12ihipStream_tbEUlT_E_NS1_11comp_targetILNS1_3genE8ELNS1_11target_archE1030ELNS1_3gpuE2ELNS1_3repE0EEENS1_30default_config_static_selectorELNS0_4arch9wavefront6targetE0EEEvSP_.has_indirect_call, 0
	.section	.AMDGPU.csdata,"",@progbits
; Kernel info:
; codeLenInByte = 0
; TotalNumSgprs: 0
; NumVgprs: 0
; ScratchSize: 0
; MemoryBound: 0
; FloatMode: 240
; IeeeMode: 1
; LDSByteSize: 0 bytes/workgroup (compile time only)
; SGPRBlocks: 0
; VGPRBlocks: 0
; NumSGPRsForWavesPerEU: 1
; NumVGPRsForWavesPerEU: 1
; NamedBarCnt: 0
; Occupancy: 16
; WaveLimiterHint : 0
; COMPUTE_PGM_RSRC2:SCRATCH_EN: 0
; COMPUTE_PGM_RSRC2:USER_SGPR: 2
; COMPUTE_PGM_RSRC2:TRAP_HANDLER: 0
; COMPUTE_PGM_RSRC2:TGID_X_EN: 1
; COMPUTE_PGM_RSRC2:TGID_Y_EN: 0
; COMPUTE_PGM_RSRC2:TGID_Z_EN: 0
; COMPUTE_PGM_RSRC2:TIDIG_COMP_CNT: 0
	.section	.text._ZN2at6native12_GLOBAL__N_129segment_reduce_forward_kernelIflEEvNS0_13ReductionTypeEPT_PKS4_PKT0_SA_llbS4_lllllll,"axG",@progbits,_ZN2at6native12_GLOBAL__N_129segment_reduce_forward_kernelIflEEvNS0_13ReductionTypeEPT_PKS4_PKT0_SA_llbS4_lllllll,comdat
	.globl	_ZN2at6native12_GLOBAL__N_129segment_reduce_forward_kernelIflEEvNS0_13ReductionTypeEPT_PKS4_PKT0_SA_llbS4_lllllll ; -- Begin function _ZN2at6native12_GLOBAL__N_129segment_reduce_forward_kernelIflEEvNS0_13ReductionTypeEPT_PKS4_PKT0_SA_llbS4_lllllll
	.p2align	8
	.type	_ZN2at6native12_GLOBAL__N_129segment_reduce_forward_kernelIflEEvNS0_13ReductionTypeEPT_PKS4_PKT0_SA_llbS4_lllllll,@function
_ZN2at6native12_GLOBAL__N_129segment_reduce_forward_kernelIflEEvNS0_13ReductionTypeEPT_PKS4_PKT0_SA_llbS4_lllllll: ; @_ZN2at6native12_GLOBAL__N_129segment_reduce_forward_kernelIflEEvNS0_13ReductionTypeEPT_PKS4_PKT0_SA_llbS4_lllllll
; %bb.0:
	s_clause 0x2
	s_load_b32 s2, s[0:1], 0x84
	s_load_b128 s[28:31], s[0:1], 0x28
	s_load_b256 s[4:11], s[0:1], 0x40
	s_bfe_u32 s3, ttmp6, 0x4000c
	v_mov_b32_e32 v2, 0
	s_add_co_i32 s3, s3, 1
	s_and_b32 s12, ttmp6, 15
	s_mul_i32 s3, ttmp9, s3
	s_getreg_b32 s13, hwreg(HW_REG_IB_STS2, 6, 4)
	v_mov_b32_e32 v1, v2
	s_add_co_i32 s12, s12, s3
	s_wait_kmcnt 0x0
	s_and_b32 s2, s2, 0xffff
	s_cmp_eq_u32 s13, 0
	s_cselect_b32 s3, ttmp9, s12
	s_delay_alu instid0(SALU_CYCLE_1) | instskip(SKIP_1) | instid1(SALU_CYCLE_1)
	v_mad_nc_u64_u32 v[4:5], s2, s3, v[0:1]
	s_mul_u64 s[2:3], s[4:5], s[28:29]
	s_mul_u64 s[2:3], s[2:3], s[6:7]
	s_delay_alu instid0(VALU_DEP_1) | instid1(SALU_CYCLE_1)
	v_cmp_gt_i64_e32 vcc_lo, s[2:3], v[4:5]
	s_and_saveexec_b32 s2, vcc_lo
	s_cbranch_execz .LBB178_35
; %bb.1:
	v_or_b32_e32 v3, s7, v5
                                        ; implicit-def: $vgpr8_vgpr9
	s_mov_b32 s2, exec_lo
	s_delay_alu instid0(VALU_DEP_1)
	v_cmpx_ne_u64_e32 0, v[2:3]
	s_xor_b32 s3, exec_lo, s2
	s_cbranch_execz .LBB178_3
; %bb.2:
	s_ashr_i32 s4, s7, 31
	s_mov_b32 s21, 0
	s_mov_b32 s5, s4
	v_dual_mov_b32 v7, 0 :: v_dual_ashrrev_i32 v0, 31, v5
	s_add_nc_u64 s[12:13], s[6:7], s[4:5]
	s_delay_alu instid0(SALU_CYCLE_1) | instskip(NEXT) | instid1(VALU_DEP_1)
	s_xor_b64 s[12:13], s[12:13], s[4:5]
	v_mov_b32_e32 v1, v0
	s_cvt_f32_u32 s2, s12
	s_cvt_f32_u32 s5, s13
	s_sub_nc_u64 s[16:17], 0, s[12:13]
	v_dual_mov_b32 v9, v7 :: v_dual_mov_b32 v15, v7
	s_delay_alu instid0(SALU_CYCLE_1) | instskip(SKIP_1) | instid1(SALU_CYCLE_2)
	s_fmamk_f32 s2, s5, 0x4f800000, s2
	v_add_nc_u64_e32 v[2:3], v[4:5], v[0:1]
	v_s_rcp_f32 s2, s2
	s_delay_alu instid0(VALU_DEP_1) | instskip(NEXT) | instid1(VALU_DEP_2)
	v_xor_b32_e32 v6, v2, v0
	v_xor_b32_e32 v8, v3, v0
	;; [unrolled: 1-line block ×3, first 2 shown]
	s_delay_alu instid0(TRANS32_DEP_1) | instskip(NEXT) | instid1(SALU_CYCLE_3)
	s_mul_f32 s2, s2, 0x5f7ffffc
	s_mul_f32 s5, s2, 0x2f800000
	s_delay_alu instid0(SALU_CYCLE_3) | instskip(NEXT) | instid1(SALU_CYCLE_3)
	s_trunc_f32 s5, s5
	s_fmamk_f32 s2, s5, 0xcf800000, s2
	s_cvt_u32_f32 s15, s5
	s_delay_alu instid0(SALU_CYCLE_2) | instskip(NEXT) | instid1(SALU_CYCLE_3)
	s_cvt_u32_f32 s14, s2
	s_mul_u64 s[18:19], s[16:17], s[14:15]
	s_delay_alu instid0(SALU_CYCLE_1)
	s_mul_hi_u32 s23, s14, s19
	s_mul_i32 s22, s14, s19
	s_mul_hi_u32 s20, s14, s18
	s_mul_i32 s5, s15, s18
	s_add_nc_u64 s[22:23], s[20:21], s[22:23]
	s_mul_hi_u32 s2, s15, s18
	s_mul_hi_u32 s24, s15, s19
	s_add_co_u32 s5, s22, s5
	s_add_co_ci_u32 s20, s23, s2
	s_mul_i32 s18, s15, s19
	s_add_co_ci_u32 s19, s24, 0
	s_delay_alu instid0(SALU_CYCLE_1) | instskip(NEXT) | instid1(SALU_CYCLE_1)
	s_add_nc_u64 s[18:19], s[20:21], s[18:19]
	s_add_co_u32 s14, s14, s18
	s_cselect_b32 s2, -1, 0
	s_delay_alu instid0(SALU_CYCLE_1) | instskip(SKIP_1) | instid1(SALU_CYCLE_1)
	s_cmp_lg_u32 s2, 0
	s_add_co_ci_u32 s15, s15, s19
	s_mul_u64 s[16:17], s[16:17], s[14:15]
	s_delay_alu instid0(SALU_CYCLE_1)
	s_mul_hi_u32 s19, s14, s17
	s_mul_i32 s18, s14, s17
	s_mul_hi_u32 s20, s14, s16
	s_mul_i32 s5, s15, s16
	s_add_nc_u64 s[18:19], s[20:21], s[18:19]
	s_mul_hi_u32 s2, s15, s16
	s_mul_hi_u32 s22, s15, s17
	s_add_co_u32 s5, s18, s5
	s_add_co_ci_u32 s20, s19, s2
	s_mul_i32 s16, s15, s17
	s_add_co_ci_u32 s17, s22, 0
	s_delay_alu instid0(SALU_CYCLE_1) | instskip(NEXT) | instid1(SALU_CYCLE_1)
	s_add_nc_u64 s[16:17], s[20:21], s[16:17]
	s_add_co_u32 s2, s14, s16
	s_cselect_b32 s5, -1, 0
	v_mul_hi_u32 v14, v6, s2
	s_cmp_lg_u32 s5, 0
	s_add_co_ci_u32 s20, s15, s17
	s_mov_b64 s[14:15], 0xffffffff
	v_mul_u64_e32 v[10:11], s[20:21], v[6:7]
	s_and_b64 s[14:15], s[2:3], s[14:15]
	v_mul_u64_e32 v[12:13], s[20:21], v[8:9]
	v_mul_u64_e32 v[2:3], s[14:15], v[8:9]
	s_delay_alu instid0(VALU_DEP_3) | instskip(NEXT) | instid1(VALU_DEP_1)
	v_add_nc_u64_e32 v[10:11], v[14:15], v[10:11]
	v_add_co_u32 v1, vcc_lo, v10, v2
	s_delay_alu instid0(VALU_DEP_2) | instskip(SKIP_1) | instid1(VALU_DEP_1)
	v_add_co_ci_u32_e32 v14, vcc_lo, v11, v3, vcc_lo
	v_add_co_ci_u32_e32 v13, vcc_lo, 0, v13, vcc_lo
	v_add_nc_u64_e32 v[2:3], v[14:15], v[12:13]
	s_delay_alu instid0(VALU_DEP_1) | instskip(NEXT) | instid1(VALU_DEP_1)
	v_mul_u64_e32 v[10:11], s[12:13], v[2:3]
	v_sub_nc_u32_e32 v1, v8, v11
	s_delay_alu instid0(VALU_DEP_2) | instskip(NEXT) | instid1(VALU_DEP_1)
	v_sub_co_u32 v6, vcc_lo, v6, v10
	v_sub_co_ci_u32_e64 v10, null, v8, v11, vcc_lo
	s_delay_alu instid0(VALU_DEP_3) | instskip(NEXT) | instid1(VALU_DEP_3)
	v_subrev_co_ci_u32_e64 v1, null, s13, v1, vcc_lo
	v_sub_co_u32 v7, s2, v6, s12
	s_delay_alu instid0(VALU_DEP_1) | instskip(NEXT) | instid1(VALU_DEP_2)
	v_subrev_co_ci_u32_e64 v1, null, 0, v1, s2
	v_cmp_le_u32_e32 vcc_lo, s12, v7
	v_cndmask_b32_e64 v7, 0, -1, vcc_lo
	s_delay_alu instid0(VALU_DEP_3)
	v_cmp_le_u32_e32 vcc_lo, s13, v1
	v_cndmask_b32_e64 v8, 0, -1, vcc_lo
	v_cmp_le_u32_e32 vcc_lo, s12, v6
	v_cndmask_b32_e64 v11, 0, -1, vcc_lo
	;; [unrolled: 2-line block ×3, first 2 shown]
	v_cmp_eq_u32_e32 vcc_lo, s13, v1
	v_cndmask_b32_e32 v1, v8, v7, vcc_lo
	v_cmp_eq_u32_e32 vcc_lo, s13, v10
	v_add_nc_u64_e32 v[6:7], 2, v[2:3]
	v_add_nc_u64_e32 v[8:9], 1, v[2:3]
	v_cndmask_b32_e32 v10, v12, v11, vcc_lo
	v_cmp_ne_u32_e32 vcc_lo, 0, v1
	s_delay_alu instid0(VALU_DEP_2) | instskip(NEXT) | instid1(VALU_DEP_4)
	v_cmp_ne_u32_e64 s2, 0, v10
	v_dual_cndmask_b32 v6, v8, v6 :: v_dual_cndmask_b32 v1, v9, v7
	s_delay_alu instid0(VALU_DEP_1) | instskip(NEXT) | instid1(VALU_DEP_1)
	v_dual_cndmask_b32 v2, v2, v6, s2 :: v_dual_cndmask_b32 v3, v3, v1, s2
	v_dual_mov_b32 v1, v0 :: v_dual_bitop2_b32 v2, v2, v0 bitop3:0x14
	s_delay_alu instid0(VALU_DEP_2) | instskip(NEXT) | instid1(VALU_DEP_1)
	v_xor_b32_e32 v3, v3, v0
	v_sub_nc_u64_e32 v[8:9], v[2:3], v[0:1]
.LBB178_3:
	s_or_saveexec_b32 s2, s3
	s_clause 0x1
	s_load_b256 s[12:19], s[0:1], 0x8
	s_load_b256 s[20:27], s[0:1], 0x60
	s_xor_b32 exec_lo, exec_lo, s2
	s_cbranch_execz .LBB178_5
; %bb.4:
	v_cvt_f32_u32_e32 v0, s6
	s_sub_co_i32 s3, 0, s6
	v_mov_b32_e32 v9, 0
	s_delay_alu instid0(VALU_DEP_2) | instskip(SKIP_1) | instid1(TRANS32_DEP_1)
	v_rcp_iflag_f32_e32 v0, v0
	v_nop
	v_mul_f32_e32 v0, 0x4f7ffffe, v0
	s_delay_alu instid0(VALU_DEP_1) | instskip(NEXT) | instid1(VALU_DEP_1)
	v_cvt_u32_f32_e32 v0, v0
	v_mul_lo_u32 v1, s3, v0
	s_delay_alu instid0(VALU_DEP_1) | instskip(NEXT) | instid1(VALU_DEP_1)
	v_mul_hi_u32 v1, v0, v1
	v_add_nc_u32_e32 v0, v0, v1
	s_delay_alu instid0(VALU_DEP_1) | instskip(NEXT) | instid1(VALU_DEP_1)
	v_mul_hi_u32 v0, v4, v0
	v_mul_lo_u32 v1, v0, s6
	s_delay_alu instid0(VALU_DEP_1) | instskip(NEXT) | instid1(VALU_DEP_1)
	v_dual_add_nc_u32 v2, 1, v0 :: v_dual_sub_nc_u32 v1, v4, v1
	v_subrev_nc_u32_e32 v3, s6, v1
	v_cmp_le_u32_e32 vcc_lo, s6, v1
	s_delay_alu instid0(VALU_DEP_2) | instskip(NEXT) | instid1(VALU_DEP_1)
	v_dual_cndmask_b32 v1, v1, v3 :: v_dual_cndmask_b32 v0, v0, v2
	v_cmp_le_u32_e32 vcc_lo, s6, v1
	s_delay_alu instid0(VALU_DEP_2) | instskip(NEXT) | instid1(VALU_DEP_1)
	v_add_nc_u32_e32 v2, 1, v0
	v_cndmask_b32_e32 v8, v0, v2, vcc_lo
.LBB178_5:
	s_or_b32 exec_lo, exec_lo, s2
	v_dual_mov_b32 v0, 0 :: v_dual_bitop2_b32 v1, s29, v9 bitop3:0x54
                                        ; implicit-def: $vgpr6_vgpr7
	s_mov_b32 s2, exec_lo
	s_delay_alu instid0(VALU_DEP_1)
	v_cmpx_ne_u64_e32 0, v[0:1]
	s_xor_b32 s3, exec_lo, s2
	s_cbranch_execz .LBB178_7
; %bb.6:
	s_ashr_i32 s4, s29, 31
	s_mov_b32 s41, 0
	s_mov_b32 s5, s4
	v_dual_mov_b32 v11, v0 :: v_dual_ashrrev_i32 v2, 31, v9
	s_wait_kmcnt 0x0
	s_add_nc_u64 s[26:27], s[28:29], s[4:5]
	v_mov_b32_e32 v13, v0
	s_xor_b64 s[26:27], s[26:27], s[4:5]
	v_mov_b32_e32 v3, v2
	s_cvt_f32_u32 s2, s26
	s_cvt_f32_u32 s5, s27
	s_sub_nc_u64 s[36:37], 0, s[26:27]
	v_mov_b32_e32 v19, v0
	v_add_nc_u64_e32 v[6:7], v[8:9], v[2:3]
	s_fmamk_f32 s2, s5, 0x4f800000, s2
	v_mov_b32_e32 v1, v0
	s_delay_alu instid0(SALU_CYCLE_2) | instskip(NEXT) | instid1(VALU_DEP_2)
	v_s_rcp_f32 s2, s2
	v_xor_b32_e32 v10, v6, v2
	s_delay_alu instid0(VALU_DEP_3) | instskip(SKIP_1) | instid1(TRANS32_DEP_1)
	v_xor_b32_e32 v12, v7, v2
	v_xor_b32_e32 v2, s4, v2
	s_mul_f32 s2, s2, 0x5f7ffffc
	s_delay_alu instid0(SALU_CYCLE_3) | instskip(NEXT) | instid1(SALU_CYCLE_3)
	s_mul_f32 s5, s2, 0x2f800000
	s_trunc_f32 s5, s5
	s_delay_alu instid0(SALU_CYCLE_3) | instskip(SKIP_1) | instid1(SALU_CYCLE_2)
	s_fmamk_f32 s2, s5, 0xcf800000, s2
	s_cvt_u32_f32 s35, s5
	s_cvt_u32_f32 s34, s2
	s_delay_alu instid0(SALU_CYCLE_3) | instskip(NEXT) | instid1(SALU_CYCLE_1)
	s_mul_u64 s[38:39], s[36:37], s[34:35]
	s_mul_hi_u32 s43, s34, s39
	s_mul_i32 s42, s34, s39
	s_mul_hi_u32 s40, s34, s38
	s_mul_i32 s5, s35, s38
	s_add_nc_u64 s[42:43], s[40:41], s[42:43]
	s_mul_hi_u32 s2, s35, s38
	s_mul_hi_u32 s33, s35, s39
	s_add_co_u32 s5, s42, s5
	s_add_co_ci_u32 s40, s43, s2
	s_mul_i32 s38, s35, s39
	s_add_co_ci_u32 s39, s33, 0
	s_delay_alu instid0(SALU_CYCLE_1) | instskip(NEXT) | instid1(SALU_CYCLE_1)
	s_add_nc_u64 s[38:39], s[40:41], s[38:39]
	s_add_co_u32 s34, s34, s38
	s_cselect_b32 s2, -1, 0
	s_delay_alu instid0(SALU_CYCLE_1) | instskip(SKIP_1) | instid1(SALU_CYCLE_1)
	s_cmp_lg_u32 s2, 0
	s_add_co_ci_u32 s35, s35, s39
	s_mul_u64 s[36:37], s[36:37], s[34:35]
	s_delay_alu instid0(SALU_CYCLE_1)
	s_mul_hi_u32 s39, s34, s37
	s_mul_i32 s38, s34, s37
	s_mul_hi_u32 s40, s34, s36
	s_mul_i32 s5, s35, s36
	s_add_nc_u64 s[38:39], s[40:41], s[38:39]
	s_mul_hi_u32 s2, s35, s36
	s_mul_hi_u32 s33, s35, s37
	s_add_co_u32 s5, s38, s5
	s_add_co_ci_u32 s40, s39, s2
	s_mul_i32 s36, s35, s37
	s_add_co_ci_u32 s37, s33, 0
	s_delay_alu instid0(SALU_CYCLE_1) | instskip(NEXT) | instid1(SALU_CYCLE_1)
	s_add_nc_u64 s[36:37], s[40:41], s[36:37]
	s_add_co_u32 s2, s34, s36
	s_cselect_b32 s5, -1, 0
	v_mul_hi_u32 v18, v10, s2
	s_cmp_lg_u32 s5, 0
	s_add_co_ci_u32 s40, s35, s37
	s_mov_b64 s[34:35], 0xffffffff
	v_mul_u64_e32 v[14:15], s[40:41], v[10:11]
	s_and_b64 s[34:35], s[2:3], s[34:35]
	v_mul_u64_e32 v[16:17], s[40:41], v[12:13]
	v_mul_u64_e32 v[6:7], s[34:35], v[12:13]
	s_delay_alu instid0(VALU_DEP_3) | instskip(NEXT) | instid1(VALU_DEP_1)
	v_add_nc_u64_e32 v[14:15], v[18:19], v[14:15]
	v_add_co_u32 v0, vcc_lo, v14, v6
	s_delay_alu instid0(VALU_DEP_2) | instskip(SKIP_1) | instid1(VALU_DEP_1)
	v_add_co_ci_u32_e32 v0, vcc_lo, v15, v7, vcc_lo
	v_add_co_ci_u32_e32 v17, vcc_lo, 0, v17, vcc_lo
	v_add_nc_u64_e32 v[0:1], v[0:1], v[16:17]
	s_delay_alu instid0(VALU_DEP_1) | instskip(NEXT) | instid1(VALU_DEP_1)
	v_mul_u64_e32 v[6:7], s[26:27], v[0:1]
	v_sub_nc_u32_e32 v3, v12, v7
	s_delay_alu instid0(VALU_DEP_2) | instskip(NEXT) | instid1(VALU_DEP_1)
	v_sub_co_u32 v6, vcc_lo, v10, v6
	v_sub_co_ci_u32_e64 v12, null, v12, v7, vcc_lo
	s_delay_alu instid0(VALU_DEP_3) | instskip(NEXT) | instid1(VALU_DEP_3)
	v_subrev_co_ci_u32_e64 v3, null, s27, v3, vcc_lo
	v_sub_co_u32 v10, s2, v6, s26
	s_delay_alu instid0(VALU_DEP_1) | instskip(NEXT) | instid1(VALU_DEP_2)
	v_subrev_co_ci_u32_e64 v3, null, 0, v3, s2
	v_cmp_le_u32_e32 vcc_lo, s26, v10
	v_cndmask_b32_e64 v7, 0, -1, vcc_lo
	s_delay_alu instid0(VALU_DEP_3)
	v_cmp_le_u32_e32 vcc_lo, s27, v3
	v_cndmask_b32_e64 v10, 0, -1, vcc_lo
	v_cmp_le_u32_e32 vcc_lo, s26, v6
	v_cndmask_b32_e64 v13, 0, -1, vcc_lo
	;; [unrolled: 2-line block ×3, first 2 shown]
	v_cmp_eq_u32_e32 vcc_lo, s27, v3
	v_cndmask_b32_e32 v3, v10, v7, vcc_lo
	v_cmp_eq_u32_e32 vcc_lo, s27, v12
	v_add_nc_u64_e32 v[6:7], 2, v[0:1]
	v_add_nc_u64_e32 v[10:11], 1, v[0:1]
	v_cndmask_b32_e32 v12, v14, v13, vcc_lo
	v_cmp_ne_u32_e32 vcc_lo, 0, v3
	s_delay_alu instid0(VALU_DEP_2) | instskip(NEXT) | instid1(VALU_DEP_4)
	v_cmp_ne_u32_e64 s2, 0, v12
	v_dual_cndmask_b32 v3, v11, v7 :: v_dual_cndmask_b32 v6, v10, v6
	s_delay_alu instid0(VALU_DEP_1) | instskip(NEXT) | instid1(VALU_DEP_1)
	v_dual_cndmask_b32 v1, v1, v3, s2 :: v_dual_cndmask_b32 v0, v0, v6, s2
	v_dual_mov_b32 v3, v2 :: v_dual_bitop2_b32 v1, v1, v2 bitop3:0x14
	s_delay_alu instid0(VALU_DEP_2) | instskip(NEXT) | instid1(VALU_DEP_1)
	v_xor_b32_e32 v0, v0, v2
	v_sub_nc_u64_e32 v[6:7], v[0:1], v[2:3]
.LBB178_7:
	s_and_not1_saveexec_b32 s2, s3
	s_cbranch_execz .LBB178_9
; %bb.8:
	v_cvt_f32_u32_e32 v0, s28
	s_sub_co_i32 s3, 0, s28
	v_mov_b32_e32 v7, 0
	s_delay_alu instid0(VALU_DEP_2) | instskip(SKIP_1) | instid1(TRANS32_DEP_1)
	v_rcp_iflag_f32_e32 v0, v0
	v_nop
	v_mul_f32_e32 v0, 0x4f7ffffe, v0
	s_delay_alu instid0(VALU_DEP_1) | instskip(NEXT) | instid1(VALU_DEP_1)
	v_cvt_u32_f32_e32 v0, v0
	v_mul_lo_u32 v1, s3, v0
	s_delay_alu instid0(VALU_DEP_1) | instskip(NEXT) | instid1(VALU_DEP_1)
	v_mul_hi_u32 v1, v0, v1
	v_add_nc_u32_e32 v0, v0, v1
	s_delay_alu instid0(VALU_DEP_1) | instskip(NEXT) | instid1(VALU_DEP_1)
	v_mul_hi_u32 v0, v8, v0
	v_mul_lo_u32 v1, v0, s28
	s_delay_alu instid0(VALU_DEP_1) | instskip(NEXT) | instid1(VALU_DEP_1)
	v_dual_add_nc_u32 v2, 1, v0 :: v_dual_sub_nc_u32 v1, v8, v1
	v_subrev_nc_u32_e32 v3, s28, v1
	v_cmp_le_u32_e32 vcc_lo, s28, v1
	s_delay_alu instid0(VALU_DEP_2) | instskip(NEXT) | instid1(VALU_DEP_1)
	v_dual_cndmask_b32 v1, v1, v3 :: v_dual_cndmask_b32 v0, v0, v2
	v_cmp_le_u32_e32 vcc_lo, s28, v1
	s_delay_alu instid0(VALU_DEP_2) | instskip(NEXT) | instid1(VALU_DEP_1)
	v_add_nc_u32_e32 v2, 1, v0
	v_cndmask_b32_e32 v6, v0, v2, vcc_lo
.LBB178_9:
	s_or_b32 exec_lo, exec_lo, s2
	s_add_nc_u64 s[2:3], s[28:29], 1
	s_delay_alu instid0(VALU_DEP_1) | instskip(SKIP_2) | instid1(SALU_CYCLE_1)
	v_mul_u64_e32 v[12:13], s[28:29], v[6:7]
	s_wait_kmcnt 0x0
	s_mul_u64 s[2:3], s[24:25], s[2:3]
	v_mul_u64_e32 v[0:1], s[2:3], v[6:7]
	s_delay_alu instid0(VALU_DEP_2) | instskip(SKIP_1) | instid1(VALU_DEP_3)
	v_sub_nc_u64_e32 v[10:11], v[8:9], v[12:13]
	v_mul_u64_e32 v[8:9], s[6:7], v[8:9]
	v_lshl_add_u64 v[0:1], v[0:1], 3, s[18:19]
	s_delay_alu instid0(VALU_DEP_1)
	v_lshl_add_u64 v[0:1], v[10:11], 3, v[0:1]
	global_load_b128 v[0:3], v[0:1], off
	s_clause 0x1
	s_load_b64 s[2:3], s[0:1], 0x38
	s_load_b32 s6, s[0:1], 0x0
	s_wait_xcnt 0x0
	s_mov_b32 s1, exec_lo
	s_wait_kmcnt 0x0
	v_mov_b32_e32 v16, s3
	s_wait_loadcnt 0x0
	v_cmpx_lt_i64_e64 v[0:1], v[2:3]
	s_cbranch_execz .LBB178_28
; %bb.10:
	v_mul_u64_e32 v[14:15], s[10:11], v[6:7]
	v_lshlrev_b64_e32 v[16:17], 2, v[0:1]
	v_lshlrev_b64_e32 v[18:19], 2, v[4:5]
	s_cmp_lg_u32 s6, 0
	s_cselect_b32 s7, -1, 0
	s_and_b32 s0, s6, -3
	s_delay_alu instid0(SALU_CYCLE_1) | instskip(SKIP_2) | instid1(VALU_DEP_3)
	s_cmp_lg_u32 s0, 1
	s_cselect_b32 s10, -1, 0
	s_lshl_b64 s[4:5], s[8:9], 2
	v_lshl_add_u64 v[14:15], v[14:15], 2, v[16:17]
	s_delay_alu instid0(VALU_DEP_1) | instskip(NEXT) | instid1(VALU_DEP_1)
	v_mad_nc_u64_u32 v[16:17], s8, v14, v[18:19]
	v_mad_u32 v14, s9, v14, v17
	s_delay_alu instid0(VALU_DEP_1) | instskip(SKIP_1) | instid1(VALU_DEP_1)
	v_mad_u32 v17, s8, v15, v14
	v_lshlrev_b64_e32 v[14:15], 2, v[8:9]
	v_sub_nc_u64_e32 v[14:15], v[16:17], v[14:15]
	v_mov_b32_e32 v17, s3
	s_mov_b32 s3, 0
	s_delay_alu instid0(VALU_DEP_2)
	v_add_nc_u64_e32 v[14:15], s[14:15], v[14:15]
	s_branch .LBB178_12
.LBB178_11:                             ;   in Loop: Header=BB178_12 Depth=1
	v_add_nc_u64_e32 v[0:1], 1, v[0:1]
	s_wait_xcnt 0x0
	v_add_nc_u64_e32 v[14:15], s[4:5], v[14:15]
	v_mov_b32_e32 v17, v16
	s_delay_alu instid0(VALU_DEP_3) | instskip(SKIP_1) | instid1(SALU_CYCLE_1)
	v_cmp_ge_i64_e32 vcc_lo, v[0:1], v[2:3]
	s_or_b32 s3, vcc_lo, s3
	s_and_not1_b32 exec_lo, exec_lo, s3
	s_cbranch_execz .LBB178_27
.LBB178_12:                             ; =>This Inner Loop Header: Depth=1
	s_wait_loadcnt 0x0
	global_load_b32 v18, v[14:15], off
	s_and_b32 vcc_lo, exec_lo, s7
	s_cbranch_vccz .LBB178_25
; %bb.13:                               ;   in Loop: Header=BB178_12 Depth=1
	s_and_b32 vcc_lo, exec_lo, s10
	s_mov_b32 s0, -1
                                        ; implicit-def: $vgpr16
	s_cbranch_vccz .LBB178_22
; %bb.14:                               ;   in Loop: Header=BB178_12 Depth=1
	s_cmp_lt_i32 s6, 4
                                        ; implicit-def: $vgpr16
	s_cbranch_scc1 .LBB178_18
; %bb.15:                               ;   in Loop: Header=BB178_12 Depth=1
	v_mov_b32_e32 v16, v17
	s_cmp_eq_u32 s6, 4
	s_cbranch_scc0 .LBB178_17
; %bb.16:                               ;   in Loop: Header=BB178_12 Depth=1
	s_wait_loadcnt 0x0
	v_mul_f32_e32 v16, v18, v17
.LBB178_17:                             ;   in Loop: Header=BB178_12 Depth=1
	s_mov_b32 s0, 0
.LBB178_18:                             ;   in Loop: Header=BB178_12 Depth=1
	s_delay_alu instid0(SALU_CYCLE_1)
	s_and_not1_b32 vcc_lo, exec_lo, s0
	s_cbranch_vccnz .LBB178_21
; %bb.19:                               ;   in Loop: Header=BB178_12 Depth=1
	v_mov_b32_e32 v16, v17
	s_cmp_lg_u32 s6, 2
	s_cbranch_scc1 .LBB178_21
; %bb.20:                               ;   in Loop: Header=BB178_12 Depth=1
	s_wait_loadcnt 0x0
	v_cmp_u_f32_e32 vcc_lo, v18, v18
	v_cmp_lt_f32_e64 s0, v18, v17
	s_or_b32 vcc_lo, vcc_lo, s0
	v_cndmask_b32_e32 v16, v17, v18, vcc_lo
.LBB178_21:                             ;   in Loop: Header=BB178_12 Depth=1
	s_mov_b32 s0, 0
.LBB178_22:                             ;   in Loop: Header=BB178_12 Depth=1
	s_delay_alu instid0(SALU_CYCLE_1)
	s_and_b32 vcc_lo, exec_lo, s0
	s_cbranch_vccz .LBB178_24
; %bb.23:                               ;   in Loop: Header=BB178_12 Depth=1
	s_wait_loadcnt 0x0
	v_add_f32_e32 v16, v18, v17
.LBB178_24:                             ;   in Loop: Header=BB178_12 Depth=1
	s_cbranch_execnz .LBB178_11
	s_branch .LBB178_26
.LBB178_25:                             ;   in Loop: Header=BB178_12 Depth=1
                                        ; implicit-def: $vgpr16
.LBB178_26:                             ;   in Loop: Header=BB178_12 Depth=1
	s_wait_loadcnt 0x0
	v_cmp_u_f32_e32 vcc_lo, v18, v18
	v_cmp_lt_f32_e64 s0, v17, v18
	s_or_b32 vcc_lo, vcc_lo, s0
	v_cndmask_b32_e32 v16, v17, v18, vcc_lo
	s_branch .LBB178_11
.LBB178_27:
	s_or_b32 exec_lo, exec_lo, s3
.LBB178_28:
	s_delay_alu instid0(SALU_CYCLE_1) | instskip(SKIP_2) | instid1(VALU_DEP_1)
	s_or_b32 exec_lo, exec_lo, s1
	v_mul_u64_e32 v[0:1], s[30:31], v[12:13]
	s_mov_b32 s0, exec_lo
	v_lshl_add_u64 v[0:1], v[0:1], 3, s[16:17]
	s_delay_alu instid0(VALU_DEP_1)
	v_lshl_add_u64 v[0:1], v[10:11], 3, v[0:1]
	global_load_b64 v[0:1], v[0:1], off
	s_wait_loadcnt 0x0
	v_cmpx_lt_i64_e32 -1, v[0:1]
	s_xor_b32 s1, exec_lo, s0
	s_cbranch_execz .LBB178_34
; %bb.29:
	v_cmp_ne_u64_e32 vcc_lo, 0, v[0:1]
	s_bitcmp1_b32 s2, 0
	v_mov_b32_e32 v2, 0x7fc00000
	s_cselect_b32 s0, -1, 0
	s_delay_alu instid0(SALU_CYCLE_1) | instskip(SKIP_2) | instid1(SALU_CYCLE_1)
	s_or_b32 s0, s0, vcc_lo
	s_cmp_lg_u32 s6, 1
	s_cselect_b32 s3, -1, 0
	s_or_b32 s0, s3, s0
	s_delay_alu instid0(SALU_CYCLE_1)
	s_and_saveexec_b32 s2, s0
	s_cbranch_execz .LBB178_33
; %bb.30:
	v_cmp_ne_u64_e32 vcc_lo, 0, v[0:1]
	v_cmp_o_f32_e64 s0, v16, v16
	s_xor_b32 s3, s3, -1
	s_delay_alu instid0(SALU_CYCLE_1) | instskip(NEXT) | instid1(SALU_CYCLE_1)
	s_and_b32 s3, s3, vcc_lo
	s_and_b32 s3, s3, s0
	s_delay_alu instid0(SALU_CYCLE_1)
	s_and_saveexec_b32 s0, s3
	s_cbranch_execz .LBB178_32
; %bb.31:
	v_clz_i32_u32_e32 v2, v1
	s_delay_alu instid0(VALU_DEP_1) | instskip(NEXT) | instid1(VALU_DEP_1)
	v_min_u32_e32 v2, 32, v2
	v_lshlrev_b64_e32 v[0:1], v2, v[0:1]
	s_delay_alu instid0(VALU_DEP_1) | instskip(NEXT) | instid1(VALU_DEP_1)
	v_min_u32_e32 v0, 1, v0
	v_dual_sub_nc_u32 v1, 32, v2 :: v_dual_bitop2_b32 v0, v1, v0 bitop3:0x54
	s_delay_alu instid0(VALU_DEP_1) | instskip(NEXT) | instid1(VALU_DEP_1)
	v_cvt_f32_u32_e32 v0, v0
	v_ldexp_f32 v0, v0, v1
	s_delay_alu instid0(VALU_DEP_1) | instskip(NEXT) | instid1(VALU_DEP_1)
	v_div_scale_f32 v1, null, v0, v0, v16
	v_rcp_f32_e32 v2, v1
	v_nop
	s_delay_alu instid0(TRANS32_DEP_1) | instskip(NEXT) | instid1(VALU_DEP_1)
	v_fma_f32 v3, -v1, v2, 1.0
	v_fmac_f32_e32 v2, v3, v2
	v_div_scale_f32 v3, vcc_lo, v16, v0, v16
	s_delay_alu instid0(VALU_DEP_1) | instskip(NEXT) | instid1(VALU_DEP_1)
	v_mul_f32_e32 v12, v3, v2
	v_fma_f32 v13, -v1, v12, v3
	s_delay_alu instid0(VALU_DEP_1) | instskip(NEXT) | instid1(VALU_DEP_1)
	v_fmac_f32_e32 v12, v13, v2
	v_fma_f32 v1, -v1, v12, v3
	s_delay_alu instid0(VALU_DEP_1) | instskip(NEXT) | instid1(VALU_DEP_1)
	v_div_fmas_f32 v1, v1, v2, v12
	v_div_fixup_f32 v16, v1, v0, v16
.LBB178_32:
	s_or_b32 exec_lo, exec_lo, s0
	s_delay_alu instid0(VALU_DEP_1)
	v_mov_b32_e32 v2, v16
.LBB178_33:
	s_or_b32 exec_lo, exec_lo, s2
	s_mul_u64 s[2:3], s[22:23], s[20:21]
	v_sub_nc_u64_e32 v[4:5], v[4:5], v[8:9]
	v_mul_u64_e32 v[0:1], s[2:3], v[6:7]
	v_mul_u64_e32 v[6:7], s[20:21], v[10:11]
	s_delay_alu instid0(VALU_DEP_2) | instskip(NEXT) | instid1(VALU_DEP_1)
	v_lshl_add_u64 v[0:1], v[0:1], 2, s[12:13]
	v_lshl_add_u64 v[0:1], v[6:7], 2, v[0:1]
	s_delay_alu instid0(VALU_DEP_1)
	v_lshl_add_u64 v[0:1], v[4:5], 2, v[0:1]
	global_store_b32 v[0:1], v2, off
.LBB178_34:
	s_wait_xcnt 0x0
	s_and_not1_saveexec_b32 s0, s1
	s_cbranch_execnz .LBB178_36
.LBB178_35:
	s_endpgm
.LBB178_36:
	s_trap 2
	; divergent unreachable
	s_endpgm
	.section	.rodata,"a",@progbits
	.p2align	6, 0x0
	.amdhsa_kernel _ZN2at6native12_GLOBAL__N_129segment_reduce_forward_kernelIflEEvNS0_13ReductionTypeEPT_PKS4_PKT0_SA_llbS4_lllllll
		.amdhsa_group_segment_fixed_size 0
		.amdhsa_private_segment_fixed_size 0
		.amdhsa_kernarg_size 376
		.amdhsa_user_sgpr_count 2
		.amdhsa_user_sgpr_dispatch_ptr 0
		.amdhsa_user_sgpr_queue_ptr 0
		.amdhsa_user_sgpr_kernarg_segment_ptr 1
		.amdhsa_user_sgpr_dispatch_id 0
		.amdhsa_user_sgpr_kernarg_preload_length 0
		.amdhsa_user_sgpr_kernarg_preload_offset 0
		.amdhsa_user_sgpr_private_segment_size 0
		.amdhsa_wavefront_size32 1
		.amdhsa_uses_dynamic_stack 0
		.amdhsa_enable_private_segment 0
		.amdhsa_system_sgpr_workgroup_id_x 1
		.amdhsa_system_sgpr_workgroup_id_y 0
		.amdhsa_system_sgpr_workgroup_id_z 0
		.amdhsa_system_sgpr_workgroup_info 0
		.amdhsa_system_vgpr_workitem_id 0
		.amdhsa_next_free_vgpr 20
		.amdhsa_next_free_sgpr 44
		.amdhsa_named_barrier_count 0
		.amdhsa_reserve_vcc 1
		.amdhsa_float_round_mode_32 0
		.amdhsa_float_round_mode_16_64 0
		.amdhsa_float_denorm_mode_32 3
		.amdhsa_float_denorm_mode_16_64 3
		.amdhsa_fp16_overflow 0
		.amdhsa_memory_ordered 1
		.amdhsa_forward_progress 1
		.amdhsa_inst_pref_size 20
		.amdhsa_round_robin_scheduling 0
		.amdhsa_exception_fp_ieee_invalid_op 0
		.amdhsa_exception_fp_denorm_src 0
		.amdhsa_exception_fp_ieee_div_zero 0
		.amdhsa_exception_fp_ieee_overflow 0
		.amdhsa_exception_fp_ieee_underflow 0
		.amdhsa_exception_fp_ieee_inexact 0
		.amdhsa_exception_int_div_zero 0
	.end_amdhsa_kernel
	.section	.text._ZN2at6native12_GLOBAL__N_129segment_reduce_forward_kernelIflEEvNS0_13ReductionTypeEPT_PKS4_PKT0_SA_llbS4_lllllll,"axG",@progbits,_ZN2at6native12_GLOBAL__N_129segment_reduce_forward_kernelIflEEvNS0_13ReductionTypeEPT_PKS4_PKT0_SA_llbS4_lllllll,comdat
.Lfunc_end178:
	.size	_ZN2at6native12_GLOBAL__N_129segment_reduce_forward_kernelIflEEvNS0_13ReductionTypeEPT_PKS4_PKT0_SA_llbS4_lllllll, .Lfunc_end178-_ZN2at6native12_GLOBAL__N_129segment_reduce_forward_kernelIflEEvNS0_13ReductionTypeEPT_PKS4_PKT0_SA_llbS4_lllllll
                                        ; -- End function
	.set _ZN2at6native12_GLOBAL__N_129segment_reduce_forward_kernelIflEEvNS0_13ReductionTypeEPT_PKS4_PKT0_SA_llbS4_lllllll.num_vgpr, 20
	.set _ZN2at6native12_GLOBAL__N_129segment_reduce_forward_kernelIflEEvNS0_13ReductionTypeEPT_PKS4_PKT0_SA_llbS4_lllllll.num_agpr, 0
	.set _ZN2at6native12_GLOBAL__N_129segment_reduce_forward_kernelIflEEvNS0_13ReductionTypeEPT_PKS4_PKT0_SA_llbS4_lllllll.numbered_sgpr, 44
	.set _ZN2at6native12_GLOBAL__N_129segment_reduce_forward_kernelIflEEvNS0_13ReductionTypeEPT_PKS4_PKT0_SA_llbS4_lllllll.num_named_barrier, 0
	.set _ZN2at6native12_GLOBAL__N_129segment_reduce_forward_kernelIflEEvNS0_13ReductionTypeEPT_PKS4_PKT0_SA_llbS4_lllllll.private_seg_size, 0
	.set _ZN2at6native12_GLOBAL__N_129segment_reduce_forward_kernelIflEEvNS0_13ReductionTypeEPT_PKS4_PKT0_SA_llbS4_lllllll.uses_vcc, 1
	.set _ZN2at6native12_GLOBAL__N_129segment_reduce_forward_kernelIflEEvNS0_13ReductionTypeEPT_PKS4_PKT0_SA_llbS4_lllllll.uses_flat_scratch, 0
	.set _ZN2at6native12_GLOBAL__N_129segment_reduce_forward_kernelIflEEvNS0_13ReductionTypeEPT_PKS4_PKT0_SA_llbS4_lllllll.has_dyn_sized_stack, 0
	.set _ZN2at6native12_GLOBAL__N_129segment_reduce_forward_kernelIflEEvNS0_13ReductionTypeEPT_PKS4_PKT0_SA_llbS4_lllllll.has_recursion, 0
	.set _ZN2at6native12_GLOBAL__N_129segment_reduce_forward_kernelIflEEvNS0_13ReductionTypeEPT_PKS4_PKT0_SA_llbS4_lllllll.has_indirect_call, 0
	.section	.AMDGPU.csdata,"",@progbits
; Kernel info:
; codeLenInByte = 2484
; TotalNumSgprs: 46
; NumVgprs: 20
; ScratchSize: 0
; MemoryBound: 0
; FloatMode: 240
; IeeeMode: 1
; LDSByteSize: 0 bytes/workgroup (compile time only)
; SGPRBlocks: 0
; VGPRBlocks: 1
; NumSGPRsForWavesPerEU: 46
; NumVGPRsForWavesPerEU: 20
; NamedBarCnt: 0
; Occupancy: 16
; WaveLimiterHint : 0
; COMPUTE_PGM_RSRC2:SCRATCH_EN: 0
; COMPUTE_PGM_RSRC2:USER_SGPR: 2
; COMPUTE_PGM_RSRC2:TRAP_HANDLER: 0
; COMPUTE_PGM_RSRC2:TGID_X_EN: 1
; COMPUTE_PGM_RSRC2:TGID_Y_EN: 0
; COMPUTE_PGM_RSRC2:TGID_Z_EN: 0
; COMPUTE_PGM_RSRC2:TIDIG_COMP_CNT: 0
	.section	.text._ZN7rocprim17ROCPRIM_400000_NS6detail17trampoline_kernelINS0_14default_configENS1_32segmented_reduce_config_selectorIfEEZNS1_21segmented_reduce_implIS3_PKfPfPKlfN6hipcub16HIPCUB_304000_NS6detail27convert_result_type_wrapperIS8_S9_N2at6native12_GLOBAL__N_19CustomMaxEEEEE10hipError_tPvRmT0_T1_jT2_SQ_T4_T3_P12ihipStream_tbEUlT_E_NS1_11comp_targetILNS1_3genE0ELNS1_11target_archE4294967295ELNS1_3gpuE0ELNS1_3repE0EEENS1_30default_config_static_selectorELNS0_4arch9wavefront6targetE0EEEvSP_,"axG",@progbits,_ZN7rocprim17ROCPRIM_400000_NS6detail17trampoline_kernelINS0_14default_configENS1_32segmented_reduce_config_selectorIfEEZNS1_21segmented_reduce_implIS3_PKfPfPKlfN6hipcub16HIPCUB_304000_NS6detail27convert_result_type_wrapperIS8_S9_N2at6native12_GLOBAL__N_19CustomMaxEEEEE10hipError_tPvRmT0_T1_jT2_SQ_T4_T3_P12ihipStream_tbEUlT_E_NS1_11comp_targetILNS1_3genE0ELNS1_11target_archE4294967295ELNS1_3gpuE0ELNS1_3repE0EEENS1_30default_config_static_selectorELNS0_4arch9wavefront6targetE0EEEvSP_,comdat
	.globl	_ZN7rocprim17ROCPRIM_400000_NS6detail17trampoline_kernelINS0_14default_configENS1_32segmented_reduce_config_selectorIfEEZNS1_21segmented_reduce_implIS3_PKfPfPKlfN6hipcub16HIPCUB_304000_NS6detail27convert_result_type_wrapperIS8_S9_N2at6native12_GLOBAL__N_19CustomMaxEEEEE10hipError_tPvRmT0_T1_jT2_SQ_T4_T3_P12ihipStream_tbEUlT_E_NS1_11comp_targetILNS1_3genE0ELNS1_11target_archE4294967295ELNS1_3gpuE0ELNS1_3repE0EEENS1_30default_config_static_selectorELNS0_4arch9wavefront6targetE0EEEvSP_ ; -- Begin function _ZN7rocprim17ROCPRIM_400000_NS6detail17trampoline_kernelINS0_14default_configENS1_32segmented_reduce_config_selectorIfEEZNS1_21segmented_reduce_implIS3_PKfPfPKlfN6hipcub16HIPCUB_304000_NS6detail27convert_result_type_wrapperIS8_S9_N2at6native12_GLOBAL__N_19CustomMaxEEEEE10hipError_tPvRmT0_T1_jT2_SQ_T4_T3_P12ihipStream_tbEUlT_E_NS1_11comp_targetILNS1_3genE0ELNS1_11target_archE4294967295ELNS1_3gpuE0ELNS1_3repE0EEENS1_30default_config_static_selectorELNS0_4arch9wavefront6targetE0EEEvSP_
	.p2align	8
	.type	_ZN7rocprim17ROCPRIM_400000_NS6detail17trampoline_kernelINS0_14default_configENS1_32segmented_reduce_config_selectorIfEEZNS1_21segmented_reduce_implIS3_PKfPfPKlfN6hipcub16HIPCUB_304000_NS6detail27convert_result_type_wrapperIS8_S9_N2at6native12_GLOBAL__N_19CustomMaxEEEEE10hipError_tPvRmT0_T1_jT2_SQ_T4_T3_P12ihipStream_tbEUlT_E_NS1_11comp_targetILNS1_3genE0ELNS1_11target_archE4294967295ELNS1_3gpuE0ELNS1_3repE0EEENS1_30default_config_static_selectorELNS0_4arch9wavefront6targetE0EEEvSP_,@function
_ZN7rocprim17ROCPRIM_400000_NS6detail17trampoline_kernelINS0_14default_configENS1_32segmented_reduce_config_selectorIfEEZNS1_21segmented_reduce_implIS3_PKfPfPKlfN6hipcub16HIPCUB_304000_NS6detail27convert_result_type_wrapperIS8_S9_N2at6native12_GLOBAL__N_19CustomMaxEEEEE10hipError_tPvRmT0_T1_jT2_SQ_T4_T3_P12ihipStream_tbEUlT_E_NS1_11comp_targetILNS1_3genE0ELNS1_11target_archE4294967295ELNS1_3gpuE0ELNS1_3repE0EEENS1_30default_config_static_selectorELNS0_4arch9wavefront6targetE0EEEvSP_: ; @_ZN7rocprim17ROCPRIM_400000_NS6detail17trampoline_kernelINS0_14default_configENS1_32segmented_reduce_config_selectorIfEEZNS1_21segmented_reduce_implIS3_PKfPfPKlfN6hipcub16HIPCUB_304000_NS6detail27convert_result_type_wrapperIS8_S9_N2at6native12_GLOBAL__N_19CustomMaxEEEEE10hipError_tPvRmT0_T1_jT2_SQ_T4_T3_P12ihipStream_tbEUlT_E_NS1_11comp_targetILNS1_3genE0ELNS1_11target_archE4294967295ELNS1_3gpuE0ELNS1_3repE0EEENS1_30default_config_static_selectorELNS0_4arch9wavefront6targetE0EEEvSP_
; %bb.0:
	s_clause 0x1
	s_load_b256 s[4:11], s[0:1], 0x0
	s_load_b64 s[12:13], s[0:1], 0x20
	s_bfe_u32 s2, ttmp6, 0x4000c
	s_and_b32 s3, ttmp6, 15
	s_add_co_i32 s2, s2, 1
	s_getreg_b32 s14, hwreg(HW_REG_IB_STS2, 6, 4)
	s_mul_i32 s2, ttmp9, s2
	s_load_b32 s17, s[0:1], 0x2c
	s_add_co_i32 s3, s3, s2
	s_mov_b32 s16, 0
	s_wait_kmcnt 0x0
	s_lshl_b64 s[0:1], s[8:9], 3
	s_cmp_eq_u32 s14, 0
	s_add_nc_u64 s[14:15], s[10:11], s[0:1]
	s_cselect_b32 s2, ttmp9, s3
	s_add_nc_u64 s[0:1], s[12:13], s[0:1]
	s_load_b64 s[12:13], s[14:15], s2 offset:0x0 scale_offset
	s_load_b64 s[10:11], s[0:1], s2 offset:0x0 scale_offset
	s_mov_b32 s3, 0
	s_wait_xcnt 0x0
	s_mov_b32 s1, -1
	s_wait_kmcnt 0x0
	v_cmp_gt_i64_e64 s0, s[10:11], s[12:13]
	s_and_b32 vcc_lo, exec_lo, s0
	v_cmp_eq_u32_e64 s0, 0, v0
	s_cbranch_vccnz .LBB179_2
; %bb.1:
	s_mov_b32 s1, 0
	s_and_b32 s16, s0, exec_lo
.LBB179_2:
	s_and_not1_b32 vcc_lo, exec_lo, s1
	s_cbranch_vccnz .LBB179_131
; %bb.3:
	s_add_nc_u64 s[0:1], s[12:13], 0x1000
	s_delay_alu instid0(SALU_CYCLE_1)
	v_cmp_le_i64_e64 s14, s[0:1], s[10:11]
	s_and_b32 vcc_lo, exec_lo, s14
	s_cbranch_vccz .LBB179_132
; %bb.4:
	s_lshl_b64 s[14:15], s[12:13], 2
	s_mov_b32 s18, exec_lo
	s_add_nc_u64 s[14:15], s[4:5], s[14:15]
	s_clause 0xf
	global_load_b32 v16, v0, s[14:15] scale_offset
	global_load_b32 v1, v0, s[14:15] offset:1024 scale_offset
	global_load_b32 v2, v0, s[14:15] offset:2048 scale_offset
	;; [unrolled: 1-line block ×15, first 2 shown]
	s_wait_loadcnt 0xf
	v_mov_b32_e32 v17, v16
	s_wait_xcnt 0x0
	v_cmpx_o_f32_e32 v16, v16
	s_cbranch_execz .LBB179_8
; %bb.5:
	s_wait_loadcnt 0xe
	v_mov_b32_e32 v17, v1
	s_mov_b32 s19, exec_lo
	v_cmpx_o_f32_e32 v1, v1
; %bb.6:
	v_cmp_lt_f32_e32 vcc_lo, v16, v1
	v_cndmask_b32_e32 v17, v16, v1, vcc_lo
; %bb.7:
	s_or_b32 exec_lo, exec_lo, s19
.LBB179_8:
	s_delay_alu instid0(SALU_CYCLE_1) | instskip(NEXT) | instid1(SALU_CYCLE_1)
	s_or_b32 exec_lo, exec_lo, s18
	s_mov_b32 s18, exec_lo
	s_delay_alu instid0(VALU_DEP_1)
	v_cmpx_o_f32_e32 v17, v17
	s_cbranch_execz .LBB179_12
; %bb.9:
	s_wait_loadcnt 0xd
	v_mov_b32_e32 v18, v2
	s_mov_b32 s19, exec_lo
	v_cmpx_o_f32_e32 v2, v2
; %bb.10:
	v_cmp_lt_f32_e32 vcc_lo, v17, v2
	v_cndmask_b32_e32 v18, v17, v2, vcc_lo
; %bb.11:
	s_or_b32 exec_lo, exec_lo, s19
	s_delay_alu instid0(VALU_DEP_1)
	v_mov_b32_e32 v17, v18
.LBB179_12:
	s_or_b32 exec_lo, exec_lo, s18
	s_delay_alu instid0(SALU_CYCLE_1) | instskip(NEXT) | instid1(VALU_DEP_1)
	s_mov_b32 s18, exec_lo
	v_cmpx_o_f32_e32 v17, v17
	s_cbranch_execz .LBB179_16
; %bb.13:
	s_wait_loadcnt 0xc
	v_mov_b32_e32 v18, v3
	s_mov_b32 s19, exec_lo
	v_cmpx_o_f32_e32 v3, v3
; %bb.14:
	v_cmp_lt_f32_e32 vcc_lo, v17, v3
	v_cndmask_b32_e32 v18, v17, v3, vcc_lo
; %bb.15:
	s_or_b32 exec_lo, exec_lo, s19
	s_delay_alu instid0(VALU_DEP_1)
	v_mov_b32_e32 v17, v18
.LBB179_16:
	s_or_b32 exec_lo, exec_lo, s18
	s_delay_alu instid0(SALU_CYCLE_1) | instskip(NEXT) | instid1(VALU_DEP_1)
	s_mov_b32 s18, exec_lo
	v_cmpx_o_f32_e32 v17, v17
	s_cbranch_execz .LBB179_20
; %bb.17:
	s_wait_loadcnt 0xb
	v_mov_b32_e32 v18, v4
	s_mov_b32 s19, exec_lo
	v_cmpx_o_f32_e32 v4, v4
; %bb.18:
	v_cmp_lt_f32_e32 vcc_lo, v17, v4
	v_cndmask_b32_e32 v18, v17, v4, vcc_lo
; %bb.19:
	s_or_b32 exec_lo, exec_lo, s19
	s_delay_alu instid0(VALU_DEP_1)
	v_mov_b32_e32 v17, v18
.LBB179_20:
	s_or_b32 exec_lo, exec_lo, s18
	s_delay_alu instid0(SALU_CYCLE_1) | instskip(NEXT) | instid1(VALU_DEP_1)
	s_mov_b32 s18, exec_lo
	v_cmpx_o_f32_e32 v17, v17
	s_cbranch_execz .LBB179_24
; %bb.21:
	s_wait_loadcnt 0xa
	v_mov_b32_e32 v18, v5
	s_mov_b32 s19, exec_lo
	v_cmpx_o_f32_e32 v5, v5
; %bb.22:
	v_cmp_lt_f32_e32 vcc_lo, v17, v5
	v_cndmask_b32_e32 v18, v17, v5, vcc_lo
; %bb.23:
	s_or_b32 exec_lo, exec_lo, s19
	s_delay_alu instid0(VALU_DEP_1)
	v_mov_b32_e32 v17, v18
.LBB179_24:
	s_or_b32 exec_lo, exec_lo, s18
	s_delay_alu instid0(SALU_CYCLE_1) | instskip(NEXT) | instid1(VALU_DEP_1)
	s_mov_b32 s18, exec_lo
	v_cmpx_o_f32_e32 v17, v17
	s_cbranch_execz .LBB179_28
; %bb.25:
	s_wait_loadcnt 0x9
	v_mov_b32_e32 v18, v6
	s_mov_b32 s19, exec_lo
	v_cmpx_o_f32_e32 v6, v6
; %bb.26:
	v_cmp_lt_f32_e32 vcc_lo, v17, v6
	v_cndmask_b32_e32 v18, v17, v6, vcc_lo
; %bb.27:
	s_or_b32 exec_lo, exec_lo, s19
	s_delay_alu instid0(VALU_DEP_1)
	v_mov_b32_e32 v17, v18
.LBB179_28:
	s_or_b32 exec_lo, exec_lo, s18
	s_delay_alu instid0(SALU_CYCLE_1) | instskip(NEXT) | instid1(VALU_DEP_1)
	s_mov_b32 s18, exec_lo
	v_cmpx_o_f32_e32 v17, v17
	s_cbranch_execz .LBB179_32
; %bb.29:
	s_wait_loadcnt 0x8
	v_mov_b32_e32 v18, v7
	s_mov_b32 s19, exec_lo
	v_cmpx_o_f32_e32 v7, v7
; %bb.30:
	v_cmp_lt_f32_e32 vcc_lo, v17, v7
	v_cndmask_b32_e32 v18, v17, v7, vcc_lo
; %bb.31:
	s_or_b32 exec_lo, exec_lo, s19
	s_delay_alu instid0(VALU_DEP_1)
	v_mov_b32_e32 v17, v18
.LBB179_32:
	s_or_b32 exec_lo, exec_lo, s18
	s_delay_alu instid0(SALU_CYCLE_1) | instskip(NEXT) | instid1(VALU_DEP_1)
	s_mov_b32 s18, exec_lo
	v_cmpx_o_f32_e32 v17, v17
	s_cbranch_execz .LBB179_36
; %bb.33:
	s_wait_loadcnt 0x7
	v_mov_b32_e32 v18, v8
	s_mov_b32 s19, exec_lo
	v_cmpx_o_f32_e32 v8, v8
; %bb.34:
	v_cmp_lt_f32_e32 vcc_lo, v17, v8
	v_cndmask_b32_e32 v18, v17, v8, vcc_lo
; %bb.35:
	s_or_b32 exec_lo, exec_lo, s19
	s_delay_alu instid0(VALU_DEP_1)
	v_mov_b32_e32 v17, v18
.LBB179_36:
	s_or_b32 exec_lo, exec_lo, s18
	s_delay_alu instid0(SALU_CYCLE_1) | instskip(NEXT) | instid1(VALU_DEP_1)
	s_mov_b32 s18, exec_lo
	v_cmpx_o_f32_e32 v17, v17
	s_cbranch_execz .LBB179_40
; %bb.37:
	s_wait_loadcnt 0x6
	v_mov_b32_e32 v18, v9
	s_mov_b32 s19, exec_lo
	v_cmpx_o_f32_e32 v9, v9
; %bb.38:
	v_cmp_lt_f32_e32 vcc_lo, v17, v9
	v_cndmask_b32_e32 v18, v17, v9, vcc_lo
; %bb.39:
	s_or_b32 exec_lo, exec_lo, s19
	s_delay_alu instid0(VALU_DEP_1)
	v_mov_b32_e32 v17, v18
.LBB179_40:
	s_or_b32 exec_lo, exec_lo, s18
	s_delay_alu instid0(SALU_CYCLE_1) | instskip(NEXT) | instid1(VALU_DEP_1)
	s_mov_b32 s18, exec_lo
	v_cmpx_o_f32_e32 v17, v17
	s_cbranch_execz .LBB179_44
; %bb.41:
	s_wait_loadcnt 0x5
	v_mov_b32_e32 v18, v10
	s_mov_b32 s19, exec_lo
	v_cmpx_o_f32_e32 v10, v10
; %bb.42:
	v_cmp_lt_f32_e32 vcc_lo, v17, v10
	v_cndmask_b32_e32 v18, v17, v10, vcc_lo
; %bb.43:
	s_or_b32 exec_lo, exec_lo, s19
	s_delay_alu instid0(VALU_DEP_1)
	v_mov_b32_e32 v17, v18
.LBB179_44:
	s_or_b32 exec_lo, exec_lo, s18
	s_delay_alu instid0(SALU_CYCLE_1) | instskip(NEXT) | instid1(VALU_DEP_1)
	s_mov_b32 s18, exec_lo
	v_cmpx_o_f32_e32 v17, v17
	s_cbranch_execz .LBB179_48
; %bb.45:
	s_wait_loadcnt 0x4
	v_mov_b32_e32 v18, v11
	s_mov_b32 s19, exec_lo
	v_cmpx_o_f32_e32 v11, v11
; %bb.46:
	v_cmp_lt_f32_e32 vcc_lo, v17, v11
	v_cndmask_b32_e32 v18, v17, v11, vcc_lo
; %bb.47:
	s_or_b32 exec_lo, exec_lo, s19
	s_delay_alu instid0(VALU_DEP_1)
	v_mov_b32_e32 v17, v18
.LBB179_48:
	s_or_b32 exec_lo, exec_lo, s18
	s_delay_alu instid0(SALU_CYCLE_1) | instskip(NEXT) | instid1(VALU_DEP_1)
	s_mov_b32 s18, exec_lo
	v_cmpx_o_f32_e32 v17, v17
	s_cbranch_execz .LBB179_52
; %bb.49:
	s_wait_loadcnt 0x3
	v_mov_b32_e32 v18, v12
	s_mov_b32 s19, exec_lo
	v_cmpx_o_f32_e32 v12, v12
; %bb.50:
	v_cmp_lt_f32_e32 vcc_lo, v17, v12
	v_cndmask_b32_e32 v18, v17, v12, vcc_lo
; %bb.51:
	s_or_b32 exec_lo, exec_lo, s19
	s_delay_alu instid0(VALU_DEP_1)
	v_mov_b32_e32 v17, v18
.LBB179_52:
	s_or_b32 exec_lo, exec_lo, s18
	s_delay_alu instid0(SALU_CYCLE_1) | instskip(NEXT) | instid1(VALU_DEP_1)
	s_mov_b32 s18, exec_lo
	v_cmpx_o_f32_e32 v17, v17
	s_cbranch_execz .LBB179_56
; %bb.53:
	s_wait_loadcnt 0x2
	v_mov_b32_e32 v18, v13
	s_mov_b32 s19, exec_lo
	v_cmpx_o_f32_e32 v13, v13
; %bb.54:
	v_cmp_lt_f32_e32 vcc_lo, v17, v13
	v_cndmask_b32_e32 v18, v17, v13, vcc_lo
; %bb.55:
	s_or_b32 exec_lo, exec_lo, s19
	s_delay_alu instid0(VALU_DEP_1)
	v_mov_b32_e32 v17, v18
.LBB179_56:
	s_or_b32 exec_lo, exec_lo, s18
	s_delay_alu instid0(SALU_CYCLE_1) | instskip(NEXT) | instid1(VALU_DEP_1)
	s_mov_b32 s18, exec_lo
	v_cmpx_o_f32_e32 v17, v17
	s_cbranch_execz .LBB179_60
; %bb.57:
	s_wait_loadcnt 0x1
	v_mov_b32_e32 v18, v14
	s_mov_b32 s19, exec_lo
	v_cmpx_o_f32_e32 v14, v14
; %bb.58:
	v_cmp_lt_f32_e32 vcc_lo, v17, v14
	v_cndmask_b32_e32 v18, v17, v14, vcc_lo
; %bb.59:
	s_or_b32 exec_lo, exec_lo, s19
	s_delay_alu instid0(VALU_DEP_1)
	v_mov_b32_e32 v17, v18
.LBB179_60:
	s_or_b32 exec_lo, exec_lo, s18
	s_delay_alu instid0(SALU_CYCLE_1) | instskip(NEXT) | instid1(VALU_DEP_1)
	s_mov_b32 s18, exec_lo
	v_cmpx_o_f32_e32 v17, v17
	s_cbranch_execz .LBB179_64
; %bb.61:
	s_wait_loadcnt 0x0
	v_mov_b32_e32 v18, v15
	s_mov_b32 s19, exec_lo
	v_cmpx_o_f32_e32 v15, v15
; %bb.62:
	v_cmp_lt_f32_e32 vcc_lo, v17, v15
	v_cndmask_b32_e32 v18, v17, v15, vcc_lo
; %bb.63:
	s_or_b32 exec_lo, exec_lo, s19
	s_delay_alu instid0(VALU_DEP_1)
	v_mov_b32_e32 v17, v18
.LBB179_64:
	s_or_b32 exec_lo, exec_lo, s18
	s_add_nc_u64 s[18:19], s[12:13], 0x2000
	s_delay_alu instid0(SALU_CYCLE_1)
	v_cmp_ge_i64_e64 s18, s[18:19], s[10:11]
	s_and_b32 vcc_lo, exec_lo, s18
	s_cbranch_vccnz .LBB179_133
; %bb.65:
	s_wait_loadcnt 0xc
	v_dual_mov_b32 v3, 0 :: v_dual_lshlrev_b32 v2, 2, v0
	s_delay_alu instid0(VALU_DEP_1) | instskip(NEXT) | instid1(VALU_DEP_1)
	v_add_nc_u64_e32 v[2:3], s[14:15], v[2:3]
	v_add_nc_u64_e32 v[18:19], 0x4000, v[2:3]
	s_branch .LBB179_68
.LBB179_66:                             ;   in Loop: Header=BB179_68 Depth=1
	s_or_b32 exec_lo, exec_lo, s15
	s_delay_alu instid0(VALU_DEP_1)
	v_mov_b32_e32 v17, v20
.LBB179_67:                             ;   in Loop: Header=BB179_68 Depth=1
	s_or_b32 exec_lo, exec_lo, s14
	s_add_nc_u64 s[14:15], s[0:1], 0x2000
	v_add_nc_u64_e32 v[18:19], 0x4000, v[18:19]
	v_cmp_lt_i64_e64 s14, s[14:15], s[10:11]
	s_add_nc_u64 s[0:1], s[0:1], 0x1000
	s_and_b32 vcc_lo, exec_lo, s14
	s_cbranch_vccz .LBB179_133
.LBB179_68:                             ; =>This Inner Loop Header: Depth=1
	s_wait_loadcnt 0xf
	global_load_b32 v16, v[18:19], off
	s_wait_loadcnt 0xf
	global_load_b32 v1, v[18:19], off offset:1024
	s_wait_loadcnt 0xf
	global_load_b32 v2, v[18:19], off offset:2048
	;; [unrolled: 2-line block ×15, first 2 shown]
	s_mov_b32 s14, exec_lo
	s_wait_xcnt 0x0
	v_cmpx_o_f32_e32 v17, v17
	s_cbranch_execz .LBB179_72
; %bb.69:                               ;   in Loop: Header=BB179_68 Depth=1
	s_wait_loadcnt 0xf
	v_mov_b32_e32 v20, v16
	s_mov_b32 s15, exec_lo
	v_cmpx_o_f32_e32 v16, v16
; %bb.70:                               ;   in Loop: Header=BB179_68 Depth=1
	v_cmp_lt_f32_e32 vcc_lo, v17, v16
	v_cndmask_b32_e32 v20, v17, v16, vcc_lo
; %bb.71:                               ;   in Loop: Header=BB179_68 Depth=1
	s_or_b32 exec_lo, exec_lo, s15
	s_delay_alu instid0(VALU_DEP_1)
	v_mov_b32_e32 v17, v20
.LBB179_72:                             ;   in Loop: Header=BB179_68 Depth=1
	s_or_b32 exec_lo, exec_lo, s14
	s_delay_alu instid0(SALU_CYCLE_1) | instskip(NEXT) | instid1(VALU_DEP_1)
	s_mov_b32 s14, exec_lo
	v_cmpx_o_f32_e32 v17, v17
	s_cbranch_execz .LBB179_76
; %bb.73:                               ;   in Loop: Header=BB179_68 Depth=1
	s_wait_loadcnt 0xe
	v_mov_b32_e32 v20, v1
	s_mov_b32 s15, exec_lo
	v_cmpx_o_f32_e32 v1, v1
; %bb.74:                               ;   in Loop: Header=BB179_68 Depth=1
	v_cmp_lt_f32_e32 vcc_lo, v17, v1
	v_cndmask_b32_e32 v20, v17, v1, vcc_lo
; %bb.75:                               ;   in Loop: Header=BB179_68 Depth=1
	s_or_b32 exec_lo, exec_lo, s15
	s_delay_alu instid0(VALU_DEP_1)
	v_mov_b32_e32 v17, v20
.LBB179_76:                             ;   in Loop: Header=BB179_68 Depth=1
	s_or_b32 exec_lo, exec_lo, s14
	s_delay_alu instid0(SALU_CYCLE_1) | instskip(NEXT) | instid1(VALU_DEP_1)
	s_mov_b32 s14, exec_lo
	;; [unrolled: 18-line block ×7, first 2 shown]
	v_cmpx_o_f32_e32 v17, v17
	s_cbranch_execz .LBB179_100
; %bb.97:                               ;   in Loop: Header=BB179_68 Depth=1
	s_wait_loadcnt 0x8
	v_mov_b32_e32 v20, v7
	s_mov_b32 s15, exec_lo
	v_cmpx_o_f32_e32 v7, v7
; %bb.98:                               ;   in Loop: Header=BB179_68 Depth=1
	v_cmp_lt_f32_e32 vcc_lo, v17, v7
	v_cndmask_b32_e32 v20, v17, v7, vcc_lo
; %bb.99:                               ;   in Loop: Header=BB179_68 Depth=1
	s_or_b32 exec_lo, exec_lo, s15
	s_delay_alu instid0(VALU_DEP_1)
	v_mov_b32_e32 v17, v20
.LBB179_100:                            ;   in Loop: Header=BB179_68 Depth=1
	s_or_b32 exec_lo, exec_lo, s14
	s_delay_alu instid0(SALU_CYCLE_1) | instskip(NEXT) | instid1(VALU_DEP_1)
	s_mov_b32 s14, exec_lo
	v_cmpx_o_f32_e32 v17, v17
	s_cbranch_execz .LBB179_104
; %bb.101:                              ;   in Loop: Header=BB179_68 Depth=1
	s_wait_loadcnt 0x7
	v_mov_b32_e32 v20, v8
	s_mov_b32 s15, exec_lo
	v_cmpx_o_f32_e32 v8, v8
; %bb.102:                              ;   in Loop: Header=BB179_68 Depth=1
	v_cmp_lt_f32_e32 vcc_lo, v17, v8
	v_cndmask_b32_e32 v20, v17, v8, vcc_lo
; %bb.103:                              ;   in Loop: Header=BB179_68 Depth=1
	s_or_b32 exec_lo, exec_lo, s15
	s_delay_alu instid0(VALU_DEP_1)
	v_mov_b32_e32 v17, v20
.LBB179_104:                            ;   in Loop: Header=BB179_68 Depth=1
	s_or_b32 exec_lo, exec_lo, s14
	s_delay_alu instid0(SALU_CYCLE_1) | instskip(NEXT) | instid1(VALU_DEP_1)
	s_mov_b32 s14, exec_lo
	v_cmpx_o_f32_e32 v17, v17
	s_cbranch_execz .LBB179_108
; %bb.105:                              ;   in Loop: Header=BB179_68 Depth=1
	s_wait_loadcnt 0x6
	v_mov_b32_e32 v20, v9
	s_mov_b32 s15, exec_lo
	v_cmpx_o_f32_e32 v9, v9
; %bb.106:                              ;   in Loop: Header=BB179_68 Depth=1
	v_cmp_lt_f32_e32 vcc_lo, v17, v9
	v_cndmask_b32_e32 v20, v17, v9, vcc_lo
; %bb.107:                              ;   in Loop: Header=BB179_68 Depth=1
	s_or_b32 exec_lo, exec_lo, s15
	s_delay_alu instid0(VALU_DEP_1)
	v_mov_b32_e32 v17, v20
.LBB179_108:                            ;   in Loop: Header=BB179_68 Depth=1
	;; [unrolled: 18-line block ×7, first 2 shown]
	s_or_b32 exec_lo, exec_lo, s14
	s_delay_alu instid0(SALU_CYCLE_1) | instskip(NEXT) | instid1(VALU_DEP_1)
	s_mov_b32 s14, exec_lo
	v_cmpx_o_f32_e32 v17, v17
	s_cbranch_execz .LBB179_67
; %bb.129:                              ;   in Loop: Header=BB179_68 Depth=1
	s_wait_loadcnt 0x0
	v_mov_b32_e32 v20, v15
	s_mov_b32 s15, exec_lo
	v_cmpx_o_f32_e32 v15, v15
	s_cbranch_execz .LBB179_66
; %bb.130:                              ;   in Loop: Header=BB179_68 Depth=1
	v_cmp_lt_f32_e32 vcc_lo, v17, v15
	v_cndmask_b32_e32 v20, v17, v15, vcc_lo
	s_branch .LBB179_66
.LBB179_131:
	v_mov_b32_e32 v2, s17
	s_and_saveexec_b32 s0, s16
	s_cbranch_execnz .LBB179_371
	s_branch .LBB179_372
.LBB179_132:
                                        ; implicit-def: $vgpr1
	s_cbranch_execnz .LBB179_266
	s_branch .LBB179_364
.LBB179_133:
	s_sub_co_i32 s14, s10, s0
	s_lshl_b64 s[0:1], s[0:1], 2
	s_mov_b32 s15, exec_lo
	s_add_nc_u64 s[0:1], s[4:5], s[0:1]
	v_cmpx_gt_u32_e64 s14, v0
	s_cbranch_execz .LBB179_135
; %bb.134:
	s_wait_loadcnt 0xf
	global_load_b32 v16, v0, s[0:1] scale_offset
.LBB179_135:
	s_wait_xcnt 0x0
	s_or_b32 exec_lo, exec_lo, s15
	v_or_b32_e32 v32, 0x100, v0
	s_mov_b32 s15, exec_lo
	s_delay_alu instid0(VALU_DEP_1)
	v_cmpx_gt_u32_e64 s14, v32
	s_cbranch_execz .LBB179_137
; %bb.136:
	s_wait_loadcnt 0xe
	global_load_b32 v1, v0, s[0:1] offset:1024 scale_offset
.LBB179_137:
	s_wait_xcnt 0x0
	s_or_b32 exec_lo, exec_lo, s15
	v_or_b32_e32 v31, 0x200, v0
	s_mov_b32 s15, exec_lo
	s_delay_alu instid0(VALU_DEP_1)
	v_cmpx_gt_u32_e64 s14, v31
	s_cbranch_execz .LBB179_139
; %bb.138:
	s_wait_loadcnt 0xd
	global_load_b32 v2, v0, s[0:1] offset:2048 scale_offset
.LBB179_139:
	;; [unrolled: 11-line block ×15, first 2 shown]
	s_wait_xcnt 0x0
	s_or_b32 exec_lo, exec_lo, s15
	v_cmp_gt_u32_e32 vcc_lo, s14, v0
	v_cmp_o_f32_e64 s0, v17, v17
	s_and_b32 s1, vcc_lo, s0
	s_delay_alu instid0(SALU_CYCLE_1)
	s_and_saveexec_b32 s0, s1
	s_cbranch_execz .LBB179_169
; %bb.166:
	s_mov_b32 s1, exec_lo
	s_wait_loadcnt 0x0
	v_cmpx_o_f32_e32 v16, v16
; %bb.167:
	v_cmp_lt_f32_e32 vcc_lo, v17, v16
	v_cndmask_b32_e32 v16, v17, v16, vcc_lo
; %bb.168:
	s_or_b32 exec_lo, exec_lo, s1
	s_delay_alu instid0(VALU_DEP_1)
	v_mov_b32_e32 v17, v16
.LBB179_169:
	s_or_b32 exec_lo, exec_lo, s0
	v_cmp_gt_u32_e32 vcc_lo, s14, v32
	s_delay_alu instid0(VALU_DEP_2) | instskip(SKIP_1) | instid1(SALU_CYCLE_1)
	v_cmp_o_f32_e64 s0, v17, v17
	s_and_b32 s1, vcc_lo, s0
	s_and_saveexec_b32 s0, s1
	s_cbranch_execz .LBB179_173
; %bb.170:
	s_mov_b32 s1, exec_lo
	s_wait_loadcnt 0x0
	v_cmpx_o_f32_e32 v1, v1
; %bb.171:
	v_cmp_lt_f32_e32 vcc_lo, v17, v1
	v_cndmask_b32_e32 v1, v17, v1, vcc_lo
; %bb.172:
	s_or_b32 exec_lo, exec_lo, s1
	s_delay_alu instid0(VALU_DEP_1)
	v_mov_b32_e32 v17, v1
.LBB179_173:
	s_or_b32 exec_lo, exec_lo, s0
	v_cmp_gt_u32_e32 vcc_lo, s14, v31
	s_delay_alu instid0(VALU_DEP_2) | instskip(SKIP_1) | instid1(SALU_CYCLE_1)
	v_cmp_o_f32_e64 s0, v17, v17
	s_and_b32 s1, vcc_lo, s0
	;; [unrolled: 19-line block ×15, first 2 shown]
	s_and_saveexec_b32 s0, s1
	s_cbranch_execz .LBB179_229
; %bb.226:
	s_mov_b32 s1, exec_lo
	s_wait_loadcnt 0x0
	v_cmpx_o_f32_e32 v15, v15
; %bb.227:
	v_cmp_lt_f32_e32 vcc_lo, v17, v15
	v_cndmask_b32_e32 v15, v17, v15, vcc_lo
; %bb.228:
	s_or_b32 exec_lo, exec_lo, s1
	s_delay_alu instid0(VALU_DEP_1)
	v_mov_b32_e32 v17, v15
.LBB179_229:
	s_or_b32 exec_lo, exec_lo, s0
	s_wait_loadcnt 0x0
	s_delay_alu instid0(VALU_DEP_1) | instskip(SKIP_1) | instid1(VALU_DEP_1)
	v_mov_b32_dpp v1, v17 quad_perm:[1,0,3,2] row_mask:0xf bank_mask:0xf
	s_mov_b32 s0, exec_lo
	v_cmpx_o_f32_e32 v1, v1
	s_xor_b32 s0, exec_lo, s0
	s_cbranch_execz .LBB179_233
; %bb.230:
	s_mov_b32 s1, exec_lo
	v_cmpx_o_f32_e32 v17, v17
; %bb.231:
	v_cmp_gt_f32_e32 vcc_lo, v17, v1
	v_cndmask_b32_e32 v17, v1, v17, vcc_lo
; %bb.232:
	s_or_b32 exec_lo, exec_lo, s1
	s_delay_alu instid0(VALU_DEP_1)
	v_mov_b32_e32 v1, v17
.LBB179_233:
	s_or_b32 exec_lo, exec_lo, s0
	s_delay_alu instid0(VALU_DEP_1) | instskip(SKIP_1) | instid1(VALU_DEP_1)
	v_mov_b32_dpp v2, v1 quad_perm:[2,3,0,1] row_mask:0xf bank_mask:0xf
	s_mov_b32 s0, exec_lo
	v_cmpx_o_f32_e32 v2, v2
	s_cbranch_execz .LBB179_237
; %bb.234:
	s_mov_b32 s1, exec_lo
	v_cmpx_o_f32_e32 v1, v1
; %bb.235:
	v_cmp_gt_f32_e32 vcc_lo, v1, v2
	v_cndmask_b32_e32 v1, v2, v1, vcc_lo
; %bb.236:
	s_or_b32 exec_lo, exec_lo, s1
	s_delay_alu instid0(VALU_DEP_1)
	v_mov_b32_e32 v2, v1
.LBB179_237:
	s_or_b32 exec_lo, exec_lo, s0
	s_delay_alu instid0(VALU_DEP_1) | instskip(SKIP_1) | instid1(VALU_DEP_1)
	v_mov_b32_dpp v1, v2 row_ror:4 row_mask:0xf bank_mask:0xf
	s_mov_b32 s0, exec_lo
	v_cmpx_o_f32_e32 v1, v1
	s_cbranch_execz .LBB179_241
; %bb.238:
	s_mov_b32 s1, exec_lo
	v_cmpx_o_f32_e32 v2, v2
; %bb.239:
	v_cmp_gt_f32_e32 vcc_lo, v2, v1
	v_cndmask_b32_e32 v2, v1, v2, vcc_lo
; %bb.240:
	s_or_b32 exec_lo, exec_lo, s1
	s_delay_alu instid0(VALU_DEP_1)
	v_mov_b32_e32 v1, v2
.LBB179_241:
	s_or_b32 exec_lo, exec_lo, s0
	s_delay_alu instid0(VALU_DEP_1) | instskip(SKIP_1) | instid1(VALU_DEP_1)
	v_mov_b32_dpp v2, v1 row_ror:8 row_mask:0xf bank_mask:0xf
	s_mov_b32 s0, exec_lo
	v_cmpx_o_f32_e32 v2, v2
	s_cbranch_execz .LBB179_245
; %bb.242:
	s_mov_b32 s1, exec_lo
	v_cmpx_o_f32_e32 v1, v1
; %bb.243:
	v_cmp_gt_f32_e32 vcc_lo, v1, v2
	v_cndmask_b32_e32 v1, v2, v1, vcc_lo
; %bb.244:
	s_or_b32 exec_lo, exec_lo, s1
	s_delay_alu instid0(VALU_DEP_1)
	v_mov_b32_e32 v2, v1
.LBB179_245:
	s_or_b32 exec_lo, exec_lo, s0
	ds_swizzle_b32 v1, v2 offset:swizzle(BROADCAST,32,15)
	s_mov_b32 s0, exec_lo
	s_wait_dscnt 0x0
	v_cmpx_o_f32_e32 v1, v1
	s_cbranch_execz .LBB179_249
; %bb.246:
	s_mov_b32 s1, exec_lo
	v_cmpx_o_f32_e32 v2, v2
; %bb.247:
	v_cmp_gt_f32_e32 vcc_lo, v2, v1
	v_cndmask_b32_e32 v2, v1, v2, vcc_lo
; %bb.248:
	s_or_b32 exec_lo, exec_lo, s1
	s_delay_alu instid0(VALU_DEP_1)
	v_mov_b32_e32 v1, v2
.LBB179_249:
	s_or_b32 exec_lo, exec_lo, s0
	v_mov_b32_e32 v2, 0
	s_mov_b32 s0, exec_lo
	ds_bpermute_b32 v1, v2, v1 offset:124
	v_mbcnt_lo_u32_b32 v2, -1, 0
	s_delay_alu instid0(VALU_DEP_1)
	v_cmpx_eq_u32_e32 0, v2
	s_cbranch_execz .LBB179_251
; %bb.250:
	v_lshrrev_b32_e32 v3, 3, v0
	s_delay_alu instid0(VALU_DEP_1)
	v_and_b32_e32 v3, 28, v3
	s_wait_dscnt 0x0
	ds_store_b32 v3, v1
.LBB179_251:
	s_or_b32 exec_lo, exec_lo, s0
	s_delay_alu instid0(SALU_CYCLE_1)
	s_mov_b32 s0, exec_lo
	s_wait_dscnt 0x0
	s_barrier_signal -1
	s_barrier_wait -1
	v_cmpx_gt_u32_e32 32, v0
	s_cbranch_execz .LBB179_265
; %bb.252:
	v_and_b32_e32 v3, 7, v2
	s_mov_b32 s1, exec_lo
	s_delay_alu instid0(VALU_DEP_1) | instskip(SKIP_1) | instid1(VALU_DEP_1)
	v_cmp_ne_u32_e32 vcc_lo, 7, v3
	v_add_co_ci_u32_e64 v4, null, 0, v2, vcc_lo
	v_dual_lshlrev_b32 v4, 2, v4 :: v_dual_lshlrev_b32 v1, 2, v3
	ds_load_b32 v1, v1
	s_wait_dscnt 0x0
	ds_bpermute_b32 v4, v4, v1
	v_cmpx_o_f32_e32 v1, v1
	s_cbranch_execz .LBB179_256
; %bb.253:
	s_mov_b32 s14, exec_lo
	s_wait_dscnt 0x0
	v_cmpx_o_f32_e32 v4, v4
; %bb.254:
	v_cmp_lt_f32_e32 vcc_lo, v1, v4
	v_cndmask_b32_e32 v4, v1, v4, vcc_lo
; %bb.255:
	s_or_b32 exec_lo, exec_lo, s14
	s_delay_alu instid0(VALU_DEP_1)
	v_mov_b32_e32 v1, v4
.LBB179_256:
	s_or_b32 exec_lo, exec_lo, s1
	v_cmp_gt_u32_e32 vcc_lo, 6, v3
	s_mov_b32 s1, exec_lo
	v_cndmask_b32_e64 v3, 0, 2, vcc_lo
	s_delay_alu instid0(VALU_DEP_1)
	v_add_lshl_u32 v3, v3, v2, 2
	v_lshlrev_b32_e32 v2, 2, v2
	ds_bpermute_b32 v3, v3, v1
	v_cmpx_o_f32_e32 v1, v1
	s_cbranch_execz .LBB179_260
; %bb.257:
	s_mov_b32 s14, exec_lo
	s_wait_dscnt 0x0
	v_cmpx_o_f32_e32 v3, v3
; %bb.258:
	v_cmp_lt_f32_e32 vcc_lo, v1, v3
	v_cndmask_b32_e32 v3, v1, v3, vcc_lo
; %bb.259:
	s_or_b32 exec_lo, exec_lo, s14
	s_delay_alu instid0(VALU_DEP_1)
	v_mov_b32_e32 v1, v3
.LBB179_260:
	s_or_b32 exec_lo, exec_lo, s1
	v_or_b32_e32 v2, 16, v2
	s_mov_b32 s1, exec_lo
	ds_bpermute_b32 v2, v2, v1
	v_cmpx_o_f32_e32 v1, v1
	s_cbranch_execz .LBB179_264
; %bb.261:
	s_mov_b32 s14, exec_lo
	s_wait_dscnt 0x0
	v_cmpx_o_f32_e32 v2, v2
; %bb.262:
	v_cmp_lt_f32_e32 vcc_lo, v1, v2
	v_cndmask_b32_e32 v2, v1, v2, vcc_lo
; %bb.263:
	s_or_b32 exec_lo, exec_lo, s14
	s_delay_alu instid0(VALU_DEP_1)
	v_mov_b32_e32 v1, v2
.LBB179_264:
	s_or_b32 exec_lo, exec_lo, s1
.LBB179_265:
	s_delay_alu instid0(SALU_CYCLE_1)
	s_or_b32 exec_lo, exec_lo, s0
	s_branch .LBB179_364
.LBB179_266:
	s_sub_co_i32 s1, s10, s12
	s_mov_b32 s0, exec_lo
                                        ; implicit-def: $vgpr6
	v_cmpx_gt_u32_e64 s1, v0
	s_cbranch_execz .LBB179_276
; %bb.267:
	v_mov_b32_e32 v1, 0
	s_wait_dscnt 0x0
	s_delay_alu instid0(VALU_DEP_1) | instskip(NEXT) | instid1(VALU_DEP_1)
	v_add_nc_u64_e32 v[2:3], s[12:13], v[0:1]
	v_lshl_add_u64 v[4:5], v[2:3], 2, s[4:5]
	v_add_nc_u64_e32 v[2:3], 0x100, v[2:3]
	s_mov_b32 s4, exec_lo
	global_load_b32 v6, v[4:5], off
	s_wait_xcnt 0x0
	v_cmpx_gt_i64_e64 s[10:11], v[2:3]
	s_cbranch_execz .LBB179_275
; %bb.268:
	v_add_nc_u64_e32 v[4:5], 0x400, v[4:5]
	s_mov_b32 s5, 0
	s_branch .LBB179_271
.LBB179_269:                            ;   in Loop: Header=BB179_271 Depth=1
	s_or_b32 exec_lo, exec_lo, s13
	s_delay_alu instid0(VALU_DEP_1)
	v_mov_b32_e32 v6, v1
.LBB179_270:                            ;   in Loop: Header=BB179_271 Depth=1
	s_or_b32 exec_lo, exec_lo, s12
	v_add_nc_u64_e32 v[2:3], 0x100, v[2:3]
	v_add_nc_u64_e32 v[4:5], 0x400, v[4:5]
	s_delay_alu instid0(VALU_DEP_2) | instskip(SKIP_1) | instid1(SALU_CYCLE_1)
	v_cmp_le_i64_e32 vcc_lo, s[10:11], v[2:3]
	s_or_b32 s5, vcc_lo, s5
	s_and_not1_b32 exec_lo, exec_lo, s5
	s_cbranch_execz .LBB179_274
.LBB179_271:                            ; =>This Inner Loop Header: Depth=1
	s_mov_b32 s12, exec_lo
	s_wait_loadcnt 0x0
	v_cmpx_o_f32_e32 v6, v6
	s_cbranch_execz .LBB179_270
; %bb.272:                              ;   in Loop: Header=BB179_271 Depth=1
	global_load_b32 v1, v[4:5], off
	s_mov_b32 s13, exec_lo
	s_wait_loadcnt 0x0
	v_cmpx_o_f32_e32 v1, v1
	s_cbranch_execz .LBB179_269
; %bb.273:                              ;   in Loop: Header=BB179_271 Depth=1
	v_cmp_lt_f32_e32 vcc_lo, v6, v1
	v_cndmask_b32_e32 v1, v6, v1, vcc_lo
	s_branch .LBB179_269
.LBB179_274:
	s_or_b32 exec_lo, exec_lo, s5
.LBB179_275:
	s_delay_alu instid0(SALU_CYCLE_1)
	s_or_b32 exec_lo, exec_lo, s4
.LBB179_276:
	s_delay_alu instid0(SALU_CYCLE_1)
	s_or_b32 exec_lo, exec_lo, s0
	s_wait_dscnt 0x1
	v_lshrrev_b32_e32 v3, 5, v0
	s_wait_dscnt 0x0
	v_mbcnt_lo_u32_b32 v2, -1, 0
	s_cmp_lt_u32 s1, 0x100
	s_mov_b32 s0, -1
                                        ; implicit-def: $vgpr1
	s_cbranch_scc0 .LBB179_326
; %bb.277:
	s_delay_alu instid0(VALU_DEP_1) | instskip(SKIP_1) | instid1(VALU_DEP_1)
	v_cmp_ne_u32_e32 vcc_lo, 31, v2
	v_add_co_ci_u32_e64 v1, null, 0, v2, vcc_lo
	v_lshlrev_b32_e32 v1, 2, v1
	s_wait_loadcnt 0x0
	ds_bpermute_b32 v5, v1, v6
	v_and_b32_e32 v1, 0xe0, v0
	s_delay_alu instid0(VALU_DEP_1) | instskip(SKIP_1) | instid1(VALU_DEP_1)
	v_sub_nc_u32_e64 v4, s1, v1 clamp
	v_add_nc_u32_e32 v1, 1, v2
	v_cmp_lt_u32_e32 vcc_lo, v1, v4
	v_mov_b32_e32 v1, v6
	s_and_saveexec_b32 s0, vcc_lo
	s_cbranch_execz .LBB179_283
; %bb.278:
	v_mov_b32_e32 v1, v6
	s_mov_b32 s4, exec_lo
	v_cmpx_o_f32_e32 v6, v6
	s_cbranch_execz .LBB179_282
; %bb.279:
	s_mov_b32 s5, exec_lo
	s_wait_dscnt 0x0
	v_cmpx_o_f32_e32 v5, v5
; %bb.280:
	v_cmp_lt_f32_e32 vcc_lo, v6, v5
	v_cndmask_b32_e32 v5, v6, v5, vcc_lo
; %bb.281:
	s_or_b32 exec_lo, exec_lo, s5
	s_delay_alu instid0(VALU_DEP_1)
	v_mov_b32_e32 v1, v5
.LBB179_282:
	s_or_b32 exec_lo, exec_lo, s4
.LBB179_283:
	s_delay_alu instid0(SALU_CYCLE_1)
	s_or_b32 exec_lo, exec_lo, s0
	v_cmp_gt_u32_e32 vcc_lo, 30, v2
	v_add_nc_u32_e32 v7, 2, v2
	s_mov_b32 s0, exec_lo
	s_wait_dscnt 0x0
	v_cndmask_b32_e64 v5, 0, 2, vcc_lo
	s_delay_alu instid0(VALU_DEP_1)
	v_add_lshl_u32 v5, v5, v2, 2
	ds_bpermute_b32 v5, v5, v1
	v_cmpx_lt_u32_e64 v7, v4
	s_cbranch_execz .LBB179_289
; %bb.284:
	s_mov_b32 s4, exec_lo
	v_cmpx_o_f32_e32 v1, v1
	s_cbranch_execz .LBB179_288
; %bb.285:
	s_mov_b32 s5, exec_lo
	s_wait_dscnt 0x0
	v_cmpx_o_f32_e32 v5, v5
; %bb.286:
	v_cmp_lt_f32_e32 vcc_lo, v1, v5
	v_cndmask_b32_e32 v5, v1, v5, vcc_lo
; %bb.287:
	s_or_b32 exec_lo, exec_lo, s5
	s_delay_alu instid0(VALU_DEP_1)
	v_mov_b32_e32 v1, v5
.LBB179_288:
	s_or_b32 exec_lo, exec_lo, s4
.LBB179_289:
	s_delay_alu instid0(SALU_CYCLE_1)
	s_or_b32 exec_lo, exec_lo, s0
	v_cmp_gt_u32_e32 vcc_lo, 28, v2
	v_add_nc_u32_e32 v7, 4, v2
	s_mov_b32 s0, exec_lo
	s_wait_dscnt 0x0
	v_cndmask_b32_e64 v5, 0, 4, vcc_lo
	s_delay_alu instid0(VALU_DEP_1)
	v_add_lshl_u32 v5, v5, v2, 2
	ds_bpermute_b32 v5, v5, v1
	v_cmpx_lt_u32_e64 v7, v4
	s_cbranch_execz .LBB179_295
; %bb.290:
	s_mov_b32 s4, exec_lo
	v_cmpx_o_f32_e32 v1, v1
	s_cbranch_execz .LBB179_294
; %bb.291:
	s_mov_b32 s5, exec_lo
	s_wait_dscnt 0x0
	v_cmpx_o_f32_e32 v5, v5
; %bb.292:
	v_cmp_lt_f32_e32 vcc_lo, v1, v5
	v_cndmask_b32_e32 v5, v1, v5, vcc_lo
; %bb.293:
	s_or_b32 exec_lo, exec_lo, s5
	s_delay_alu instid0(VALU_DEP_1)
	v_mov_b32_e32 v1, v5
.LBB179_294:
	s_or_b32 exec_lo, exec_lo, s4
.LBB179_295:
	;; [unrolled: 30-line block ×3, first 2 shown]
	s_delay_alu instid0(SALU_CYCLE_1) | instskip(SKIP_3) | instid1(VALU_DEP_2)
	s_or_b32 exec_lo, exec_lo, s0
	s_wait_dscnt 0x0
	v_dual_lshlrev_b32 v5, 2, v2 :: v_dual_add_nc_u32 v8, 16, v2
	v_cmp_o_f32_e64 s0, v1, v1
	v_or_b32_e32 v7, 64, v5
	s_delay_alu instid0(VALU_DEP_3) | instskip(SKIP_2) | instid1(SALU_CYCLE_1)
	v_cmp_lt_u32_e32 vcc_lo, v8, v4
	ds_bpermute_b32 v7, v7, v1
	s_and_b32 s4, vcc_lo, s0
	s_and_saveexec_b32 s0, s4
	s_cbranch_execz .LBB179_305
; %bb.302:
	s_mov_b32 s4, exec_lo
	s_wait_dscnt 0x0
	v_cmpx_o_f32_e32 v7, v7
; %bb.303:
	v_cmp_lt_f32_e32 vcc_lo, v1, v7
	v_cndmask_b32_e32 v7, v1, v7, vcc_lo
; %bb.304:
	s_or_b32 exec_lo, exec_lo, s4
	s_delay_alu instid0(VALU_DEP_1)
	v_mov_b32_e32 v1, v7
.LBB179_305:
	s_or_b32 exec_lo, exec_lo, s0
	s_delay_alu instid0(SALU_CYCLE_1)
	s_mov_b32 s0, exec_lo
	v_cmpx_eq_u32_e32 0, v2
; %bb.306:
	v_lshlrev_b32_e32 v4, 2, v3
	ds_store_b32 v4, v1
; %bb.307:
	s_or_b32 exec_lo, exec_lo, s0
	s_delay_alu instid0(SALU_CYCLE_1)
	s_mov_b32 s4, exec_lo
	s_wait_dscnt 0x0
	s_barrier_signal -1
	s_barrier_wait -1
	v_cmpx_gt_u32_e32 8, v0
	s_cbranch_execz .LBB179_325
; %bb.308:
	ds_load_b32 v1, v5
	v_and_b32_e32 v4, 7, v2
	s_add_co_i32 s1, s1, 31
	s_delay_alu instid0(SALU_CYCLE_1) | instskip(SKIP_1) | instid1(VALU_DEP_1)
	s_lshr_b32 s0, s1, 5
	s_mov_b32 s1, exec_lo
	v_cmp_ne_u32_e32 vcc_lo, 7, v4
	v_add_co_ci_u32_e64 v7, null, 0, v2, vcc_lo
	s_delay_alu instid0(VALU_DEP_1)
	v_dual_lshlrev_b32 v7, 2, v7 :: v_dual_add_nc_u32 v8, 1, v4
	s_wait_dscnt 0x0
	ds_bpermute_b32 v7, v7, v1
	v_cmpx_gt_u32_e64 s0, v8
	s_cbranch_execz .LBB179_314
; %bb.309:
	s_mov_b32 s5, exec_lo
	v_cmpx_o_f32_e32 v1, v1
	s_cbranch_execz .LBB179_313
; %bb.310:
	s_mov_b32 s10, exec_lo
	s_wait_dscnt 0x0
	v_cmpx_o_f32_e32 v7, v7
; %bb.311:
	v_cmp_lt_f32_e32 vcc_lo, v1, v7
	v_cndmask_b32_e32 v7, v1, v7, vcc_lo
; %bb.312:
	s_or_b32 exec_lo, exec_lo, s10
	s_delay_alu instid0(VALU_DEP_1)
	v_mov_b32_e32 v1, v7
.LBB179_313:
	s_or_b32 exec_lo, exec_lo, s5
.LBB179_314:
	s_delay_alu instid0(SALU_CYCLE_1)
	s_or_b32 exec_lo, exec_lo, s1
	v_cmp_gt_u32_e32 vcc_lo, 6, v4
	v_add_nc_u32_e32 v8, 2, v4
	s_mov_b32 s1, exec_lo
	s_wait_dscnt 0x0
	v_cndmask_b32_e64 v7, 0, 2, vcc_lo
	s_delay_alu instid0(VALU_DEP_1)
	v_add_lshl_u32 v7, v7, v2, 2
	ds_bpermute_b32 v7, v7, v1
	v_cmpx_gt_u32_e64 s0, v8
	s_cbranch_execz .LBB179_320
; %bb.315:
	s_mov_b32 s5, exec_lo
	v_cmpx_o_f32_e32 v1, v1
	s_cbranch_execz .LBB179_319
; %bb.316:
	s_mov_b32 s10, exec_lo
	s_wait_dscnt 0x0
	v_cmpx_o_f32_e32 v7, v7
; %bb.317:
	v_cmp_lt_f32_e32 vcc_lo, v1, v7
	v_cndmask_b32_e32 v7, v1, v7, vcc_lo
; %bb.318:
	s_or_b32 exec_lo, exec_lo, s10
	s_delay_alu instid0(VALU_DEP_1)
	v_mov_b32_e32 v1, v7
.LBB179_319:
	s_or_b32 exec_lo, exec_lo, s5
.LBB179_320:
	s_delay_alu instid0(SALU_CYCLE_1)
	s_or_b32 exec_lo, exec_lo, s1
	v_dual_add_nc_u32 v4, 4, v4 :: v_dual_bitop2_b32 v5, 16, v5 bitop3:0x54
	ds_bpermute_b32 v5, v5, v1
	v_cmp_gt_u32_e32 vcc_lo, s0, v4
	v_cmp_o_f32_e64 s0, v1, v1
	s_and_b32 s1, vcc_lo, s0
	s_delay_alu instid0(SALU_CYCLE_1)
	s_and_saveexec_b32 s0, s1
	s_cbranch_execz .LBB179_324
; %bb.321:
	s_mov_b32 s1, exec_lo
	s_wait_dscnt 0x0
	v_cmpx_o_f32_e32 v5, v5
; %bb.322:
	v_cmp_lt_f32_e32 vcc_lo, v1, v5
	v_cndmask_b32_e32 v5, v1, v5, vcc_lo
; %bb.323:
	s_or_b32 exec_lo, exec_lo, s1
	s_delay_alu instid0(VALU_DEP_1)
	v_mov_b32_e32 v1, v5
.LBB179_324:
	s_or_b32 exec_lo, exec_lo, s0
.LBB179_325:
	s_delay_alu instid0(SALU_CYCLE_1)
	s_or_b32 exec_lo, exec_lo, s4
	s_mov_b32 s0, 0
.LBB179_326:
	s_delay_alu instid0(SALU_CYCLE_1)
	s_and_b32 vcc_lo, exec_lo, s0
	s_cbranch_vccz .LBB179_364
; %bb.327:
	s_wait_loadcnt 0x0
	v_mov_b32_dpp v1, v6 quad_perm:[1,0,3,2] row_mask:0xf bank_mask:0xf
	s_mov_b32 s0, exec_lo
	s_delay_alu instid0(VALU_DEP_1)
	v_cmpx_o_f32_e32 v1, v1
	s_cbranch_execz .LBB179_331
; %bb.328:
	s_mov_b32 s1, exec_lo
	v_cmpx_o_f32_e32 v6, v6
; %bb.329:
	v_cmp_gt_f32_e32 vcc_lo, v6, v1
	v_cndmask_b32_e32 v6, v1, v6, vcc_lo
; %bb.330:
	s_or_b32 exec_lo, exec_lo, s1
	s_delay_alu instid0(VALU_DEP_1)
	v_mov_b32_e32 v1, v6
.LBB179_331:
	s_or_b32 exec_lo, exec_lo, s0
	s_delay_alu instid0(VALU_DEP_1) | instskip(SKIP_1) | instid1(VALU_DEP_1)
	v_mov_b32_dpp v4, v1 quad_perm:[2,3,0,1] row_mask:0xf bank_mask:0xf
	s_mov_b32 s0, exec_lo
	v_cmpx_o_f32_e32 v4, v4
	s_cbranch_execz .LBB179_335
; %bb.332:
	s_mov_b32 s1, exec_lo
	v_cmpx_o_f32_e32 v1, v1
; %bb.333:
	v_cmp_gt_f32_e32 vcc_lo, v1, v4
	v_cndmask_b32_e32 v1, v4, v1, vcc_lo
; %bb.334:
	s_or_b32 exec_lo, exec_lo, s1
	s_delay_alu instid0(VALU_DEP_1)
	v_mov_b32_e32 v4, v1
.LBB179_335:
	s_or_b32 exec_lo, exec_lo, s0
	s_delay_alu instid0(VALU_DEP_1) | instskip(SKIP_1) | instid1(VALU_DEP_1)
	v_mov_b32_dpp v1, v4 row_ror:4 row_mask:0xf bank_mask:0xf
	s_mov_b32 s0, exec_lo
	v_cmpx_o_f32_e32 v1, v1
	s_cbranch_execz .LBB179_339
; %bb.336:
	s_mov_b32 s1, exec_lo
	v_cmpx_o_f32_e32 v4, v4
; %bb.337:
	v_cmp_gt_f32_e32 vcc_lo, v4, v1
	v_cndmask_b32_e32 v4, v1, v4, vcc_lo
; %bb.338:
	s_or_b32 exec_lo, exec_lo, s1
	s_delay_alu instid0(VALU_DEP_1)
	v_mov_b32_e32 v1, v4
.LBB179_339:
	s_or_b32 exec_lo, exec_lo, s0
	s_delay_alu instid0(VALU_DEP_1) | instskip(SKIP_1) | instid1(VALU_DEP_1)
	v_mov_b32_dpp v4, v1 row_ror:8 row_mask:0xf bank_mask:0xf
	s_mov_b32 s0, exec_lo
	v_cmpx_o_f32_e32 v4, v4
	s_cbranch_execz .LBB179_343
; %bb.340:
	s_mov_b32 s1, exec_lo
	v_cmpx_o_f32_e32 v1, v1
; %bb.341:
	v_cmp_gt_f32_e32 vcc_lo, v1, v4
	v_cndmask_b32_e32 v1, v4, v1, vcc_lo
; %bb.342:
	s_or_b32 exec_lo, exec_lo, s1
	s_delay_alu instid0(VALU_DEP_1)
	v_mov_b32_e32 v4, v1
.LBB179_343:
	s_or_b32 exec_lo, exec_lo, s0
	ds_swizzle_b32 v1, v4 offset:swizzle(BROADCAST,32,15)
	s_mov_b32 s0, exec_lo
	s_wait_dscnt 0x0
	v_cmpx_o_f32_e32 v1, v1
	s_cbranch_execz .LBB179_347
; %bb.344:
	s_mov_b32 s1, exec_lo
	v_cmpx_o_f32_e32 v4, v4
; %bb.345:
	v_cmp_gt_f32_e32 vcc_lo, v4, v1
	v_cndmask_b32_e32 v4, v1, v4, vcc_lo
; %bb.346:
	s_or_b32 exec_lo, exec_lo, s1
	s_delay_alu instid0(VALU_DEP_1)
	v_mov_b32_e32 v1, v4
.LBB179_347:
	s_or_b32 exec_lo, exec_lo, s0
	v_mov_b32_e32 v4, 0
	s_mov_b32 s0, exec_lo
	ds_bpermute_b32 v1, v4, v1 offset:124
	v_cmpx_eq_u32_e32 0, v2
	s_cbranch_execz .LBB179_349
; %bb.348:
	v_lshlrev_b32_e32 v3, 2, v3
	s_wait_dscnt 0x0
	ds_store_b32 v3, v1
.LBB179_349:
	s_or_b32 exec_lo, exec_lo, s0
	s_delay_alu instid0(SALU_CYCLE_1)
	s_mov_b32 s0, exec_lo
	s_wait_dscnt 0x0
	s_barrier_signal -1
	s_barrier_wait -1
	v_cmpx_gt_u32_e32 32, v0
	s_cbranch_execz .LBB179_363
; %bb.350:
	v_and_b32_e32 v3, 7, v2
	s_mov_b32 s1, exec_lo
	s_delay_alu instid0(VALU_DEP_1) | instskip(SKIP_1) | instid1(VALU_DEP_1)
	v_cmp_ne_u32_e32 vcc_lo, 7, v3
	v_add_co_ci_u32_e64 v4, null, 0, v2, vcc_lo
	v_dual_lshlrev_b32 v4, 2, v4 :: v_dual_lshlrev_b32 v1, 2, v3
	ds_load_b32 v1, v1
	s_wait_dscnt 0x0
	ds_bpermute_b32 v4, v4, v1
	v_cmpx_o_f32_e32 v1, v1
	s_cbranch_execz .LBB179_354
; %bb.351:
	s_mov_b32 s4, exec_lo
	s_wait_dscnt 0x0
	v_cmpx_o_f32_e32 v4, v4
; %bb.352:
	v_cmp_lt_f32_e32 vcc_lo, v1, v4
	v_cndmask_b32_e32 v4, v1, v4, vcc_lo
; %bb.353:
	s_or_b32 exec_lo, exec_lo, s4
	s_delay_alu instid0(VALU_DEP_1)
	v_mov_b32_e32 v1, v4
.LBB179_354:
	s_or_b32 exec_lo, exec_lo, s1
	v_cmp_gt_u32_e32 vcc_lo, 6, v3
	s_mov_b32 s1, exec_lo
	v_cndmask_b32_e64 v3, 0, 2, vcc_lo
	s_delay_alu instid0(VALU_DEP_1)
	v_add_lshl_u32 v3, v3, v2, 2
	v_lshlrev_b32_e32 v2, 2, v2
	ds_bpermute_b32 v3, v3, v1
	v_cmpx_o_f32_e32 v1, v1
	s_cbranch_execz .LBB179_358
; %bb.355:
	s_mov_b32 s4, exec_lo
	s_wait_dscnt 0x0
	v_cmpx_o_f32_e32 v3, v3
; %bb.356:
	v_cmp_lt_f32_e32 vcc_lo, v1, v3
	v_cndmask_b32_e32 v3, v1, v3, vcc_lo
; %bb.357:
	s_or_b32 exec_lo, exec_lo, s4
	s_delay_alu instid0(VALU_DEP_1)
	v_mov_b32_e32 v1, v3
.LBB179_358:
	s_or_b32 exec_lo, exec_lo, s1
	v_or_b32_e32 v2, 16, v2
	s_mov_b32 s1, exec_lo
	ds_bpermute_b32 v2, v2, v1
	v_cmpx_o_f32_e32 v1, v1
	s_cbranch_execz .LBB179_362
; %bb.359:
	s_mov_b32 s4, exec_lo
	s_wait_dscnt 0x0
	v_cmpx_o_f32_e32 v2, v2
; %bb.360:
	v_cmp_lt_f32_e32 vcc_lo, v1, v2
	v_cndmask_b32_e32 v2, v1, v2, vcc_lo
; %bb.361:
	s_or_b32 exec_lo, exec_lo, s4
	s_delay_alu instid0(VALU_DEP_1)
	v_mov_b32_e32 v1, v2
.LBB179_362:
	s_or_b32 exec_lo, exec_lo, s1
.LBB179_363:
	s_delay_alu instid0(SALU_CYCLE_1)
	s_or_b32 exec_lo, exec_lo, s0
.LBB179_364:
	s_delay_alu instid0(SALU_CYCLE_1)
	s_mov_b32 s0, exec_lo
                                        ; implicit-def: $vgpr2
	v_cmpx_eq_u32_e32 0, v0
	s_cbranch_execz .LBB179_370
; %bb.365:
	s_wait_dscnt 0x0
	v_mov_b32_e32 v2, s17
	s_cmp_u_f32 s17, s17
	s_cbranch_scc1 .LBB179_369
; %bb.366:
	s_mov_b32 s1, exec_lo
	v_cmpx_o_f32_e32 v1, v1
; %bb.367:
	v_cmp_lt_f32_e32 vcc_lo, s17, v1
	v_cndmask_b32_e32 v1, s17, v1, vcc_lo
; %bb.368:
	s_or_b32 exec_lo, exec_lo, s1
	s_delay_alu instid0(VALU_DEP_1)
	v_mov_b32_e32 v2, v1
.LBB179_369:
	s_or_b32 s16, s16, exec_lo
.LBB179_370:
	s_or_b32 exec_lo, exec_lo, s0
	s_and_saveexec_b32 s0, s16
	s_cbranch_execz .LBB179_372
.LBB179_371:
	s_lshl_b64 s[0:1], s[8:9], 2
	v_mov_b32_e32 v0, 0
	s_add_nc_u64 s[0:1], s[6:7], s[0:1]
	s_lshl_b64 s[2:3], s[2:3], 2
	s_delay_alu instid0(SALU_CYCLE_1)
	s_add_nc_u64 s[0:1], s[0:1], s[2:3]
	s_wait_dscnt 0x0
	global_store_b32 v0, v2, s[0:1]
.LBB179_372:
	s_endpgm
	.section	.rodata,"a",@progbits
	.p2align	6, 0x0
	.amdhsa_kernel _ZN7rocprim17ROCPRIM_400000_NS6detail17trampoline_kernelINS0_14default_configENS1_32segmented_reduce_config_selectorIfEEZNS1_21segmented_reduce_implIS3_PKfPfPKlfN6hipcub16HIPCUB_304000_NS6detail27convert_result_type_wrapperIS8_S9_N2at6native12_GLOBAL__N_19CustomMaxEEEEE10hipError_tPvRmT0_T1_jT2_SQ_T4_T3_P12ihipStream_tbEUlT_E_NS1_11comp_targetILNS1_3genE0ELNS1_11target_archE4294967295ELNS1_3gpuE0ELNS1_3repE0EEENS1_30default_config_static_selectorELNS0_4arch9wavefront6targetE0EEEvSP_
		.amdhsa_group_segment_fixed_size 32
		.amdhsa_private_segment_fixed_size 0
		.amdhsa_kernarg_size 48
		.amdhsa_user_sgpr_count 2
		.amdhsa_user_sgpr_dispatch_ptr 0
		.amdhsa_user_sgpr_queue_ptr 0
		.amdhsa_user_sgpr_kernarg_segment_ptr 1
		.amdhsa_user_sgpr_dispatch_id 0
		.amdhsa_user_sgpr_kernarg_preload_length 0
		.amdhsa_user_sgpr_kernarg_preload_offset 0
		.amdhsa_user_sgpr_private_segment_size 0
		.amdhsa_wavefront_size32 1
		.amdhsa_uses_dynamic_stack 0
		.amdhsa_enable_private_segment 0
		.amdhsa_system_sgpr_workgroup_id_x 1
		.amdhsa_system_sgpr_workgroup_id_y 0
		.amdhsa_system_sgpr_workgroup_id_z 0
		.amdhsa_system_sgpr_workgroup_info 0
		.amdhsa_system_vgpr_workitem_id 0
		.amdhsa_next_free_vgpr 33
		.amdhsa_next_free_sgpr 20
		.amdhsa_named_barrier_count 0
		.amdhsa_reserve_vcc 1
		.amdhsa_float_round_mode_32 0
		.amdhsa_float_round_mode_16_64 0
		.amdhsa_float_denorm_mode_32 3
		.amdhsa_float_denorm_mode_16_64 3
		.amdhsa_fp16_overflow 0
		.amdhsa_memory_ordered 1
		.amdhsa_forward_progress 1
		.amdhsa_inst_pref_size 55
		.amdhsa_round_robin_scheduling 0
		.amdhsa_exception_fp_ieee_invalid_op 0
		.amdhsa_exception_fp_denorm_src 0
		.amdhsa_exception_fp_ieee_div_zero 0
		.amdhsa_exception_fp_ieee_overflow 0
		.amdhsa_exception_fp_ieee_underflow 0
		.amdhsa_exception_fp_ieee_inexact 0
		.amdhsa_exception_int_div_zero 0
	.end_amdhsa_kernel
	.section	.text._ZN7rocprim17ROCPRIM_400000_NS6detail17trampoline_kernelINS0_14default_configENS1_32segmented_reduce_config_selectorIfEEZNS1_21segmented_reduce_implIS3_PKfPfPKlfN6hipcub16HIPCUB_304000_NS6detail27convert_result_type_wrapperIS8_S9_N2at6native12_GLOBAL__N_19CustomMaxEEEEE10hipError_tPvRmT0_T1_jT2_SQ_T4_T3_P12ihipStream_tbEUlT_E_NS1_11comp_targetILNS1_3genE0ELNS1_11target_archE4294967295ELNS1_3gpuE0ELNS1_3repE0EEENS1_30default_config_static_selectorELNS0_4arch9wavefront6targetE0EEEvSP_,"axG",@progbits,_ZN7rocprim17ROCPRIM_400000_NS6detail17trampoline_kernelINS0_14default_configENS1_32segmented_reduce_config_selectorIfEEZNS1_21segmented_reduce_implIS3_PKfPfPKlfN6hipcub16HIPCUB_304000_NS6detail27convert_result_type_wrapperIS8_S9_N2at6native12_GLOBAL__N_19CustomMaxEEEEE10hipError_tPvRmT0_T1_jT2_SQ_T4_T3_P12ihipStream_tbEUlT_E_NS1_11comp_targetILNS1_3genE0ELNS1_11target_archE4294967295ELNS1_3gpuE0ELNS1_3repE0EEENS1_30default_config_static_selectorELNS0_4arch9wavefront6targetE0EEEvSP_,comdat
.Lfunc_end179:
	.size	_ZN7rocprim17ROCPRIM_400000_NS6detail17trampoline_kernelINS0_14default_configENS1_32segmented_reduce_config_selectorIfEEZNS1_21segmented_reduce_implIS3_PKfPfPKlfN6hipcub16HIPCUB_304000_NS6detail27convert_result_type_wrapperIS8_S9_N2at6native12_GLOBAL__N_19CustomMaxEEEEE10hipError_tPvRmT0_T1_jT2_SQ_T4_T3_P12ihipStream_tbEUlT_E_NS1_11comp_targetILNS1_3genE0ELNS1_11target_archE4294967295ELNS1_3gpuE0ELNS1_3repE0EEENS1_30default_config_static_selectorELNS0_4arch9wavefront6targetE0EEEvSP_, .Lfunc_end179-_ZN7rocprim17ROCPRIM_400000_NS6detail17trampoline_kernelINS0_14default_configENS1_32segmented_reduce_config_selectorIfEEZNS1_21segmented_reduce_implIS3_PKfPfPKlfN6hipcub16HIPCUB_304000_NS6detail27convert_result_type_wrapperIS8_S9_N2at6native12_GLOBAL__N_19CustomMaxEEEEE10hipError_tPvRmT0_T1_jT2_SQ_T4_T3_P12ihipStream_tbEUlT_E_NS1_11comp_targetILNS1_3genE0ELNS1_11target_archE4294967295ELNS1_3gpuE0ELNS1_3repE0EEENS1_30default_config_static_selectorELNS0_4arch9wavefront6targetE0EEEvSP_
                                        ; -- End function
	.set _ZN7rocprim17ROCPRIM_400000_NS6detail17trampoline_kernelINS0_14default_configENS1_32segmented_reduce_config_selectorIfEEZNS1_21segmented_reduce_implIS3_PKfPfPKlfN6hipcub16HIPCUB_304000_NS6detail27convert_result_type_wrapperIS8_S9_N2at6native12_GLOBAL__N_19CustomMaxEEEEE10hipError_tPvRmT0_T1_jT2_SQ_T4_T3_P12ihipStream_tbEUlT_E_NS1_11comp_targetILNS1_3genE0ELNS1_11target_archE4294967295ELNS1_3gpuE0ELNS1_3repE0EEENS1_30default_config_static_selectorELNS0_4arch9wavefront6targetE0EEEvSP_.num_vgpr, 33
	.set _ZN7rocprim17ROCPRIM_400000_NS6detail17trampoline_kernelINS0_14default_configENS1_32segmented_reduce_config_selectorIfEEZNS1_21segmented_reduce_implIS3_PKfPfPKlfN6hipcub16HIPCUB_304000_NS6detail27convert_result_type_wrapperIS8_S9_N2at6native12_GLOBAL__N_19CustomMaxEEEEE10hipError_tPvRmT0_T1_jT2_SQ_T4_T3_P12ihipStream_tbEUlT_E_NS1_11comp_targetILNS1_3genE0ELNS1_11target_archE4294967295ELNS1_3gpuE0ELNS1_3repE0EEENS1_30default_config_static_selectorELNS0_4arch9wavefront6targetE0EEEvSP_.num_agpr, 0
	.set _ZN7rocprim17ROCPRIM_400000_NS6detail17trampoline_kernelINS0_14default_configENS1_32segmented_reduce_config_selectorIfEEZNS1_21segmented_reduce_implIS3_PKfPfPKlfN6hipcub16HIPCUB_304000_NS6detail27convert_result_type_wrapperIS8_S9_N2at6native12_GLOBAL__N_19CustomMaxEEEEE10hipError_tPvRmT0_T1_jT2_SQ_T4_T3_P12ihipStream_tbEUlT_E_NS1_11comp_targetILNS1_3genE0ELNS1_11target_archE4294967295ELNS1_3gpuE0ELNS1_3repE0EEENS1_30default_config_static_selectorELNS0_4arch9wavefront6targetE0EEEvSP_.numbered_sgpr, 20
	.set _ZN7rocprim17ROCPRIM_400000_NS6detail17trampoline_kernelINS0_14default_configENS1_32segmented_reduce_config_selectorIfEEZNS1_21segmented_reduce_implIS3_PKfPfPKlfN6hipcub16HIPCUB_304000_NS6detail27convert_result_type_wrapperIS8_S9_N2at6native12_GLOBAL__N_19CustomMaxEEEEE10hipError_tPvRmT0_T1_jT2_SQ_T4_T3_P12ihipStream_tbEUlT_E_NS1_11comp_targetILNS1_3genE0ELNS1_11target_archE4294967295ELNS1_3gpuE0ELNS1_3repE0EEENS1_30default_config_static_selectorELNS0_4arch9wavefront6targetE0EEEvSP_.num_named_barrier, 0
	.set _ZN7rocprim17ROCPRIM_400000_NS6detail17trampoline_kernelINS0_14default_configENS1_32segmented_reduce_config_selectorIfEEZNS1_21segmented_reduce_implIS3_PKfPfPKlfN6hipcub16HIPCUB_304000_NS6detail27convert_result_type_wrapperIS8_S9_N2at6native12_GLOBAL__N_19CustomMaxEEEEE10hipError_tPvRmT0_T1_jT2_SQ_T4_T3_P12ihipStream_tbEUlT_E_NS1_11comp_targetILNS1_3genE0ELNS1_11target_archE4294967295ELNS1_3gpuE0ELNS1_3repE0EEENS1_30default_config_static_selectorELNS0_4arch9wavefront6targetE0EEEvSP_.private_seg_size, 0
	.set _ZN7rocprim17ROCPRIM_400000_NS6detail17trampoline_kernelINS0_14default_configENS1_32segmented_reduce_config_selectorIfEEZNS1_21segmented_reduce_implIS3_PKfPfPKlfN6hipcub16HIPCUB_304000_NS6detail27convert_result_type_wrapperIS8_S9_N2at6native12_GLOBAL__N_19CustomMaxEEEEE10hipError_tPvRmT0_T1_jT2_SQ_T4_T3_P12ihipStream_tbEUlT_E_NS1_11comp_targetILNS1_3genE0ELNS1_11target_archE4294967295ELNS1_3gpuE0ELNS1_3repE0EEENS1_30default_config_static_selectorELNS0_4arch9wavefront6targetE0EEEvSP_.uses_vcc, 1
	.set _ZN7rocprim17ROCPRIM_400000_NS6detail17trampoline_kernelINS0_14default_configENS1_32segmented_reduce_config_selectorIfEEZNS1_21segmented_reduce_implIS3_PKfPfPKlfN6hipcub16HIPCUB_304000_NS6detail27convert_result_type_wrapperIS8_S9_N2at6native12_GLOBAL__N_19CustomMaxEEEEE10hipError_tPvRmT0_T1_jT2_SQ_T4_T3_P12ihipStream_tbEUlT_E_NS1_11comp_targetILNS1_3genE0ELNS1_11target_archE4294967295ELNS1_3gpuE0ELNS1_3repE0EEENS1_30default_config_static_selectorELNS0_4arch9wavefront6targetE0EEEvSP_.uses_flat_scratch, 0
	.set _ZN7rocprim17ROCPRIM_400000_NS6detail17trampoline_kernelINS0_14default_configENS1_32segmented_reduce_config_selectorIfEEZNS1_21segmented_reduce_implIS3_PKfPfPKlfN6hipcub16HIPCUB_304000_NS6detail27convert_result_type_wrapperIS8_S9_N2at6native12_GLOBAL__N_19CustomMaxEEEEE10hipError_tPvRmT0_T1_jT2_SQ_T4_T3_P12ihipStream_tbEUlT_E_NS1_11comp_targetILNS1_3genE0ELNS1_11target_archE4294967295ELNS1_3gpuE0ELNS1_3repE0EEENS1_30default_config_static_selectorELNS0_4arch9wavefront6targetE0EEEvSP_.has_dyn_sized_stack, 0
	.set _ZN7rocprim17ROCPRIM_400000_NS6detail17trampoline_kernelINS0_14default_configENS1_32segmented_reduce_config_selectorIfEEZNS1_21segmented_reduce_implIS3_PKfPfPKlfN6hipcub16HIPCUB_304000_NS6detail27convert_result_type_wrapperIS8_S9_N2at6native12_GLOBAL__N_19CustomMaxEEEEE10hipError_tPvRmT0_T1_jT2_SQ_T4_T3_P12ihipStream_tbEUlT_E_NS1_11comp_targetILNS1_3genE0ELNS1_11target_archE4294967295ELNS1_3gpuE0ELNS1_3repE0EEENS1_30default_config_static_selectorELNS0_4arch9wavefront6targetE0EEEvSP_.has_recursion, 0
	.set _ZN7rocprim17ROCPRIM_400000_NS6detail17trampoline_kernelINS0_14default_configENS1_32segmented_reduce_config_selectorIfEEZNS1_21segmented_reduce_implIS3_PKfPfPKlfN6hipcub16HIPCUB_304000_NS6detail27convert_result_type_wrapperIS8_S9_N2at6native12_GLOBAL__N_19CustomMaxEEEEE10hipError_tPvRmT0_T1_jT2_SQ_T4_T3_P12ihipStream_tbEUlT_E_NS1_11comp_targetILNS1_3genE0ELNS1_11target_archE4294967295ELNS1_3gpuE0ELNS1_3repE0EEENS1_30default_config_static_selectorELNS0_4arch9wavefront6targetE0EEEvSP_.has_indirect_call, 0
	.section	.AMDGPU.csdata,"",@progbits
; Kernel info:
; codeLenInByte = 6972
; TotalNumSgprs: 22
; NumVgprs: 33
; ScratchSize: 0
; MemoryBound: 0
; FloatMode: 240
; IeeeMode: 1
; LDSByteSize: 32 bytes/workgroup (compile time only)
; SGPRBlocks: 0
; VGPRBlocks: 2
; NumSGPRsForWavesPerEU: 22
; NumVGPRsForWavesPerEU: 33
; NamedBarCnt: 0
; Occupancy: 16
; WaveLimiterHint : 1
; COMPUTE_PGM_RSRC2:SCRATCH_EN: 0
; COMPUTE_PGM_RSRC2:USER_SGPR: 2
; COMPUTE_PGM_RSRC2:TRAP_HANDLER: 0
; COMPUTE_PGM_RSRC2:TGID_X_EN: 1
; COMPUTE_PGM_RSRC2:TGID_Y_EN: 0
; COMPUTE_PGM_RSRC2:TGID_Z_EN: 0
; COMPUTE_PGM_RSRC2:TIDIG_COMP_CNT: 0
	.section	.text._ZN7rocprim17ROCPRIM_400000_NS6detail17trampoline_kernelINS0_14default_configENS1_32segmented_reduce_config_selectorIfEEZNS1_21segmented_reduce_implIS3_PKfPfPKlfN6hipcub16HIPCUB_304000_NS6detail27convert_result_type_wrapperIS8_S9_N2at6native12_GLOBAL__N_19CustomMaxEEEEE10hipError_tPvRmT0_T1_jT2_SQ_T4_T3_P12ihipStream_tbEUlT_E_NS1_11comp_targetILNS1_3genE5ELNS1_11target_archE942ELNS1_3gpuE9ELNS1_3repE0EEENS1_30default_config_static_selectorELNS0_4arch9wavefront6targetE0EEEvSP_,"axG",@progbits,_ZN7rocprim17ROCPRIM_400000_NS6detail17trampoline_kernelINS0_14default_configENS1_32segmented_reduce_config_selectorIfEEZNS1_21segmented_reduce_implIS3_PKfPfPKlfN6hipcub16HIPCUB_304000_NS6detail27convert_result_type_wrapperIS8_S9_N2at6native12_GLOBAL__N_19CustomMaxEEEEE10hipError_tPvRmT0_T1_jT2_SQ_T4_T3_P12ihipStream_tbEUlT_E_NS1_11comp_targetILNS1_3genE5ELNS1_11target_archE942ELNS1_3gpuE9ELNS1_3repE0EEENS1_30default_config_static_selectorELNS0_4arch9wavefront6targetE0EEEvSP_,comdat
	.globl	_ZN7rocprim17ROCPRIM_400000_NS6detail17trampoline_kernelINS0_14default_configENS1_32segmented_reduce_config_selectorIfEEZNS1_21segmented_reduce_implIS3_PKfPfPKlfN6hipcub16HIPCUB_304000_NS6detail27convert_result_type_wrapperIS8_S9_N2at6native12_GLOBAL__N_19CustomMaxEEEEE10hipError_tPvRmT0_T1_jT2_SQ_T4_T3_P12ihipStream_tbEUlT_E_NS1_11comp_targetILNS1_3genE5ELNS1_11target_archE942ELNS1_3gpuE9ELNS1_3repE0EEENS1_30default_config_static_selectorELNS0_4arch9wavefront6targetE0EEEvSP_ ; -- Begin function _ZN7rocprim17ROCPRIM_400000_NS6detail17trampoline_kernelINS0_14default_configENS1_32segmented_reduce_config_selectorIfEEZNS1_21segmented_reduce_implIS3_PKfPfPKlfN6hipcub16HIPCUB_304000_NS6detail27convert_result_type_wrapperIS8_S9_N2at6native12_GLOBAL__N_19CustomMaxEEEEE10hipError_tPvRmT0_T1_jT2_SQ_T4_T3_P12ihipStream_tbEUlT_E_NS1_11comp_targetILNS1_3genE5ELNS1_11target_archE942ELNS1_3gpuE9ELNS1_3repE0EEENS1_30default_config_static_selectorELNS0_4arch9wavefront6targetE0EEEvSP_
	.p2align	8
	.type	_ZN7rocprim17ROCPRIM_400000_NS6detail17trampoline_kernelINS0_14default_configENS1_32segmented_reduce_config_selectorIfEEZNS1_21segmented_reduce_implIS3_PKfPfPKlfN6hipcub16HIPCUB_304000_NS6detail27convert_result_type_wrapperIS8_S9_N2at6native12_GLOBAL__N_19CustomMaxEEEEE10hipError_tPvRmT0_T1_jT2_SQ_T4_T3_P12ihipStream_tbEUlT_E_NS1_11comp_targetILNS1_3genE5ELNS1_11target_archE942ELNS1_3gpuE9ELNS1_3repE0EEENS1_30default_config_static_selectorELNS0_4arch9wavefront6targetE0EEEvSP_,@function
_ZN7rocprim17ROCPRIM_400000_NS6detail17trampoline_kernelINS0_14default_configENS1_32segmented_reduce_config_selectorIfEEZNS1_21segmented_reduce_implIS3_PKfPfPKlfN6hipcub16HIPCUB_304000_NS6detail27convert_result_type_wrapperIS8_S9_N2at6native12_GLOBAL__N_19CustomMaxEEEEE10hipError_tPvRmT0_T1_jT2_SQ_T4_T3_P12ihipStream_tbEUlT_E_NS1_11comp_targetILNS1_3genE5ELNS1_11target_archE942ELNS1_3gpuE9ELNS1_3repE0EEENS1_30default_config_static_selectorELNS0_4arch9wavefront6targetE0EEEvSP_: ; @_ZN7rocprim17ROCPRIM_400000_NS6detail17trampoline_kernelINS0_14default_configENS1_32segmented_reduce_config_selectorIfEEZNS1_21segmented_reduce_implIS3_PKfPfPKlfN6hipcub16HIPCUB_304000_NS6detail27convert_result_type_wrapperIS8_S9_N2at6native12_GLOBAL__N_19CustomMaxEEEEE10hipError_tPvRmT0_T1_jT2_SQ_T4_T3_P12ihipStream_tbEUlT_E_NS1_11comp_targetILNS1_3genE5ELNS1_11target_archE942ELNS1_3gpuE9ELNS1_3repE0EEENS1_30default_config_static_selectorELNS0_4arch9wavefront6targetE0EEEvSP_
; %bb.0:
	.section	.rodata,"a",@progbits
	.p2align	6, 0x0
	.amdhsa_kernel _ZN7rocprim17ROCPRIM_400000_NS6detail17trampoline_kernelINS0_14default_configENS1_32segmented_reduce_config_selectorIfEEZNS1_21segmented_reduce_implIS3_PKfPfPKlfN6hipcub16HIPCUB_304000_NS6detail27convert_result_type_wrapperIS8_S9_N2at6native12_GLOBAL__N_19CustomMaxEEEEE10hipError_tPvRmT0_T1_jT2_SQ_T4_T3_P12ihipStream_tbEUlT_E_NS1_11comp_targetILNS1_3genE5ELNS1_11target_archE942ELNS1_3gpuE9ELNS1_3repE0EEENS1_30default_config_static_selectorELNS0_4arch9wavefront6targetE0EEEvSP_
		.amdhsa_group_segment_fixed_size 0
		.amdhsa_private_segment_fixed_size 0
		.amdhsa_kernarg_size 48
		.amdhsa_user_sgpr_count 2
		.amdhsa_user_sgpr_dispatch_ptr 0
		.amdhsa_user_sgpr_queue_ptr 0
		.amdhsa_user_sgpr_kernarg_segment_ptr 1
		.amdhsa_user_sgpr_dispatch_id 0
		.amdhsa_user_sgpr_kernarg_preload_length 0
		.amdhsa_user_sgpr_kernarg_preload_offset 0
		.amdhsa_user_sgpr_private_segment_size 0
		.amdhsa_wavefront_size32 1
		.amdhsa_uses_dynamic_stack 0
		.amdhsa_enable_private_segment 0
		.amdhsa_system_sgpr_workgroup_id_x 1
		.amdhsa_system_sgpr_workgroup_id_y 0
		.amdhsa_system_sgpr_workgroup_id_z 0
		.amdhsa_system_sgpr_workgroup_info 0
		.amdhsa_system_vgpr_workitem_id 0
		.amdhsa_next_free_vgpr 1
		.amdhsa_next_free_sgpr 1
		.amdhsa_named_barrier_count 0
		.amdhsa_reserve_vcc 0
		.amdhsa_float_round_mode_32 0
		.amdhsa_float_round_mode_16_64 0
		.amdhsa_float_denorm_mode_32 3
		.amdhsa_float_denorm_mode_16_64 3
		.amdhsa_fp16_overflow 0
		.amdhsa_memory_ordered 1
		.amdhsa_forward_progress 1
		.amdhsa_inst_pref_size 0
		.amdhsa_round_robin_scheduling 0
		.amdhsa_exception_fp_ieee_invalid_op 0
		.amdhsa_exception_fp_denorm_src 0
		.amdhsa_exception_fp_ieee_div_zero 0
		.amdhsa_exception_fp_ieee_overflow 0
		.amdhsa_exception_fp_ieee_underflow 0
		.amdhsa_exception_fp_ieee_inexact 0
		.amdhsa_exception_int_div_zero 0
	.end_amdhsa_kernel
	.section	.text._ZN7rocprim17ROCPRIM_400000_NS6detail17trampoline_kernelINS0_14default_configENS1_32segmented_reduce_config_selectorIfEEZNS1_21segmented_reduce_implIS3_PKfPfPKlfN6hipcub16HIPCUB_304000_NS6detail27convert_result_type_wrapperIS8_S9_N2at6native12_GLOBAL__N_19CustomMaxEEEEE10hipError_tPvRmT0_T1_jT2_SQ_T4_T3_P12ihipStream_tbEUlT_E_NS1_11comp_targetILNS1_3genE5ELNS1_11target_archE942ELNS1_3gpuE9ELNS1_3repE0EEENS1_30default_config_static_selectorELNS0_4arch9wavefront6targetE0EEEvSP_,"axG",@progbits,_ZN7rocprim17ROCPRIM_400000_NS6detail17trampoline_kernelINS0_14default_configENS1_32segmented_reduce_config_selectorIfEEZNS1_21segmented_reduce_implIS3_PKfPfPKlfN6hipcub16HIPCUB_304000_NS6detail27convert_result_type_wrapperIS8_S9_N2at6native12_GLOBAL__N_19CustomMaxEEEEE10hipError_tPvRmT0_T1_jT2_SQ_T4_T3_P12ihipStream_tbEUlT_E_NS1_11comp_targetILNS1_3genE5ELNS1_11target_archE942ELNS1_3gpuE9ELNS1_3repE0EEENS1_30default_config_static_selectorELNS0_4arch9wavefront6targetE0EEEvSP_,comdat
.Lfunc_end180:
	.size	_ZN7rocprim17ROCPRIM_400000_NS6detail17trampoline_kernelINS0_14default_configENS1_32segmented_reduce_config_selectorIfEEZNS1_21segmented_reduce_implIS3_PKfPfPKlfN6hipcub16HIPCUB_304000_NS6detail27convert_result_type_wrapperIS8_S9_N2at6native12_GLOBAL__N_19CustomMaxEEEEE10hipError_tPvRmT0_T1_jT2_SQ_T4_T3_P12ihipStream_tbEUlT_E_NS1_11comp_targetILNS1_3genE5ELNS1_11target_archE942ELNS1_3gpuE9ELNS1_3repE0EEENS1_30default_config_static_selectorELNS0_4arch9wavefront6targetE0EEEvSP_, .Lfunc_end180-_ZN7rocprim17ROCPRIM_400000_NS6detail17trampoline_kernelINS0_14default_configENS1_32segmented_reduce_config_selectorIfEEZNS1_21segmented_reduce_implIS3_PKfPfPKlfN6hipcub16HIPCUB_304000_NS6detail27convert_result_type_wrapperIS8_S9_N2at6native12_GLOBAL__N_19CustomMaxEEEEE10hipError_tPvRmT0_T1_jT2_SQ_T4_T3_P12ihipStream_tbEUlT_E_NS1_11comp_targetILNS1_3genE5ELNS1_11target_archE942ELNS1_3gpuE9ELNS1_3repE0EEENS1_30default_config_static_selectorELNS0_4arch9wavefront6targetE0EEEvSP_
                                        ; -- End function
	.set _ZN7rocprim17ROCPRIM_400000_NS6detail17trampoline_kernelINS0_14default_configENS1_32segmented_reduce_config_selectorIfEEZNS1_21segmented_reduce_implIS3_PKfPfPKlfN6hipcub16HIPCUB_304000_NS6detail27convert_result_type_wrapperIS8_S9_N2at6native12_GLOBAL__N_19CustomMaxEEEEE10hipError_tPvRmT0_T1_jT2_SQ_T4_T3_P12ihipStream_tbEUlT_E_NS1_11comp_targetILNS1_3genE5ELNS1_11target_archE942ELNS1_3gpuE9ELNS1_3repE0EEENS1_30default_config_static_selectorELNS0_4arch9wavefront6targetE0EEEvSP_.num_vgpr, 0
	.set _ZN7rocprim17ROCPRIM_400000_NS6detail17trampoline_kernelINS0_14default_configENS1_32segmented_reduce_config_selectorIfEEZNS1_21segmented_reduce_implIS3_PKfPfPKlfN6hipcub16HIPCUB_304000_NS6detail27convert_result_type_wrapperIS8_S9_N2at6native12_GLOBAL__N_19CustomMaxEEEEE10hipError_tPvRmT0_T1_jT2_SQ_T4_T3_P12ihipStream_tbEUlT_E_NS1_11comp_targetILNS1_3genE5ELNS1_11target_archE942ELNS1_3gpuE9ELNS1_3repE0EEENS1_30default_config_static_selectorELNS0_4arch9wavefront6targetE0EEEvSP_.num_agpr, 0
	.set _ZN7rocprim17ROCPRIM_400000_NS6detail17trampoline_kernelINS0_14default_configENS1_32segmented_reduce_config_selectorIfEEZNS1_21segmented_reduce_implIS3_PKfPfPKlfN6hipcub16HIPCUB_304000_NS6detail27convert_result_type_wrapperIS8_S9_N2at6native12_GLOBAL__N_19CustomMaxEEEEE10hipError_tPvRmT0_T1_jT2_SQ_T4_T3_P12ihipStream_tbEUlT_E_NS1_11comp_targetILNS1_3genE5ELNS1_11target_archE942ELNS1_3gpuE9ELNS1_3repE0EEENS1_30default_config_static_selectorELNS0_4arch9wavefront6targetE0EEEvSP_.numbered_sgpr, 0
	.set _ZN7rocprim17ROCPRIM_400000_NS6detail17trampoline_kernelINS0_14default_configENS1_32segmented_reduce_config_selectorIfEEZNS1_21segmented_reduce_implIS3_PKfPfPKlfN6hipcub16HIPCUB_304000_NS6detail27convert_result_type_wrapperIS8_S9_N2at6native12_GLOBAL__N_19CustomMaxEEEEE10hipError_tPvRmT0_T1_jT2_SQ_T4_T3_P12ihipStream_tbEUlT_E_NS1_11comp_targetILNS1_3genE5ELNS1_11target_archE942ELNS1_3gpuE9ELNS1_3repE0EEENS1_30default_config_static_selectorELNS0_4arch9wavefront6targetE0EEEvSP_.num_named_barrier, 0
	.set _ZN7rocprim17ROCPRIM_400000_NS6detail17trampoline_kernelINS0_14default_configENS1_32segmented_reduce_config_selectorIfEEZNS1_21segmented_reduce_implIS3_PKfPfPKlfN6hipcub16HIPCUB_304000_NS6detail27convert_result_type_wrapperIS8_S9_N2at6native12_GLOBAL__N_19CustomMaxEEEEE10hipError_tPvRmT0_T1_jT2_SQ_T4_T3_P12ihipStream_tbEUlT_E_NS1_11comp_targetILNS1_3genE5ELNS1_11target_archE942ELNS1_3gpuE9ELNS1_3repE0EEENS1_30default_config_static_selectorELNS0_4arch9wavefront6targetE0EEEvSP_.private_seg_size, 0
	.set _ZN7rocprim17ROCPRIM_400000_NS6detail17trampoline_kernelINS0_14default_configENS1_32segmented_reduce_config_selectorIfEEZNS1_21segmented_reduce_implIS3_PKfPfPKlfN6hipcub16HIPCUB_304000_NS6detail27convert_result_type_wrapperIS8_S9_N2at6native12_GLOBAL__N_19CustomMaxEEEEE10hipError_tPvRmT0_T1_jT2_SQ_T4_T3_P12ihipStream_tbEUlT_E_NS1_11comp_targetILNS1_3genE5ELNS1_11target_archE942ELNS1_3gpuE9ELNS1_3repE0EEENS1_30default_config_static_selectorELNS0_4arch9wavefront6targetE0EEEvSP_.uses_vcc, 0
	.set _ZN7rocprim17ROCPRIM_400000_NS6detail17trampoline_kernelINS0_14default_configENS1_32segmented_reduce_config_selectorIfEEZNS1_21segmented_reduce_implIS3_PKfPfPKlfN6hipcub16HIPCUB_304000_NS6detail27convert_result_type_wrapperIS8_S9_N2at6native12_GLOBAL__N_19CustomMaxEEEEE10hipError_tPvRmT0_T1_jT2_SQ_T4_T3_P12ihipStream_tbEUlT_E_NS1_11comp_targetILNS1_3genE5ELNS1_11target_archE942ELNS1_3gpuE9ELNS1_3repE0EEENS1_30default_config_static_selectorELNS0_4arch9wavefront6targetE0EEEvSP_.uses_flat_scratch, 0
	.set _ZN7rocprim17ROCPRIM_400000_NS6detail17trampoline_kernelINS0_14default_configENS1_32segmented_reduce_config_selectorIfEEZNS1_21segmented_reduce_implIS3_PKfPfPKlfN6hipcub16HIPCUB_304000_NS6detail27convert_result_type_wrapperIS8_S9_N2at6native12_GLOBAL__N_19CustomMaxEEEEE10hipError_tPvRmT0_T1_jT2_SQ_T4_T3_P12ihipStream_tbEUlT_E_NS1_11comp_targetILNS1_3genE5ELNS1_11target_archE942ELNS1_3gpuE9ELNS1_3repE0EEENS1_30default_config_static_selectorELNS0_4arch9wavefront6targetE0EEEvSP_.has_dyn_sized_stack, 0
	.set _ZN7rocprim17ROCPRIM_400000_NS6detail17trampoline_kernelINS0_14default_configENS1_32segmented_reduce_config_selectorIfEEZNS1_21segmented_reduce_implIS3_PKfPfPKlfN6hipcub16HIPCUB_304000_NS6detail27convert_result_type_wrapperIS8_S9_N2at6native12_GLOBAL__N_19CustomMaxEEEEE10hipError_tPvRmT0_T1_jT2_SQ_T4_T3_P12ihipStream_tbEUlT_E_NS1_11comp_targetILNS1_3genE5ELNS1_11target_archE942ELNS1_3gpuE9ELNS1_3repE0EEENS1_30default_config_static_selectorELNS0_4arch9wavefront6targetE0EEEvSP_.has_recursion, 0
	.set _ZN7rocprim17ROCPRIM_400000_NS6detail17trampoline_kernelINS0_14default_configENS1_32segmented_reduce_config_selectorIfEEZNS1_21segmented_reduce_implIS3_PKfPfPKlfN6hipcub16HIPCUB_304000_NS6detail27convert_result_type_wrapperIS8_S9_N2at6native12_GLOBAL__N_19CustomMaxEEEEE10hipError_tPvRmT0_T1_jT2_SQ_T4_T3_P12ihipStream_tbEUlT_E_NS1_11comp_targetILNS1_3genE5ELNS1_11target_archE942ELNS1_3gpuE9ELNS1_3repE0EEENS1_30default_config_static_selectorELNS0_4arch9wavefront6targetE0EEEvSP_.has_indirect_call, 0
	.section	.AMDGPU.csdata,"",@progbits
; Kernel info:
; codeLenInByte = 0
; TotalNumSgprs: 0
; NumVgprs: 0
; ScratchSize: 0
; MemoryBound: 0
; FloatMode: 240
; IeeeMode: 1
; LDSByteSize: 0 bytes/workgroup (compile time only)
; SGPRBlocks: 0
; VGPRBlocks: 0
; NumSGPRsForWavesPerEU: 1
; NumVGPRsForWavesPerEU: 1
; NamedBarCnt: 0
; Occupancy: 16
; WaveLimiterHint : 0
; COMPUTE_PGM_RSRC2:SCRATCH_EN: 0
; COMPUTE_PGM_RSRC2:USER_SGPR: 2
; COMPUTE_PGM_RSRC2:TRAP_HANDLER: 0
; COMPUTE_PGM_RSRC2:TGID_X_EN: 1
; COMPUTE_PGM_RSRC2:TGID_Y_EN: 0
; COMPUTE_PGM_RSRC2:TGID_Z_EN: 0
; COMPUTE_PGM_RSRC2:TIDIG_COMP_CNT: 0
	.section	.text._ZN7rocprim17ROCPRIM_400000_NS6detail17trampoline_kernelINS0_14default_configENS1_32segmented_reduce_config_selectorIfEEZNS1_21segmented_reduce_implIS3_PKfPfPKlfN6hipcub16HIPCUB_304000_NS6detail27convert_result_type_wrapperIS8_S9_N2at6native12_GLOBAL__N_19CustomMaxEEEEE10hipError_tPvRmT0_T1_jT2_SQ_T4_T3_P12ihipStream_tbEUlT_E_NS1_11comp_targetILNS1_3genE10ELNS1_11target_archE1201ELNS1_3gpuE5ELNS1_3repE0EEENS1_30default_config_static_selectorELNS0_4arch9wavefront6targetE0EEEvSP_,"axG",@progbits,_ZN7rocprim17ROCPRIM_400000_NS6detail17trampoline_kernelINS0_14default_configENS1_32segmented_reduce_config_selectorIfEEZNS1_21segmented_reduce_implIS3_PKfPfPKlfN6hipcub16HIPCUB_304000_NS6detail27convert_result_type_wrapperIS8_S9_N2at6native12_GLOBAL__N_19CustomMaxEEEEE10hipError_tPvRmT0_T1_jT2_SQ_T4_T3_P12ihipStream_tbEUlT_E_NS1_11comp_targetILNS1_3genE10ELNS1_11target_archE1201ELNS1_3gpuE5ELNS1_3repE0EEENS1_30default_config_static_selectorELNS0_4arch9wavefront6targetE0EEEvSP_,comdat
	.globl	_ZN7rocprim17ROCPRIM_400000_NS6detail17trampoline_kernelINS0_14default_configENS1_32segmented_reduce_config_selectorIfEEZNS1_21segmented_reduce_implIS3_PKfPfPKlfN6hipcub16HIPCUB_304000_NS6detail27convert_result_type_wrapperIS8_S9_N2at6native12_GLOBAL__N_19CustomMaxEEEEE10hipError_tPvRmT0_T1_jT2_SQ_T4_T3_P12ihipStream_tbEUlT_E_NS1_11comp_targetILNS1_3genE10ELNS1_11target_archE1201ELNS1_3gpuE5ELNS1_3repE0EEENS1_30default_config_static_selectorELNS0_4arch9wavefront6targetE0EEEvSP_ ; -- Begin function _ZN7rocprim17ROCPRIM_400000_NS6detail17trampoline_kernelINS0_14default_configENS1_32segmented_reduce_config_selectorIfEEZNS1_21segmented_reduce_implIS3_PKfPfPKlfN6hipcub16HIPCUB_304000_NS6detail27convert_result_type_wrapperIS8_S9_N2at6native12_GLOBAL__N_19CustomMaxEEEEE10hipError_tPvRmT0_T1_jT2_SQ_T4_T3_P12ihipStream_tbEUlT_E_NS1_11comp_targetILNS1_3genE10ELNS1_11target_archE1201ELNS1_3gpuE5ELNS1_3repE0EEENS1_30default_config_static_selectorELNS0_4arch9wavefront6targetE0EEEvSP_
	.p2align	8
	.type	_ZN7rocprim17ROCPRIM_400000_NS6detail17trampoline_kernelINS0_14default_configENS1_32segmented_reduce_config_selectorIfEEZNS1_21segmented_reduce_implIS3_PKfPfPKlfN6hipcub16HIPCUB_304000_NS6detail27convert_result_type_wrapperIS8_S9_N2at6native12_GLOBAL__N_19CustomMaxEEEEE10hipError_tPvRmT0_T1_jT2_SQ_T4_T3_P12ihipStream_tbEUlT_E_NS1_11comp_targetILNS1_3genE10ELNS1_11target_archE1201ELNS1_3gpuE5ELNS1_3repE0EEENS1_30default_config_static_selectorELNS0_4arch9wavefront6targetE0EEEvSP_,@function
_ZN7rocprim17ROCPRIM_400000_NS6detail17trampoline_kernelINS0_14default_configENS1_32segmented_reduce_config_selectorIfEEZNS1_21segmented_reduce_implIS3_PKfPfPKlfN6hipcub16HIPCUB_304000_NS6detail27convert_result_type_wrapperIS8_S9_N2at6native12_GLOBAL__N_19CustomMaxEEEEE10hipError_tPvRmT0_T1_jT2_SQ_T4_T3_P12ihipStream_tbEUlT_E_NS1_11comp_targetILNS1_3genE10ELNS1_11target_archE1201ELNS1_3gpuE5ELNS1_3repE0EEENS1_30default_config_static_selectorELNS0_4arch9wavefront6targetE0EEEvSP_: ; @_ZN7rocprim17ROCPRIM_400000_NS6detail17trampoline_kernelINS0_14default_configENS1_32segmented_reduce_config_selectorIfEEZNS1_21segmented_reduce_implIS3_PKfPfPKlfN6hipcub16HIPCUB_304000_NS6detail27convert_result_type_wrapperIS8_S9_N2at6native12_GLOBAL__N_19CustomMaxEEEEE10hipError_tPvRmT0_T1_jT2_SQ_T4_T3_P12ihipStream_tbEUlT_E_NS1_11comp_targetILNS1_3genE10ELNS1_11target_archE1201ELNS1_3gpuE5ELNS1_3repE0EEENS1_30default_config_static_selectorELNS0_4arch9wavefront6targetE0EEEvSP_
; %bb.0:
	.section	.rodata,"a",@progbits
	.p2align	6, 0x0
	.amdhsa_kernel _ZN7rocprim17ROCPRIM_400000_NS6detail17trampoline_kernelINS0_14default_configENS1_32segmented_reduce_config_selectorIfEEZNS1_21segmented_reduce_implIS3_PKfPfPKlfN6hipcub16HIPCUB_304000_NS6detail27convert_result_type_wrapperIS8_S9_N2at6native12_GLOBAL__N_19CustomMaxEEEEE10hipError_tPvRmT0_T1_jT2_SQ_T4_T3_P12ihipStream_tbEUlT_E_NS1_11comp_targetILNS1_3genE10ELNS1_11target_archE1201ELNS1_3gpuE5ELNS1_3repE0EEENS1_30default_config_static_selectorELNS0_4arch9wavefront6targetE0EEEvSP_
		.amdhsa_group_segment_fixed_size 0
		.amdhsa_private_segment_fixed_size 0
		.amdhsa_kernarg_size 48
		.amdhsa_user_sgpr_count 2
		.amdhsa_user_sgpr_dispatch_ptr 0
		.amdhsa_user_sgpr_queue_ptr 0
		.amdhsa_user_sgpr_kernarg_segment_ptr 1
		.amdhsa_user_sgpr_dispatch_id 0
		.amdhsa_user_sgpr_kernarg_preload_length 0
		.amdhsa_user_sgpr_kernarg_preload_offset 0
		.amdhsa_user_sgpr_private_segment_size 0
		.amdhsa_wavefront_size32 1
		.amdhsa_uses_dynamic_stack 0
		.amdhsa_enable_private_segment 0
		.amdhsa_system_sgpr_workgroup_id_x 1
		.amdhsa_system_sgpr_workgroup_id_y 0
		.amdhsa_system_sgpr_workgroup_id_z 0
		.amdhsa_system_sgpr_workgroup_info 0
		.amdhsa_system_vgpr_workitem_id 0
		.amdhsa_next_free_vgpr 1
		.amdhsa_next_free_sgpr 1
		.amdhsa_named_barrier_count 0
		.amdhsa_reserve_vcc 0
		.amdhsa_float_round_mode_32 0
		.amdhsa_float_round_mode_16_64 0
		.amdhsa_float_denorm_mode_32 3
		.amdhsa_float_denorm_mode_16_64 3
		.amdhsa_fp16_overflow 0
		.amdhsa_memory_ordered 1
		.amdhsa_forward_progress 1
		.amdhsa_inst_pref_size 0
		.amdhsa_round_robin_scheduling 0
		.amdhsa_exception_fp_ieee_invalid_op 0
		.amdhsa_exception_fp_denorm_src 0
		.amdhsa_exception_fp_ieee_div_zero 0
		.amdhsa_exception_fp_ieee_overflow 0
		.amdhsa_exception_fp_ieee_underflow 0
		.amdhsa_exception_fp_ieee_inexact 0
		.amdhsa_exception_int_div_zero 0
	.end_amdhsa_kernel
	.section	.text._ZN7rocprim17ROCPRIM_400000_NS6detail17trampoline_kernelINS0_14default_configENS1_32segmented_reduce_config_selectorIfEEZNS1_21segmented_reduce_implIS3_PKfPfPKlfN6hipcub16HIPCUB_304000_NS6detail27convert_result_type_wrapperIS8_S9_N2at6native12_GLOBAL__N_19CustomMaxEEEEE10hipError_tPvRmT0_T1_jT2_SQ_T4_T3_P12ihipStream_tbEUlT_E_NS1_11comp_targetILNS1_3genE10ELNS1_11target_archE1201ELNS1_3gpuE5ELNS1_3repE0EEENS1_30default_config_static_selectorELNS0_4arch9wavefront6targetE0EEEvSP_,"axG",@progbits,_ZN7rocprim17ROCPRIM_400000_NS6detail17trampoline_kernelINS0_14default_configENS1_32segmented_reduce_config_selectorIfEEZNS1_21segmented_reduce_implIS3_PKfPfPKlfN6hipcub16HIPCUB_304000_NS6detail27convert_result_type_wrapperIS8_S9_N2at6native12_GLOBAL__N_19CustomMaxEEEEE10hipError_tPvRmT0_T1_jT2_SQ_T4_T3_P12ihipStream_tbEUlT_E_NS1_11comp_targetILNS1_3genE10ELNS1_11target_archE1201ELNS1_3gpuE5ELNS1_3repE0EEENS1_30default_config_static_selectorELNS0_4arch9wavefront6targetE0EEEvSP_,comdat
.Lfunc_end181:
	.size	_ZN7rocprim17ROCPRIM_400000_NS6detail17trampoline_kernelINS0_14default_configENS1_32segmented_reduce_config_selectorIfEEZNS1_21segmented_reduce_implIS3_PKfPfPKlfN6hipcub16HIPCUB_304000_NS6detail27convert_result_type_wrapperIS8_S9_N2at6native12_GLOBAL__N_19CustomMaxEEEEE10hipError_tPvRmT0_T1_jT2_SQ_T4_T3_P12ihipStream_tbEUlT_E_NS1_11comp_targetILNS1_3genE10ELNS1_11target_archE1201ELNS1_3gpuE5ELNS1_3repE0EEENS1_30default_config_static_selectorELNS0_4arch9wavefront6targetE0EEEvSP_, .Lfunc_end181-_ZN7rocprim17ROCPRIM_400000_NS6detail17trampoline_kernelINS0_14default_configENS1_32segmented_reduce_config_selectorIfEEZNS1_21segmented_reduce_implIS3_PKfPfPKlfN6hipcub16HIPCUB_304000_NS6detail27convert_result_type_wrapperIS8_S9_N2at6native12_GLOBAL__N_19CustomMaxEEEEE10hipError_tPvRmT0_T1_jT2_SQ_T4_T3_P12ihipStream_tbEUlT_E_NS1_11comp_targetILNS1_3genE10ELNS1_11target_archE1201ELNS1_3gpuE5ELNS1_3repE0EEENS1_30default_config_static_selectorELNS0_4arch9wavefront6targetE0EEEvSP_
                                        ; -- End function
	.set _ZN7rocprim17ROCPRIM_400000_NS6detail17trampoline_kernelINS0_14default_configENS1_32segmented_reduce_config_selectorIfEEZNS1_21segmented_reduce_implIS3_PKfPfPKlfN6hipcub16HIPCUB_304000_NS6detail27convert_result_type_wrapperIS8_S9_N2at6native12_GLOBAL__N_19CustomMaxEEEEE10hipError_tPvRmT0_T1_jT2_SQ_T4_T3_P12ihipStream_tbEUlT_E_NS1_11comp_targetILNS1_3genE10ELNS1_11target_archE1201ELNS1_3gpuE5ELNS1_3repE0EEENS1_30default_config_static_selectorELNS0_4arch9wavefront6targetE0EEEvSP_.num_vgpr, 0
	.set _ZN7rocprim17ROCPRIM_400000_NS6detail17trampoline_kernelINS0_14default_configENS1_32segmented_reduce_config_selectorIfEEZNS1_21segmented_reduce_implIS3_PKfPfPKlfN6hipcub16HIPCUB_304000_NS6detail27convert_result_type_wrapperIS8_S9_N2at6native12_GLOBAL__N_19CustomMaxEEEEE10hipError_tPvRmT0_T1_jT2_SQ_T4_T3_P12ihipStream_tbEUlT_E_NS1_11comp_targetILNS1_3genE10ELNS1_11target_archE1201ELNS1_3gpuE5ELNS1_3repE0EEENS1_30default_config_static_selectorELNS0_4arch9wavefront6targetE0EEEvSP_.num_agpr, 0
	.set _ZN7rocprim17ROCPRIM_400000_NS6detail17trampoline_kernelINS0_14default_configENS1_32segmented_reduce_config_selectorIfEEZNS1_21segmented_reduce_implIS3_PKfPfPKlfN6hipcub16HIPCUB_304000_NS6detail27convert_result_type_wrapperIS8_S9_N2at6native12_GLOBAL__N_19CustomMaxEEEEE10hipError_tPvRmT0_T1_jT2_SQ_T4_T3_P12ihipStream_tbEUlT_E_NS1_11comp_targetILNS1_3genE10ELNS1_11target_archE1201ELNS1_3gpuE5ELNS1_3repE0EEENS1_30default_config_static_selectorELNS0_4arch9wavefront6targetE0EEEvSP_.numbered_sgpr, 0
	.set _ZN7rocprim17ROCPRIM_400000_NS6detail17trampoline_kernelINS0_14default_configENS1_32segmented_reduce_config_selectorIfEEZNS1_21segmented_reduce_implIS3_PKfPfPKlfN6hipcub16HIPCUB_304000_NS6detail27convert_result_type_wrapperIS8_S9_N2at6native12_GLOBAL__N_19CustomMaxEEEEE10hipError_tPvRmT0_T1_jT2_SQ_T4_T3_P12ihipStream_tbEUlT_E_NS1_11comp_targetILNS1_3genE10ELNS1_11target_archE1201ELNS1_3gpuE5ELNS1_3repE0EEENS1_30default_config_static_selectorELNS0_4arch9wavefront6targetE0EEEvSP_.num_named_barrier, 0
	.set _ZN7rocprim17ROCPRIM_400000_NS6detail17trampoline_kernelINS0_14default_configENS1_32segmented_reduce_config_selectorIfEEZNS1_21segmented_reduce_implIS3_PKfPfPKlfN6hipcub16HIPCUB_304000_NS6detail27convert_result_type_wrapperIS8_S9_N2at6native12_GLOBAL__N_19CustomMaxEEEEE10hipError_tPvRmT0_T1_jT2_SQ_T4_T3_P12ihipStream_tbEUlT_E_NS1_11comp_targetILNS1_3genE10ELNS1_11target_archE1201ELNS1_3gpuE5ELNS1_3repE0EEENS1_30default_config_static_selectorELNS0_4arch9wavefront6targetE0EEEvSP_.private_seg_size, 0
	.set _ZN7rocprim17ROCPRIM_400000_NS6detail17trampoline_kernelINS0_14default_configENS1_32segmented_reduce_config_selectorIfEEZNS1_21segmented_reduce_implIS3_PKfPfPKlfN6hipcub16HIPCUB_304000_NS6detail27convert_result_type_wrapperIS8_S9_N2at6native12_GLOBAL__N_19CustomMaxEEEEE10hipError_tPvRmT0_T1_jT2_SQ_T4_T3_P12ihipStream_tbEUlT_E_NS1_11comp_targetILNS1_3genE10ELNS1_11target_archE1201ELNS1_3gpuE5ELNS1_3repE0EEENS1_30default_config_static_selectorELNS0_4arch9wavefront6targetE0EEEvSP_.uses_vcc, 0
	.set _ZN7rocprim17ROCPRIM_400000_NS6detail17trampoline_kernelINS0_14default_configENS1_32segmented_reduce_config_selectorIfEEZNS1_21segmented_reduce_implIS3_PKfPfPKlfN6hipcub16HIPCUB_304000_NS6detail27convert_result_type_wrapperIS8_S9_N2at6native12_GLOBAL__N_19CustomMaxEEEEE10hipError_tPvRmT0_T1_jT2_SQ_T4_T3_P12ihipStream_tbEUlT_E_NS1_11comp_targetILNS1_3genE10ELNS1_11target_archE1201ELNS1_3gpuE5ELNS1_3repE0EEENS1_30default_config_static_selectorELNS0_4arch9wavefront6targetE0EEEvSP_.uses_flat_scratch, 0
	.set _ZN7rocprim17ROCPRIM_400000_NS6detail17trampoline_kernelINS0_14default_configENS1_32segmented_reduce_config_selectorIfEEZNS1_21segmented_reduce_implIS3_PKfPfPKlfN6hipcub16HIPCUB_304000_NS6detail27convert_result_type_wrapperIS8_S9_N2at6native12_GLOBAL__N_19CustomMaxEEEEE10hipError_tPvRmT0_T1_jT2_SQ_T4_T3_P12ihipStream_tbEUlT_E_NS1_11comp_targetILNS1_3genE10ELNS1_11target_archE1201ELNS1_3gpuE5ELNS1_3repE0EEENS1_30default_config_static_selectorELNS0_4arch9wavefront6targetE0EEEvSP_.has_dyn_sized_stack, 0
	.set _ZN7rocprim17ROCPRIM_400000_NS6detail17trampoline_kernelINS0_14default_configENS1_32segmented_reduce_config_selectorIfEEZNS1_21segmented_reduce_implIS3_PKfPfPKlfN6hipcub16HIPCUB_304000_NS6detail27convert_result_type_wrapperIS8_S9_N2at6native12_GLOBAL__N_19CustomMaxEEEEE10hipError_tPvRmT0_T1_jT2_SQ_T4_T3_P12ihipStream_tbEUlT_E_NS1_11comp_targetILNS1_3genE10ELNS1_11target_archE1201ELNS1_3gpuE5ELNS1_3repE0EEENS1_30default_config_static_selectorELNS0_4arch9wavefront6targetE0EEEvSP_.has_recursion, 0
	.set _ZN7rocprim17ROCPRIM_400000_NS6detail17trampoline_kernelINS0_14default_configENS1_32segmented_reduce_config_selectorIfEEZNS1_21segmented_reduce_implIS3_PKfPfPKlfN6hipcub16HIPCUB_304000_NS6detail27convert_result_type_wrapperIS8_S9_N2at6native12_GLOBAL__N_19CustomMaxEEEEE10hipError_tPvRmT0_T1_jT2_SQ_T4_T3_P12ihipStream_tbEUlT_E_NS1_11comp_targetILNS1_3genE10ELNS1_11target_archE1201ELNS1_3gpuE5ELNS1_3repE0EEENS1_30default_config_static_selectorELNS0_4arch9wavefront6targetE0EEEvSP_.has_indirect_call, 0
	.section	.AMDGPU.csdata,"",@progbits
; Kernel info:
; codeLenInByte = 0
; TotalNumSgprs: 0
; NumVgprs: 0
; ScratchSize: 0
; MemoryBound: 0
; FloatMode: 240
; IeeeMode: 1
; LDSByteSize: 0 bytes/workgroup (compile time only)
; SGPRBlocks: 0
; VGPRBlocks: 0
; NumSGPRsForWavesPerEU: 1
; NumVGPRsForWavesPerEU: 1
; NamedBarCnt: 0
; Occupancy: 16
; WaveLimiterHint : 0
; COMPUTE_PGM_RSRC2:SCRATCH_EN: 0
; COMPUTE_PGM_RSRC2:USER_SGPR: 2
; COMPUTE_PGM_RSRC2:TRAP_HANDLER: 0
; COMPUTE_PGM_RSRC2:TGID_X_EN: 1
; COMPUTE_PGM_RSRC2:TGID_Y_EN: 0
; COMPUTE_PGM_RSRC2:TGID_Z_EN: 0
; COMPUTE_PGM_RSRC2:TIDIG_COMP_CNT: 0
	.section	.text._ZN7rocprim17ROCPRIM_400000_NS6detail17trampoline_kernelINS0_14default_configENS1_32segmented_reduce_config_selectorIfEEZNS1_21segmented_reduce_implIS3_PKfPfPKlfN6hipcub16HIPCUB_304000_NS6detail27convert_result_type_wrapperIS8_S9_N2at6native12_GLOBAL__N_19CustomMaxEEEEE10hipError_tPvRmT0_T1_jT2_SQ_T4_T3_P12ihipStream_tbEUlT_E_NS1_11comp_targetILNS1_3genE4ELNS1_11target_archE910ELNS1_3gpuE8ELNS1_3repE0EEENS1_30default_config_static_selectorELNS0_4arch9wavefront6targetE0EEEvSP_,"axG",@progbits,_ZN7rocprim17ROCPRIM_400000_NS6detail17trampoline_kernelINS0_14default_configENS1_32segmented_reduce_config_selectorIfEEZNS1_21segmented_reduce_implIS3_PKfPfPKlfN6hipcub16HIPCUB_304000_NS6detail27convert_result_type_wrapperIS8_S9_N2at6native12_GLOBAL__N_19CustomMaxEEEEE10hipError_tPvRmT0_T1_jT2_SQ_T4_T3_P12ihipStream_tbEUlT_E_NS1_11comp_targetILNS1_3genE4ELNS1_11target_archE910ELNS1_3gpuE8ELNS1_3repE0EEENS1_30default_config_static_selectorELNS0_4arch9wavefront6targetE0EEEvSP_,comdat
	.globl	_ZN7rocprim17ROCPRIM_400000_NS6detail17trampoline_kernelINS0_14default_configENS1_32segmented_reduce_config_selectorIfEEZNS1_21segmented_reduce_implIS3_PKfPfPKlfN6hipcub16HIPCUB_304000_NS6detail27convert_result_type_wrapperIS8_S9_N2at6native12_GLOBAL__N_19CustomMaxEEEEE10hipError_tPvRmT0_T1_jT2_SQ_T4_T3_P12ihipStream_tbEUlT_E_NS1_11comp_targetILNS1_3genE4ELNS1_11target_archE910ELNS1_3gpuE8ELNS1_3repE0EEENS1_30default_config_static_selectorELNS0_4arch9wavefront6targetE0EEEvSP_ ; -- Begin function _ZN7rocprim17ROCPRIM_400000_NS6detail17trampoline_kernelINS0_14default_configENS1_32segmented_reduce_config_selectorIfEEZNS1_21segmented_reduce_implIS3_PKfPfPKlfN6hipcub16HIPCUB_304000_NS6detail27convert_result_type_wrapperIS8_S9_N2at6native12_GLOBAL__N_19CustomMaxEEEEE10hipError_tPvRmT0_T1_jT2_SQ_T4_T3_P12ihipStream_tbEUlT_E_NS1_11comp_targetILNS1_3genE4ELNS1_11target_archE910ELNS1_3gpuE8ELNS1_3repE0EEENS1_30default_config_static_selectorELNS0_4arch9wavefront6targetE0EEEvSP_
	.p2align	8
	.type	_ZN7rocprim17ROCPRIM_400000_NS6detail17trampoline_kernelINS0_14default_configENS1_32segmented_reduce_config_selectorIfEEZNS1_21segmented_reduce_implIS3_PKfPfPKlfN6hipcub16HIPCUB_304000_NS6detail27convert_result_type_wrapperIS8_S9_N2at6native12_GLOBAL__N_19CustomMaxEEEEE10hipError_tPvRmT0_T1_jT2_SQ_T4_T3_P12ihipStream_tbEUlT_E_NS1_11comp_targetILNS1_3genE4ELNS1_11target_archE910ELNS1_3gpuE8ELNS1_3repE0EEENS1_30default_config_static_selectorELNS0_4arch9wavefront6targetE0EEEvSP_,@function
_ZN7rocprim17ROCPRIM_400000_NS6detail17trampoline_kernelINS0_14default_configENS1_32segmented_reduce_config_selectorIfEEZNS1_21segmented_reduce_implIS3_PKfPfPKlfN6hipcub16HIPCUB_304000_NS6detail27convert_result_type_wrapperIS8_S9_N2at6native12_GLOBAL__N_19CustomMaxEEEEE10hipError_tPvRmT0_T1_jT2_SQ_T4_T3_P12ihipStream_tbEUlT_E_NS1_11comp_targetILNS1_3genE4ELNS1_11target_archE910ELNS1_3gpuE8ELNS1_3repE0EEENS1_30default_config_static_selectorELNS0_4arch9wavefront6targetE0EEEvSP_: ; @_ZN7rocprim17ROCPRIM_400000_NS6detail17trampoline_kernelINS0_14default_configENS1_32segmented_reduce_config_selectorIfEEZNS1_21segmented_reduce_implIS3_PKfPfPKlfN6hipcub16HIPCUB_304000_NS6detail27convert_result_type_wrapperIS8_S9_N2at6native12_GLOBAL__N_19CustomMaxEEEEE10hipError_tPvRmT0_T1_jT2_SQ_T4_T3_P12ihipStream_tbEUlT_E_NS1_11comp_targetILNS1_3genE4ELNS1_11target_archE910ELNS1_3gpuE8ELNS1_3repE0EEENS1_30default_config_static_selectorELNS0_4arch9wavefront6targetE0EEEvSP_
; %bb.0:
	.section	.rodata,"a",@progbits
	.p2align	6, 0x0
	.amdhsa_kernel _ZN7rocprim17ROCPRIM_400000_NS6detail17trampoline_kernelINS0_14default_configENS1_32segmented_reduce_config_selectorIfEEZNS1_21segmented_reduce_implIS3_PKfPfPKlfN6hipcub16HIPCUB_304000_NS6detail27convert_result_type_wrapperIS8_S9_N2at6native12_GLOBAL__N_19CustomMaxEEEEE10hipError_tPvRmT0_T1_jT2_SQ_T4_T3_P12ihipStream_tbEUlT_E_NS1_11comp_targetILNS1_3genE4ELNS1_11target_archE910ELNS1_3gpuE8ELNS1_3repE0EEENS1_30default_config_static_selectorELNS0_4arch9wavefront6targetE0EEEvSP_
		.amdhsa_group_segment_fixed_size 0
		.amdhsa_private_segment_fixed_size 0
		.amdhsa_kernarg_size 48
		.amdhsa_user_sgpr_count 2
		.amdhsa_user_sgpr_dispatch_ptr 0
		.amdhsa_user_sgpr_queue_ptr 0
		.amdhsa_user_sgpr_kernarg_segment_ptr 1
		.amdhsa_user_sgpr_dispatch_id 0
		.amdhsa_user_sgpr_kernarg_preload_length 0
		.amdhsa_user_sgpr_kernarg_preload_offset 0
		.amdhsa_user_sgpr_private_segment_size 0
		.amdhsa_wavefront_size32 1
		.amdhsa_uses_dynamic_stack 0
		.amdhsa_enable_private_segment 0
		.amdhsa_system_sgpr_workgroup_id_x 1
		.amdhsa_system_sgpr_workgroup_id_y 0
		.amdhsa_system_sgpr_workgroup_id_z 0
		.amdhsa_system_sgpr_workgroup_info 0
		.amdhsa_system_vgpr_workitem_id 0
		.amdhsa_next_free_vgpr 1
		.amdhsa_next_free_sgpr 1
		.amdhsa_named_barrier_count 0
		.amdhsa_reserve_vcc 0
		.amdhsa_float_round_mode_32 0
		.amdhsa_float_round_mode_16_64 0
		.amdhsa_float_denorm_mode_32 3
		.amdhsa_float_denorm_mode_16_64 3
		.amdhsa_fp16_overflow 0
		.amdhsa_memory_ordered 1
		.amdhsa_forward_progress 1
		.amdhsa_inst_pref_size 0
		.amdhsa_round_robin_scheduling 0
		.amdhsa_exception_fp_ieee_invalid_op 0
		.amdhsa_exception_fp_denorm_src 0
		.amdhsa_exception_fp_ieee_div_zero 0
		.amdhsa_exception_fp_ieee_overflow 0
		.amdhsa_exception_fp_ieee_underflow 0
		.amdhsa_exception_fp_ieee_inexact 0
		.amdhsa_exception_int_div_zero 0
	.end_amdhsa_kernel
	.section	.text._ZN7rocprim17ROCPRIM_400000_NS6detail17trampoline_kernelINS0_14default_configENS1_32segmented_reduce_config_selectorIfEEZNS1_21segmented_reduce_implIS3_PKfPfPKlfN6hipcub16HIPCUB_304000_NS6detail27convert_result_type_wrapperIS8_S9_N2at6native12_GLOBAL__N_19CustomMaxEEEEE10hipError_tPvRmT0_T1_jT2_SQ_T4_T3_P12ihipStream_tbEUlT_E_NS1_11comp_targetILNS1_3genE4ELNS1_11target_archE910ELNS1_3gpuE8ELNS1_3repE0EEENS1_30default_config_static_selectorELNS0_4arch9wavefront6targetE0EEEvSP_,"axG",@progbits,_ZN7rocprim17ROCPRIM_400000_NS6detail17trampoline_kernelINS0_14default_configENS1_32segmented_reduce_config_selectorIfEEZNS1_21segmented_reduce_implIS3_PKfPfPKlfN6hipcub16HIPCUB_304000_NS6detail27convert_result_type_wrapperIS8_S9_N2at6native12_GLOBAL__N_19CustomMaxEEEEE10hipError_tPvRmT0_T1_jT2_SQ_T4_T3_P12ihipStream_tbEUlT_E_NS1_11comp_targetILNS1_3genE4ELNS1_11target_archE910ELNS1_3gpuE8ELNS1_3repE0EEENS1_30default_config_static_selectorELNS0_4arch9wavefront6targetE0EEEvSP_,comdat
.Lfunc_end182:
	.size	_ZN7rocprim17ROCPRIM_400000_NS6detail17trampoline_kernelINS0_14default_configENS1_32segmented_reduce_config_selectorIfEEZNS1_21segmented_reduce_implIS3_PKfPfPKlfN6hipcub16HIPCUB_304000_NS6detail27convert_result_type_wrapperIS8_S9_N2at6native12_GLOBAL__N_19CustomMaxEEEEE10hipError_tPvRmT0_T1_jT2_SQ_T4_T3_P12ihipStream_tbEUlT_E_NS1_11comp_targetILNS1_3genE4ELNS1_11target_archE910ELNS1_3gpuE8ELNS1_3repE0EEENS1_30default_config_static_selectorELNS0_4arch9wavefront6targetE0EEEvSP_, .Lfunc_end182-_ZN7rocprim17ROCPRIM_400000_NS6detail17trampoline_kernelINS0_14default_configENS1_32segmented_reduce_config_selectorIfEEZNS1_21segmented_reduce_implIS3_PKfPfPKlfN6hipcub16HIPCUB_304000_NS6detail27convert_result_type_wrapperIS8_S9_N2at6native12_GLOBAL__N_19CustomMaxEEEEE10hipError_tPvRmT0_T1_jT2_SQ_T4_T3_P12ihipStream_tbEUlT_E_NS1_11comp_targetILNS1_3genE4ELNS1_11target_archE910ELNS1_3gpuE8ELNS1_3repE0EEENS1_30default_config_static_selectorELNS0_4arch9wavefront6targetE0EEEvSP_
                                        ; -- End function
	.set _ZN7rocprim17ROCPRIM_400000_NS6detail17trampoline_kernelINS0_14default_configENS1_32segmented_reduce_config_selectorIfEEZNS1_21segmented_reduce_implIS3_PKfPfPKlfN6hipcub16HIPCUB_304000_NS6detail27convert_result_type_wrapperIS8_S9_N2at6native12_GLOBAL__N_19CustomMaxEEEEE10hipError_tPvRmT0_T1_jT2_SQ_T4_T3_P12ihipStream_tbEUlT_E_NS1_11comp_targetILNS1_3genE4ELNS1_11target_archE910ELNS1_3gpuE8ELNS1_3repE0EEENS1_30default_config_static_selectorELNS0_4arch9wavefront6targetE0EEEvSP_.num_vgpr, 0
	.set _ZN7rocprim17ROCPRIM_400000_NS6detail17trampoline_kernelINS0_14default_configENS1_32segmented_reduce_config_selectorIfEEZNS1_21segmented_reduce_implIS3_PKfPfPKlfN6hipcub16HIPCUB_304000_NS6detail27convert_result_type_wrapperIS8_S9_N2at6native12_GLOBAL__N_19CustomMaxEEEEE10hipError_tPvRmT0_T1_jT2_SQ_T4_T3_P12ihipStream_tbEUlT_E_NS1_11comp_targetILNS1_3genE4ELNS1_11target_archE910ELNS1_3gpuE8ELNS1_3repE0EEENS1_30default_config_static_selectorELNS0_4arch9wavefront6targetE0EEEvSP_.num_agpr, 0
	.set _ZN7rocprim17ROCPRIM_400000_NS6detail17trampoline_kernelINS0_14default_configENS1_32segmented_reduce_config_selectorIfEEZNS1_21segmented_reduce_implIS3_PKfPfPKlfN6hipcub16HIPCUB_304000_NS6detail27convert_result_type_wrapperIS8_S9_N2at6native12_GLOBAL__N_19CustomMaxEEEEE10hipError_tPvRmT0_T1_jT2_SQ_T4_T3_P12ihipStream_tbEUlT_E_NS1_11comp_targetILNS1_3genE4ELNS1_11target_archE910ELNS1_3gpuE8ELNS1_3repE0EEENS1_30default_config_static_selectorELNS0_4arch9wavefront6targetE0EEEvSP_.numbered_sgpr, 0
	.set _ZN7rocprim17ROCPRIM_400000_NS6detail17trampoline_kernelINS0_14default_configENS1_32segmented_reduce_config_selectorIfEEZNS1_21segmented_reduce_implIS3_PKfPfPKlfN6hipcub16HIPCUB_304000_NS6detail27convert_result_type_wrapperIS8_S9_N2at6native12_GLOBAL__N_19CustomMaxEEEEE10hipError_tPvRmT0_T1_jT2_SQ_T4_T3_P12ihipStream_tbEUlT_E_NS1_11comp_targetILNS1_3genE4ELNS1_11target_archE910ELNS1_3gpuE8ELNS1_3repE0EEENS1_30default_config_static_selectorELNS0_4arch9wavefront6targetE0EEEvSP_.num_named_barrier, 0
	.set _ZN7rocprim17ROCPRIM_400000_NS6detail17trampoline_kernelINS0_14default_configENS1_32segmented_reduce_config_selectorIfEEZNS1_21segmented_reduce_implIS3_PKfPfPKlfN6hipcub16HIPCUB_304000_NS6detail27convert_result_type_wrapperIS8_S9_N2at6native12_GLOBAL__N_19CustomMaxEEEEE10hipError_tPvRmT0_T1_jT2_SQ_T4_T3_P12ihipStream_tbEUlT_E_NS1_11comp_targetILNS1_3genE4ELNS1_11target_archE910ELNS1_3gpuE8ELNS1_3repE0EEENS1_30default_config_static_selectorELNS0_4arch9wavefront6targetE0EEEvSP_.private_seg_size, 0
	.set _ZN7rocprim17ROCPRIM_400000_NS6detail17trampoline_kernelINS0_14default_configENS1_32segmented_reduce_config_selectorIfEEZNS1_21segmented_reduce_implIS3_PKfPfPKlfN6hipcub16HIPCUB_304000_NS6detail27convert_result_type_wrapperIS8_S9_N2at6native12_GLOBAL__N_19CustomMaxEEEEE10hipError_tPvRmT0_T1_jT2_SQ_T4_T3_P12ihipStream_tbEUlT_E_NS1_11comp_targetILNS1_3genE4ELNS1_11target_archE910ELNS1_3gpuE8ELNS1_3repE0EEENS1_30default_config_static_selectorELNS0_4arch9wavefront6targetE0EEEvSP_.uses_vcc, 0
	.set _ZN7rocprim17ROCPRIM_400000_NS6detail17trampoline_kernelINS0_14default_configENS1_32segmented_reduce_config_selectorIfEEZNS1_21segmented_reduce_implIS3_PKfPfPKlfN6hipcub16HIPCUB_304000_NS6detail27convert_result_type_wrapperIS8_S9_N2at6native12_GLOBAL__N_19CustomMaxEEEEE10hipError_tPvRmT0_T1_jT2_SQ_T4_T3_P12ihipStream_tbEUlT_E_NS1_11comp_targetILNS1_3genE4ELNS1_11target_archE910ELNS1_3gpuE8ELNS1_3repE0EEENS1_30default_config_static_selectorELNS0_4arch9wavefront6targetE0EEEvSP_.uses_flat_scratch, 0
	.set _ZN7rocprim17ROCPRIM_400000_NS6detail17trampoline_kernelINS0_14default_configENS1_32segmented_reduce_config_selectorIfEEZNS1_21segmented_reduce_implIS3_PKfPfPKlfN6hipcub16HIPCUB_304000_NS6detail27convert_result_type_wrapperIS8_S9_N2at6native12_GLOBAL__N_19CustomMaxEEEEE10hipError_tPvRmT0_T1_jT2_SQ_T4_T3_P12ihipStream_tbEUlT_E_NS1_11comp_targetILNS1_3genE4ELNS1_11target_archE910ELNS1_3gpuE8ELNS1_3repE0EEENS1_30default_config_static_selectorELNS0_4arch9wavefront6targetE0EEEvSP_.has_dyn_sized_stack, 0
	.set _ZN7rocprim17ROCPRIM_400000_NS6detail17trampoline_kernelINS0_14default_configENS1_32segmented_reduce_config_selectorIfEEZNS1_21segmented_reduce_implIS3_PKfPfPKlfN6hipcub16HIPCUB_304000_NS6detail27convert_result_type_wrapperIS8_S9_N2at6native12_GLOBAL__N_19CustomMaxEEEEE10hipError_tPvRmT0_T1_jT2_SQ_T4_T3_P12ihipStream_tbEUlT_E_NS1_11comp_targetILNS1_3genE4ELNS1_11target_archE910ELNS1_3gpuE8ELNS1_3repE0EEENS1_30default_config_static_selectorELNS0_4arch9wavefront6targetE0EEEvSP_.has_recursion, 0
	.set _ZN7rocprim17ROCPRIM_400000_NS6detail17trampoline_kernelINS0_14default_configENS1_32segmented_reduce_config_selectorIfEEZNS1_21segmented_reduce_implIS3_PKfPfPKlfN6hipcub16HIPCUB_304000_NS6detail27convert_result_type_wrapperIS8_S9_N2at6native12_GLOBAL__N_19CustomMaxEEEEE10hipError_tPvRmT0_T1_jT2_SQ_T4_T3_P12ihipStream_tbEUlT_E_NS1_11comp_targetILNS1_3genE4ELNS1_11target_archE910ELNS1_3gpuE8ELNS1_3repE0EEENS1_30default_config_static_selectorELNS0_4arch9wavefront6targetE0EEEvSP_.has_indirect_call, 0
	.section	.AMDGPU.csdata,"",@progbits
; Kernel info:
; codeLenInByte = 0
; TotalNumSgprs: 0
; NumVgprs: 0
; ScratchSize: 0
; MemoryBound: 0
; FloatMode: 240
; IeeeMode: 1
; LDSByteSize: 0 bytes/workgroup (compile time only)
; SGPRBlocks: 0
; VGPRBlocks: 0
; NumSGPRsForWavesPerEU: 1
; NumVGPRsForWavesPerEU: 1
; NamedBarCnt: 0
; Occupancy: 16
; WaveLimiterHint : 0
; COMPUTE_PGM_RSRC2:SCRATCH_EN: 0
; COMPUTE_PGM_RSRC2:USER_SGPR: 2
; COMPUTE_PGM_RSRC2:TRAP_HANDLER: 0
; COMPUTE_PGM_RSRC2:TGID_X_EN: 1
; COMPUTE_PGM_RSRC2:TGID_Y_EN: 0
; COMPUTE_PGM_RSRC2:TGID_Z_EN: 0
; COMPUTE_PGM_RSRC2:TIDIG_COMP_CNT: 0
	.section	.text._ZN7rocprim17ROCPRIM_400000_NS6detail17trampoline_kernelINS0_14default_configENS1_32segmented_reduce_config_selectorIfEEZNS1_21segmented_reduce_implIS3_PKfPfPKlfN6hipcub16HIPCUB_304000_NS6detail27convert_result_type_wrapperIS8_S9_N2at6native12_GLOBAL__N_19CustomMaxEEEEE10hipError_tPvRmT0_T1_jT2_SQ_T4_T3_P12ihipStream_tbEUlT_E_NS1_11comp_targetILNS1_3genE3ELNS1_11target_archE908ELNS1_3gpuE7ELNS1_3repE0EEENS1_30default_config_static_selectorELNS0_4arch9wavefront6targetE0EEEvSP_,"axG",@progbits,_ZN7rocprim17ROCPRIM_400000_NS6detail17trampoline_kernelINS0_14default_configENS1_32segmented_reduce_config_selectorIfEEZNS1_21segmented_reduce_implIS3_PKfPfPKlfN6hipcub16HIPCUB_304000_NS6detail27convert_result_type_wrapperIS8_S9_N2at6native12_GLOBAL__N_19CustomMaxEEEEE10hipError_tPvRmT0_T1_jT2_SQ_T4_T3_P12ihipStream_tbEUlT_E_NS1_11comp_targetILNS1_3genE3ELNS1_11target_archE908ELNS1_3gpuE7ELNS1_3repE0EEENS1_30default_config_static_selectorELNS0_4arch9wavefront6targetE0EEEvSP_,comdat
	.globl	_ZN7rocprim17ROCPRIM_400000_NS6detail17trampoline_kernelINS0_14default_configENS1_32segmented_reduce_config_selectorIfEEZNS1_21segmented_reduce_implIS3_PKfPfPKlfN6hipcub16HIPCUB_304000_NS6detail27convert_result_type_wrapperIS8_S9_N2at6native12_GLOBAL__N_19CustomMaxEEEEE10hipError_tPvRmT0_T1_jT2_SQ_T4_T3_P12ihipStream_tbEUlT_E_NS1_11comp_targetILNS1_3genE3ELNS1_11target_archE908ELNS1_3gpuE7ELNS1_3repE0EEENS1_30default_config_static_selectorELNS0_4arch9wavefront6targetE0EEEvSP_ ; -- Begin function _ZN7rocprim17ROCPRIM_400000_NS6detail17trampoline_kernelINS0_14default_configENS1_32segmented_reduce_config_selectorIfEEZNS1_21segmented_reduce_implIS3_PKfPfPKlfN6hipcub16HIPCUB_304000_NS6detail27convert_result_type_wrapperIS8_S9_N2at6native12_GLOBAL__N_19CustomMaxEEEEE10hipError_tPvRmT0_T1_jT2_SQ_T4_T3_P12ihipStream_tbEUlT_E_NS1_11comp_targetILNS1_3genE3ELNS1_11target_archE908ELNS1_3gpuE7ELNS1_3repE0EEENS1_30default_config_static_selectorELNS0_4arch9wavefront6targetE0EEEvSP_
	.p2align	8
	.type	_ZN7rocprim17ROCPRIM_400000_NS6detail17trampoline_kernelINS0_14default_configENS1_32segmented_reduce_config_selectorIfEEZNS1_21segmented_reduce_implIS3_PKfPfPKlfN6hipcub16HIPCUB_304000_NS6detail27convert_result_type_wrapperIS8_S9_N2at6native12_GLOBAL__N_19CustomMaxEEEEE10hipError_tPvRmT0_T1_jT2_SQ_T4_T3_P12ihipStream_tbEUlT_E_NS1_11comp_targetILNS1_3genE3ELNS1_11target_archE908ELNS1_3gpuE7ELNS1_3repE0EEENS1_30default_config_static_selectorELNS0_4arch9wavefront6targetE0EEEvSP_,@function
_ZN7rocprim17ROCPRIM_400000_NS6detail17trampoline_kernelINS0_14default_configENS1_32segmented_reduce_config_selectorIfEEZNS1_21segmented_reduce_implIS3_PKfPfPKlfN6hipcub16HIPCUB_304000_NS6detail27convert_result_type_wrapperIS8_S9_N2at6native12_GLOBAL__N_19CustomMaxEEEEE10hipError_tPvRmT0_T1_jT2_SQ_T4_T3_P12ihipStream_tbEUlT_E_NS1_11comp_targetILNS1_3genE3ELNS1_11target_archE908ELNS1_3gpuE7ELNS1_3repE0EEENS1_30default_config_static_selectorELNS0_4arch9wavefront6targetE0EEEvSP_: ; @_ZN7rocprim17ROCPRIM_400000_NS6detail17trampoline_kernelINS0_14default_configENS1_32segmented_reduce_config_selectorIfEEZNS1_21segmented_reduce_implIS3_PKfPfPKlfN6hipcub16HIPCUB_304000_NS6detail27convert_result_type_wrapperIS8_S9_N2at6native12_GLOBAL__N_19CustomMaxEEEEE10hipError_tPvRmT0_T1_jT2_SQ_T4_T3_P12ihipStream_tbEUlT_E_NS1_11comp_targetILNS1_3genE3ELNS1_11target_archE908ELNS1_3gpuE7ELNS1_3repE0EEENS1_30default_config_static_selectorELNS0_4arch9wavefront6targetE0EEEvSP_
; %bb.0:
	.section	.rodata,"a",@progbits
	.p2align	6, 0x0
	.amdhsa_kernel _ZN7rocprim17ROCPRIM_400000_NS6detail17trampoline_kernelINS0_14default_configENS1_32segmented_reduce_config_selectorIfEEZNS1_21segmented_reduce_implIS3_PKfPfPKlfN6hipcub16HIPCUB_304000_NS6detail27convert_result_type_wrapperIS8_S9_N2at6native12_GLOBAL__N_19CustomMaxEEEEE10hipError_tPvRmT0_T1_jT2_SQ_T4_T3_P12ihipStream_tbEUlT_E_NS1_11comp_targetILNS1_3genE3ELNS1_11target_archE908ELNS1_3gpuE7ELNS1_3repE0EEENS1_30default_config_static_selectorELNS0_4arch9wavefront6targetE0EEEvSP_
		.amdhsa_group_segment_fixed_size 0
		.amdhsa_private_segment_fixed_size 0
		.amdhsa_kernarg_size 48
		.amdhsa_user_sgpr_count 2
		.amdhsa_user_sgpr_dispatch_ptr 0
		.amdhsa_user_sgpr_queue_ptr 0
		.amdhsa_user_sgpr_kernarg_segment_ptr 1
		.amdhsa_user_sgpr_dispatch_id 0
		.amdhsa_user_sgpr_kernarg_preload_length 0
		.amdhsa_user_sgpr_kernarg_preload_offset 0
		.amdhsa_user_sgpr_private_segment_size 0
		.amdhsa_wavefront_size32 1
		.amdhsa_uses_dynamic_stack 0
		.amdhsa_enable_private_segment 0
		.amdhsa_system_sgpr_workgroup_id_x 1
		.amdhsa_system_sgpr_workgroup_id_y 0
		.amdhsa_system_sgpr_workgroup_id_z 0
		.amdhsa_system_sgpr_workgroup_info 0
		.amdhsa_system_vgpr_workitem_id 0
		.amdhsa_next_free_vgpr 1
		.amdhsa_next_free_sgpr 1
		.amdhsa_named_barrier_count 0
		.amdhsa_reserve_vcc 0
		.amdhsa_float_round_mode_32 0
		.amdhsa_float_round_mode_16_64 0
		.amdhsa_float_denorm_mode_32 3
		.amdhsa_float_denorm_mode_16_64 3
		.amdhsa_fp16_overflow 0
		.amdhsa_memory_ordered 1
		.amdhsa_forward_progress 1
		.amdhsa_inst_pref_size 0
		.amdhsa_round_robin_scheduling 0
		.amdhsa_exception_fp_ieee_invalid_op 0
		.amdhsa_exception_fp_denorm_src 0
		.amdhsa_exception_fp_ieee_div_zero 0
		.amdhsa_exception_fp_ieee_overflow 0
		.amdhsa_exception_fp_ieee_underflow 0
		.amdhsa_exception_fp_ieee_inexact 0
		.amdhsa_exception_int_div_zero 0
	.end_amdhsa_kernel
	.section	.text._ZN7rocprim17ROCPRIM_400000_NS6detail17trampoline_kernelINS0_14default_configENS1_32segmented_reduce_config_selectorIfEEZNS1_21segmented_reduce_implIS3_PKfPfPKlfN6hipcub16HIPCUB_304000_NS6detail27convert_result_type_wrapperIS8_S9_N2at6native12_GLOBAL__N_19CustomMaxEEEEE10hipError_tPvRmT0_T1_jT2_SQ_T4_T3_P12ihipStream_tbEUlT_E_NS1_11comp_targetILNS1_3genE3ELNS1_11target_archE908ELNS1_3gpuE7ELNS1_3repE0EEENS1_30default_config_static_selectorELNS0_4arch9wavefront6targetE0EEEvSP_,"axG",@progbits,_ZN7rocprim17ROCPRIM_400000_NS6detail17trampoline_kernelINS0_14default_configENS1_32segmented_reduce_config_selectorIfEEZNS1_21segmented_reduce_implIS3_PKfPfPKlfN6hipcub16HIPCUB_304000_NS6detail27convert_result_type_wrapperIS8_S9_N2at6native12_GLOBAL__N_19CustomMaxEEEEE10hipError_tPvRmT0_T1_jT2_SQ_T4_T3_P12ihipStream_tbEUlT_E_NS1_11comp_targetILNS1_3genE3ELNS1_11target_archE908ELNS1_3gpuE7ELNS1_3repE0EEENS1_30default_config_static_selectorELNS0_4arch9wavefront6targetE0EEEvSP_,comdat
.Lfunc_end183:
	.size	_ZN7rocprim17ROCPRIM_400000_NS6detail17trampoline_kernelINS0_14default_configENS1_32segmented_reduce_config_selectorIfEEZNS1_21segmented_reduce_implIS3_PKfPfPKlfN6hipcub16HIPCUB_304000_NS6detail27convert_result_type_wrapperIS8_S9_N2at6native12_GLOBAL__N_19CustomMaxEEEEE10hipError_tPvRmT0_T1_jT2_SQ_T4_T3_P12ihipStream_tbEUlT_E_NS1_11comp_targetILNS1_3genE3ELNS1_11target_archE908ELNS1_3gpuE7ELNS1_3repE0EEENS1_30default_config_static_selectorELNS0_4arch9wavefront6targetE0EEEvSP_, .Lfunc_end183-_ZN7rocprim17ROCPRIM_400000_NS6detail17trampoline_kernelINS0_14default_configENS1_32segmented_reduce_config_selectorIfEEZNS1_21segmented_reduce_implIS3_PKfPfPKlfN6hipcub16HIPCUB_304000_NS6detail27convert_result_type_wrapperIS8_S9_N2at6native12_GLOBAL__N_19CustomMaxEEEEE10hipError_tPvRmT0_T1_jT2_SQ_T4_T3_P12ihipStream_tbEUlT_E_NS1_11comp_targetILNS1_3genE3ELNS1_11target_archE908ELNS1_3gpuE7ELNS1_3repE0EEENS1_30default_config_static_selectorELNS0_4arch9wavefront6targetE0EEEvSP_
                                        ; -- End function
	.set _ZN7rocprim17ROCPRIM_400000_NS6detail17trampoline_kernelINS0_14default_configENS1_32segmented_reduce_config_selectorIfEEZNS1_21segmented_reduce_implIS3_PKfPfPKlfN6hipcub16HIPCUB_304000_NS6detail27convert_result_type_wrapperIS8_S9_N2at6native12_GLOBAL__N_19CustomMaxEEEEE10hipError_tPvRmT0_T1_jT2_SQ_T4_T3_P12ihipStream_tbEUlT_E_NS1_11comp_targetILNS1_3genE3ELNS1_11target_archE908ELNS1_3gpuE7ELNS1_3repE0EEENS1_30default_config_static_selectorELNS0_4arch9wavefront6targetE0EEEvSP_.num_vgpr, 0
	.set _ZN7rocprim17ROCPRIM_400000_NS6detail17trampoline_kernelINS0_14default_configENS1_32segmented_reduce_config_selectorIfEEZNS1_21segmented_reduce_implIS3_PKfPfPKlfN6hipcub16HIPCUB_304000_NS6detail27convert_result_type_wrapperIS8_S9_N2at6native12_GLOBAL__N_19CustomMaxEEEEE10hipError_tPvRmT0_T1_jT2_SQ_T4_T3_P12ihipStream_tbEUlT_E_NS1_11comp_targetILNS1_3genE3ELNS1_11target_archE908ELNS1_3gpuE7ELNS1_3repE0EEENS1_30default_config_static_selectorELNS0_4arch9wavefront6targetE0EEEvSP_.num_agpr, 0
	.set _ZN7rocprim17ROCPRIM_400000_NS6detail17trampoline_kernelINS0_14default_configENS1_32segmented_reduce_config_selectorIfEEZNS1_21segmented_reduce_implIS3_PKfPfPKlfN6hipcub16HIPCUB_304000_NS6detail27convert_result_type_wrapperIS8_S9_N2at6native12_GLOBAL__N_19CustomMaxEEEEE10hipError_tPvRmT0_T1_jT2_SQ_T4_T3_P12ihipStream_tbEUlT_E_NS1_11comp_targetILNS1_3genE3ELNS1_11target_archE908ELNS1_3gpuE7ELNS1_3repE0EEENS1_30default_config_static_selectorELNS0_4arch9wavefront6targetE0EEEvSP_.numbered_sgpr, 0
	.set _ZN7rocprim17ROCPRIM_400000_NS6detail17trampoline_kernelINS0_14default_configENS1_32segmented_reduce_config_selectorIfEEZNS1_21segmented_reduce_implIS3_PKfPfPKlfN6hipcub16HIPCUB_304000_NS6detail27convert_result_type_wrapperIS8_S9_N2at6native12_GLOBAL__N_19CustomMaxEEEEE10hipError_tPvRmT0_T1_jT2_SQ_T4_T3_P12ihipStream_tbEUlT_E_NS1_11comp_targetILNS1_3genE3ELNS1_11target_archE908ELNS1_3gpuE7ELNS1_3repE0EEENS1_30default_config_static_selectorELNS0_4arch9wavefront6targetE0EEEvSP_.num_named_barrier, 0
	.set _ZN7rocprim17ROCPRIM_400000_NS6detail17trampoline_kernelINS0_14default_configENS1_32segmented_reduce_config_selectorIfEEZNS1_21segmented_reduce_implIS3_PKfPfPKlfN6hipcub16HIPCUB_304000_NS6detail27convert_result_type_wrapperIS8_S9_N2at6native12_GLOBAL__N_19CustomMaxEEEEE10hipError_tPvRmT0_T1_jT2_SQ_T4_T3_P12ihipStream_tbEUlT_E_NS1_11comp_targetILNS1_3genE3ELNS1_11target_archE908ELNS1_3gpuE7ELNS1_3repE0EEENS1_30default_config_static_selectorELNS0_4arch9wavefront6targetE0EEEvSP_.private_seg_size, 0
	.set _ZN7rocprim17ROCPRIM_400000_NS6detail17trampoline_kernelINS0_14default_configENS1_32segmented_reduce_config_selectorIfEEZNS1_21segmented_reduce_implIS3_PKfPfPKlfN6hipcub16HIPCUB_304000_NS6detail27convert_result_type_wrapperIS8_S9_N2at6native12_GLOBAL__N_19CustomMaxEEEEE10hipError_tPvRmT0_T1_jT2_SQ_T4_T3_P12ihipStream_tbEUlT_E_NS1_11comp_targetILNS1_3genE3ELNS1_11target_archE908ELNS1_3gpuE7ELNS1_3repE0EEENS1_30default_config_static_selectorELNS0_4arch9wavefront6targetE0EEEvSP_.uses_vcc, 0
	.set _ZN7rocprim17ROCPRIM_400000_NS6detail17trampoline_kernelINS0_14default_configENS1_32segmented_reduce_config_selectorIfEEZNS1_21segmented_reduce_implIS3_PKfPfPKlfN6hipcub16HIPCUB_304000_NS6detail27convert_result_type_wrapperIS8_S9_N2at6native12_GLOBAL__N_19CustomMaxEEEEE10hipError_tPvRmT0_T1_jT2_SQ_T4_T3_P12ihipStream_tbEUlT_E_NS1_11comp_targetILNS1_3genE3ELNS1_11target_archE908ELNS1_3gpuE7ELNS1_3repE0EEENS1_30default_config_static_selectorELNS0_4arch9wavefront6targetE0EEEvSP_.uses_flat_scratch, 0
	.set _ZN7rocprim17ROCPRIM_400000_NS6detail17trampoline_kernelINS0_14default_configENS1_32segmented_reduce_config_selectorIfEEZNS1_21segmented_reduce_implIS3_PKfPfPKlfN6hipcub16HIPCUB_304000_NS6detail27convert_result_type_wrapperIS8_S9_N2at6native12_GLOBAL__N_19CustomMaxEEEEE10hipError_tPvRmT0_T1_jT2_SQ_T4_T3_P12ihipStream_tbEUlT_E_NS1_11comp_targetILNS1_3genE3ELNS1_11target_archE908ELNS1_3gpuE7ELNS1_3repE0EEENS1_30default_config_static_selectorELNS0_4arch9wavefront6targetE0EEEvSP_.has_dyn_sized_stack, 0
	.set _ZN7rocprim17ROCPRIM_400000_NS6detail17trampoline_kernelINS0_14default_configENS1_32segmented_reduce_config_selectorIfEEZNS1_21segmented_reduce_implIS3_PKfPfPKlfN6hipcub16HIPCUB_304000_NS6detail27convert_result_type_wrapperIS8_S9_N2at6native12_GLOBAL__N_19CustomMaxEEEEE10hipError_tPvRmT0_T1_jT2_SQ_T4_T3_P12ihipStream_tbEUlT_E_NS1_11comp_targetILNS1_3genE3ELNS1_11target_archE908ELNS1_3gpuE7ELNS1_3repE0EEENS1_30default_config_static_selectorELNS0_4arch9wavefront6targetE0EEEvSP_.has_recursion, 0
	.set _ZN7rocprim17ROCPRIM_400000_NS6detail17trampoline_kernelINS0_14default_configENS1_32segmented_reduce_config_selectorIfEEZNS1_21segmented_reduce_implIS3_PKfPfPKlfN6hipcub16HIPCUB_304000_NS6detail27convert_result_type_wrapperIS8_S9_N2at6native12_GLOBAL__N_19CustomMaxEEEEE10hipError_tPvRmT0_T1_jT2_SQ_T4_T3_P12ihipStream_tbEUlT_E_NS1_11comp_targetILNS1_3genE3ELNS1_11target_archE908ELNS1_3gpuE7ELNS1_3repE0EEENS1_30default_config_static_selectorELNS0_4arch9wavefront6targetE0EEEvSP_.has_indirect_call, 0
	.section	.AMDGPU.csdata,"",@progbits
; Kernel info:
; codeLenInByte = 0
; TotalNumSgprs: 0
; NumVgprs: 0
; ScratchSize: 0
; MemoryBound: 0
; FloatMode: 240
; IeeeMode: 1
; LDSByteSize: 0 bytes/workgroup (compile time only)
; SGPRBlocks: 0
; VGPRBlocks: 0
; NumSGPRsForWavesPerEU: 1
; NumVGPRsForWavesPerEU: 1
; NamedBarCnt: 0
; Occupancy: 16
; WaveLimiterHint : 0
; COMPUTE_PGM_RSRC2:SCRATCH_EN: 0
; COMPUTE_PGM_RSRC2:USER_SGPR: 2
; COMPUTE_PGM_RSRC2:TRAP_HANDLER: 0
; COMPUTE_PGM_RSRC2:TGID_X_EN: 1
; COMPUTE_PGM_RSRC2:TGID_Y_EN: 0
; COMPUTE_PGM_RSRC2:TGID_Z_EN: 0
; COMPUTE_PGM_RSRC2:TIDIG_COMP_CNT: 0
	.section	.text._ZN7rocprim17ROCPRIM_400000_NS6detail17trampoline_kernelINS0_14default_configENS1_32segmented_reduce_config_selectorIfEEZNS1_21segmented_reduce_implIS3_PKfPfPKlfN6hipcub16HIPCUB_304000_NS6detail27convert_result_type_wrapperIS8_S9_N2at6native12_GLOBAL__N_19CustomMaxEEEEE10hipError_tPvRmT0_T1_jT2_SQ_T4_T3_P12ihipStream_tbEUlT_E_NS1_11comp_targetILNS1_3genE2ELNS1_11target_archE906ELNS1_3gpuE6ELNS1_3repE0EEENS1_30default_config_static_selectorELNS0_4arch9wavefront6targetE0EEEvSP_,"axG",@progbits,_ZN7rocprim17ROCPRIM_400000_NS6detail17trampoline_kernelINS0_14default_configENS1_32segmented_reduce_config_selectorIfEEZNS1_21segmented_reduce_implIS3_PKfPfPKlfN6hipcub16HIPCUB_304000_NS6detail27convert_result_type_wrapperIS8_S9_N2at6native12_GLOBAL__N_19CustomMaxEEEEE10hipError_tPvRmT0_T1_jT2_SQ_T4_T3_P12ihipStream_tbEUlT_E_NS1_11comp_targetILNS1_3genE2ELNS1_11target_archE906ELNS1_3gpuE6ELNS1_3repE0EEENS1_30default_config_static_selectorELNS0_4arch9wavefront6targetE0EEEvSP_,comdat
	.globl	_ZN7rocprim17ROCPRIM_400000_NS6detail17trampoline_kernelINS0_14default_configENS1_32segmented_reduce_config_selectorIfEEZNS1_21segmented_reduce_implIS3_PKfPfPKlfN6hipcub16HIPCUB_304000_NS6detail27convert_result_type_wrapperIS8_S9_N2at6native12_GLOBAL__N_19CustomMaxEEEEE10hipError_tPvRmT0_T1_jT2_SQ_T4_T3_P12ihipStream_tbEUlT_E_NS1_11comp_targetILNS1_3genE2ELNS1_11target_archE906ELNS1_3gpuE6ELNS1_3repE0EEENS1_30default_config_static_selectorELNS0_4arch9wavefront6targetE0EEEvSP_ ; -- Begin function _ZN7rocprim17ROCPRIM_400000_NS6detail17trampoline_kernelINS0_14default_configENS1_32segmented_reduce_config_selectorIfEEZNS1_21segmented_reduce_implIS3_PKfPfPKlfN6hipcub16HIPCUB_304000_NS6detail27convert_result_type_wrapperIS8_S9_N2at6native12_GLOBAL__N_19CustomMaxEEEEE10hipError_tPvRmT0_T1_jT2_SQ_T4_T3_P12ihipStream_tbEUlT_E_NS1_11comp_targetILNS1_3genE2ELNS1_11target_archE906ELNS1_3gpuE6ELNS1_3repE0EEENS1_30default_config_static_selectorELNS0_4arch9wavefront6targetE0EEEvSP_
	.p2align	8
	.type	_ZN7rocprim17ROCPRIM_400000_NS6detail17trampoline_kernelINS0_14default_configENS1_32segmented_reduce_config_selectorIfEEZNS1_21segmented_reduce_implIS3_PKfPfPKlfN6hipcub16HIPCUB_304000_NS6detail27convert_result_type_wrapperIS8_S9_N2at6native12_GLOBAL__N_19CustomMaxEEEEE10hipError_tPvRmT0_T1_jT2_SQ_T4_T3_P12ihipStream_tbEUlT_E_NS1_11comp_targetILNS1_3genE2ELNS1_11target_archE906ELNS1_3gpuE6ELNS1_3repE0EEENS1_30default_config_static_selectorELNS0_4arch9wavefront6targetE0EEEvSP_,@function
_ZN7rocprim17ROCPRIM_400000_NS6detail17trampoline_kernelINS0_14default_configENS1_32segmented_reduce_config_selectorIfEEZNS1_21segmented_reduce_implIS3_PKfPfPKlfN6hipcub16HIPCUB_304000_NS6detail27convert_result_type_wrapperIS8_S9_N2at6native12_GLOBAL__N_19CustomMaxEEEEE10hipError_tPvRmT0_T1_jT2_SQ_T4_T3_P12ihipStream_tbEUlT_E_NS1_11comp_targetILNS1_3genE2ELNS1_11target_archE906ELNS1_3gpuE6ELNS1_3repE0EEENS1_30default_config_static_selectorELNS0_4arch9wavefront6targetE0EEEvSP_: ; @_ZN7rocprim17ROCPRIM_400000_NS6detail17trampoline_kernelINS0_14default_configENS1_32segmented_reduce_config_selectorIfEEZNS1_21segmented_reduce_implIS3_PKfPfPKlfN6hipcub16HIPCUB_304000_NS6detail27convert_result_type_wrapperIS8_S9_N2at6native12_GLOBAL__N_19CustomMaxEEEEE10hipError_tPvRmT0_T1_jT2_SQ_T4_T3_P12ihipStream_tbEUlT_E_NS1_11comp_targetILNS1_3genE2ELNS1_11target_archE906ELNS1_3gpuE6ELNS1_3repE0EEENS1_30default_config_static_selectorELNS0_4arch9wavefront6targetE0EEEvSP_
; %bb.0:
	.section	.rodata,"a",@progbits
	.p2align	6, 0x0
	.amdhsa_kernel _ZN7rocprim17ROCPRIM_400000_NS6detail17trampoline_kernelINS0_14default_configENS1_32segmented_reduce_config_selectorIfEEZNS1_21segmented_reduce_implIS3_PKfPfPKlfN6hipcub16HIPCUB_304000_NS6detail27convert_result_type_wrapperIS8_S9_N2at6native12_GLOBAL__N_19CustomMaxEEEEE10hipError_tPvRmT0_T1_jT2_SQ_T4_T3_P12ihipStream_tbEUlT_E_NS1_11comp_targetILNS1_3genE2ELNS1_11target_archE906ELNS1_3gpuE6ELNS1_3repE0EEENS1_30default_config_static_selectorELNS0_4arch9wavefront6targetE0EEEvSP_
		.amdhsa_group_segment_fixed_size 0
		.amdhsa_private_segment_fixed_size 0
		.amdhsa_kernarg_size 48
		.amdhsa_user_sgpr_count 2
		.amdhsa_user_sgpr_dispatch_ptr 0
		.amdhsa_user_sgpr_queue_ptr 0
		.amdhsa_user_sgpr_kernarg_segment_ptr 1
		.amdhsa_user_sgpr_dispatch_id 0
		.amdhsa_user_sgpr_kernarg_preload_length 0
		.amdhsa_user_sgpr_kernarg_preload_offset 0
		.amdhsa_user_sgpr_private_segment_size 0
		.amdhsa_wavefront_size32 1
		.amdhsa_uses_dynamic_stack 0
		.amdhsa_enable_private_segment 0
		.amdhsa_system_sgpr_workgroup_id_x 1
		.amdhsa_system_sgpr_workgroup_id_y 0
		.amdhsa_system_sgpr_workgroup_id_z 0
		.amdhsa_system_sgpr_workgroup_info 0
		.amdhsa_system_vgpr_workitem_id 0
		.amdhsa_next_free_vgpr 1
		.amdhsa_next_free_sgpr 1
		.amdhsa_named_barrier_count 0
		.amdhsa_reserve_vcc 0
		.amdhsa_float_round_mode_32 0
		.amdhsa_float_round_mode_16_64 0
		.amdhsa_float_denorm_mode_32 3
		.amdhsa_float_denorm_mode_16_64 3
		.amdhsa_fp16_overflow 0
		.amdhsa_memory_ordered 1
		.amdhsa_forward_progress 1
		.amdhsa_inst_pref_size 0
		.amdhsa_round_robin_scheduling 0
		.amdhsa_exception_fp_ieee_invalid_op 0
		.amdhsa_exception_fp_denorm_src 0
		.amdhsa_exception_fp_ieee_div_zero 0
		.amdhsa_exception_fp_ieee_overflow 0
		.amdhsa_exception_fp_ieee_underflow 0
		.amdhsa_exception_fp_ieee_inexact 0
		.amdhsa_exception_int_div_zero 0
	.end_amdhsa_kernel
	.section	.text._ZN7rocprim17ROCPRIM_400000_NS6detail17trampoline_kernelINS0_14default_configENS1_32segmented_reduce_config_selectorIfEEZNS1_21segmented_reduce_implIS3_PKfPfPKlfN6hipcub16HIPCUB_304000_NS6detail27convert_result_type_wrapperIS8_S9_N2at6native12_GLOBAL__N_19CustomMaxEEEEE10hipError_tPvRmT0_T1_jT2_SQ_T4_T3_P12ihipStream_tbEUlT_E_NS1_11comp_targetILNS1_3genE2ELNS1_11target_archE906ELNS1_3gpuE6ELNS1_3repE0EEENS1_30default_config_static_selectorELNS0_4arch9wavefront6targetE0EEEvSP_,"axG",@progbits,_ZN7rocprim17ROCPRIM_400000_NS6detail17trampoline_kernelINS0_14default_configENS1_32segmented_reduce_config_selectorIfEEZNS1_21segmented_reduce_implIS3_PKfPfPKlfN6hipcub16HIPCUB_304000_NS6detail27convert_result_type_wrapperIS8_S9_N2at6native12_GLOBAL__N_19CustomMaxEEEEE10hipError_tPvRmT0_T1_jT2_SQ_T4_T3_P12ihipStream_tbEUlT_E_NS1_11comp_targetILNS1_3genE2ELNS1_11target_archE906ELNS1_3gpuE6ELNS1_3repE0EEENS1_30default_config_static_selectorELNS0_4arch9wavefront6targetE0EEEvSP_,comdat
.Lfunc_end184:
	.size	_ZN7rocprim17ROCPRIM_400000_NS6detail17trampoline_kernelINS0_14default_configENS1_32segmented_reduce_config_selectorIfEEZNS1_21segmented_reduce_implIS3_PKfPfPKlfN6hipcub16HIPCUB_304000_NS6detail27convert_result_type_wrapperIS8_S9_N2at6native12_GLOBAL__N_19CustomMaxEEEEE10hipError_tPvRmT0_T1_jT2_SQ_T4_T3_P12ihipStream_tbEUlT_E_NS1_11comp_targetILNS1_3genE2ELNS1_11target_archE906ELNS1_3gpuE6ELNS1_3repE0EEENS1_30default_config_static_selectorELNS0_4arch9wavefront6targetE0EEEvSP_, .Lfunc_end184-_ZN7rocprim17ROCPRIM_400000_NS6detail17trampoline_kernelINS0_14default_configENS1_32segmented_reduce_config_selectorIfEEZNS1_21segmented_reduce_implIS3_PKfPfPKlfN6hipcub16HIPCUB_304000_NS6detail27convert_result_type_wrapperIS8_S9_N2at6native12_GLOBAL__N_19CustomMaxEEEEE10hipError_tPvRmT0_T1_jT2_SQ_T4_T3_P12ihipStream_tbEUlT_E_NS1_11comp_targetILNS1_3genE2ELNS1_11target_archE906ELNS1_3gpuE6ELNS1_3repE0EEENS1_30default_config_static_selectorELNS0_4arch9wavefront6targetE0EEEvSP_
                                        ; -- End function
	.set _ZN7rocprim17ROCPRIM_400000_NS6detail17trampoline_kernelINS0_14default_configENS1_32segmented_reduce_config_selectorIfEEZNS1_21segmented_reduce_implIS3_PKfPfPKlfN6hipcub16HIPCUB_304000_NS6detail27convert_result_type_wrapperIS8_S9_N2at6native12_GLOBAL__N_19CustomMaxEEEEE10hipError_tPvRmT0_T1_jT2_SQ_T4_T3_P12ihipStream_tbEUlT_E_NS1_11comp_targetILNS1_3genE2ELNS1_11target_archE906ELNS1_3gpuE6ELNS1_3repE0EEENS1_30default_config_static_selectorELNS0_4arch9wavefront6targetE0EEEvSP_.num_vgpr, 0
	.set _ZN7rocprim17ROCPRIM_400000_NS6detail17trampoline_kernelINS0_14default_configENS1_32segmented_reduce_config_selectorIfEEZNS1_21segmented_reduce_implIS3_PKfPfPKlfN6hipcub16HIPCUB_304000_NS6detail27convert_result_type_wrapperIS8_S9_N2at6native12_GLOBAL__N_19CustomMaxEEEEE10hipError_tPvRmT0_T1_jT2_SQ_T4_T3_P12ihipStream_tbEUlT_E_NS1_11comp_targetILNS1_3genE2ELNS1_11target_archE906ELNS1_3gpuE6ELNS1_3repE0EEENS1_30default_config_static_selectorELNS0_4arch9wavefront6targetE0EEEvSP_.num_agpr, 0
	.set _ZN7rocprim17ROCPRIM_400000_NS6detail17trampoline_kernelINS0_14default_configENS1_32segmented_reduce_config_selectorIfEEZNS1_21segmented_reduce_implIS3_PKfPfPKlfN6hipcub16HIPCUB_304000_NS6detail27convert_result_type_wrapperIS8_S9_N2at6native12_GLOBAL__N_19CustomMaxEEEEE10hipError_tPvRmT0_T1_jT2_SQ_T4_T3_P12ihipStream_tbEUlT_E_NS1_11comp_targetILNS1_3genE2ELNS1_11target_archE906ELNS1_3gpuE6ELNS1_3repE0EEENS1_30default_config_static_selectorELNS0_4arch9wavefront6targetE0EEEvSP_.numbered_sgpr, 0
	.set _ZN7rocprim17ROCPRIM_400000_NS6detail17trampoline_kernelINS0_14default_configENS1_32segmented_reduce_config_selectorIfEEZNS1_21segmented_reduce_implIS3_PKfPfPKlfN6hipcub16HIPCUB_304000_NS6detail27convert_result_type_wrapperIS8_S9_N2at6native12_GLOBAL__N_19CustomMaxEEEEE10hipError_tPvRmT0_T1_jT2_SQ_T4_T3_P12ihipStream_tbEUlT_E_NS1_11comp_targetILNS1_3genE2ELNS1_11target_archE906ELNS1_3gpuE6ELNS1_3repE0EEENS1_30default_config_static_selectorELNS0_4arch9wavefront6targetE0EEEvSP_.num_named_barrier, 0
	.set _ZN7rocprim17ROCPRIM_400000_NS6detail17trampoline_kernelINS0_14default_configENS1_32segmented_reduce_config_selectorIfEEZNS1_21segmented_reduce_implIS3_PKfPfPKlfN6hipcub16HIPCUB_304000_NS6detail27convert_result_type_wrapperIS8_S9_N2at6native12_GLOBAL__N_19CustomMaxEEEEE10hipError_tPvRmT0_T1_jT2_SQ_T4_T3_P12ihipStream_tbEUlT_E_NS1_11comp_targetILNS1_3genE2ELNS1_11target_archE906ELNS1_3gpuE6ELNS1_3repE0EEENS1_30default_config_static_selectorELNS0_4arch9wavefront6targetE0EEEvSP_.private_seg_size, 0
	.set _ZN7rocprim17ROCPRIM_400000_NS6detail17trampoline_kernelINS0_14default_configENS1_32segmented_reduce_config_selectorIfEEZNS1_21segmented_reduce_implIS3_PKfPfPKlfN6hipcub16HIPCUB_304000_NS6detail27convert_result_type_wrapperIS8_S9_N2at6native12_GLOBAL__N_19CustomMaxEEEEE10hipError_tPvRmT0_T1_jT2_SQ_T4_T3_P12ihipStream_tbEUlT_E_NS1_11comp_targetILNS1_3genE2ELNS1_11target_archE906ELNS1_3gpuE6ELNS1_3repE0EEENS1_30default_config_static_selectorELNS0_4arch9wavefront6targetE0EEEvSP_.uses_vcc, 0
	.set _ZN7rocprim17ROCPRIM_400000_NS6detail17trampoline_kernelINS0_14default_configENS1_32segmented_reduce_config_selectorIfEEZNS1_21segmented_reduce_implIS3_PKfPfPKlfN6hipcub16HIPCUB_304000_NS6detail27convert_result_type_wrapperIS8_S9_N2at6native12_GLOBAL__N_19CustomMaxEEEEE10hipError_tPvRmT0_T1_jT2_SQ_T4_T3_P12ihipStream_tbEUlT_E_NS1_11comp_targetILNS1_3genE2ELNS1_11target_archE906ELNS1_3gpuE6ELNS1_3repE0EEENS1_30default_config_static_selectorELNS0_4arch9wavefront6targetE0EEEvSP_.uses_flat_scratch, 0
	.set _ZN7rocprim17ROCPRIM_400000_NS6detail17trampoline_kernelINS0_14default_configENS1_32segmented_reduce_config_selectorIfEEZNS1_21segmented_reduce_implIS3_PKfPfPKlfN6hipcub16HIPCUB_304000_NS6detail27convert_result_type_wrapperIS8_S9_N2at6native12_GLOBAL__N_19CustomMaxEEEEE10hipError_tPvRmT0_T1_jT2_SQ_T4_T3_P12ihipStream_tbEUlT_E_NS1_11comp_targetILNS1_3genE2ELNS1_11target_archE906ELNS1_3gpuE6ELNS1_3repE0EEENS1_30default_config_static_selectorELNS0_4arch9wavefront6targetE0EEEvSP_.has_dyn_sized_stack, 0
	.set _ZN7rocprim17ROCPRIM_400000_NS6detail17trampoline_kernelINS0_14default_configENS1_32segmented_reduce_config_selectorIfEEZNS1_21segmented_reduce_implIS3_PKfPfPKlfN6hipcub16HIPCUB_304000_NS6detail27convert_result_type_wrapperIS8_S9_N2at6native12_GLOBAL__N_19CustomMaxEEEEE10hipError_tPvRmT0_T1_jT2_SQ_T4_T3_P12ihipStream_tbEUlT_E_NS1_11comp_targetILNS1_3genE2ELNS1_11target_archE906ELNS1_3gpuE6ELNS1_3repE0EEENS1_30default_config_static_selectorELNS0_4arch9wavefront6targetE0EEEvSP_.has_recursion, 0
	.set _ZN7rocprim17ROCPRIM_400000_NS6detail17trampoline_kernelINS0_14default_configENS1_32segmented_reduce_config_selectorIfEEZNS1_21segmented_reduce_implIS3_PKfPfPKlfN6hipcub16HIPCUB_304000_NS6detail27convert_result_type_wrapperIS8_S9_N2at6native12_GLOBAL__N_19CustomMaxEEEEE10hipError_tPvRmT0_T1_jT2_SQ_T4_T3_P12ihipStream_tbEUlT_E_NS1_11comp_targetILNS1_3genE2ELNS1_11target_archE906ELNS1_3gpuE6ELNS1_3repE0EEENS1_30default_config_static_selectorELNS0_4arch9wavefront6targetE0EEEvSP_.has_indirect_call, 0
	.section	.AMDGPU.csdata,"",@progbits
; Kernel info:
; codeLenInByte = 0
; TotalNumSgprs: 0
; NumVgprs: 0
; ScratchSize: 0
; MemoryBound: 0
; FloatMode: 240
; IeeeMode: 1
; LDSByteSize: 0 bytes/workgroup (compile time only)
; SGPRBlocks: 0
; VGPRBlocks: 0
; NumSGPRsForWavesPerEU: 1
; NumVGPRsForWavesPerEU: 1
; NamedBarCnt: 0
; Occupancy: 16
; WaveLimiterHint : 0
; COMPUTE_PGM_RSRC2:SCRATCH_EN: 0
; COMPUTE_PGM_RSRC2:USER_SGPR: 2
; COMPUTE_PGM_RSRC2:TRAP_HANDLER: 0
; COMPUTE_PGM_RSRC2:TGID_X_EN: 1
; COMPUTE_PGM_RSRC2:TGID_Y_EN: 0
; COMPUTE_PGM_RSRC2:TGID_Z_EN: 0
; COMPUTE_PGM_RSRC2:TIDIG_COMP_CNT: 0
	.section	.text._ZN7rocprim17ROCPRIM_400000_NS6detail17trampoline_kernelINS0_14default_configENS1_32segmented_reduce_config_selectorIfEEZNS1_21segmented_reduce_implIS3_PKfPfPKlfN6hipcub16HIPCUB_304000_NS6detail27convert_result_type_wrapperIS8_S9_N2at6native12_GLOBAL__N_19CustomMaxEEEEE10hipError_tPvRmT0_T1_jT2_SQ_T4_T3_P12ihipStream_tbEUlT_E_NS1_11comp_targetILNS1_3genE9ELNS1_11target_archE1100ELNS1_3gpuE3ELNS1_3repE0EEENS1_30default_config_static_selectorELNS0_4arch9wavefront6targetE0EEEvSP_,"axG",@progbits,_ZN7rocprim17ROCPRIM_400000_NS6detail17trampoline_kernelINS0_14default_configENS1_32segmented_reduce_config_selectorIfEEZNS1_21segmented_reduce_implIS3_PKfPfPKlfN6hipcub16HIPCUB_304000_NS6detail27convert_result_type_wrapperIS8_S9_N2at6native12_GLOBAL__N_19CustomMaxEEEEE10hipError_tPvRmT0_T1_jT2_SQ_T4_T3_P12ihipStream_tbEUlT_E_NS1_11comp_targetILNS1_3genE9ELNS1_11target_archE1100ELNS1_3gpuE3ELNS1_3repE0EEENS1_30default_config_static_selectorELNS0_4arch9wavefront6targetE0EEEvSP_,comdat
	.globl	_ZN7rocprim17ROCPRIM_400000_NS6detail17trampoline_kernelINS0_14default_configENS1_32segmented_reduce_config_selectorIfEEZNS1_21segmented_reduce_implIS3_PKfPfPKlfN6hipcub16HIPCUB_304000_NS6detail27convert_result_type_wrapperIS8_S9_N2at6native12_GLOBAL__N_19CustomMaxEEEEE10hipError_tPvRmT0_T1_jT2_SQ_T4_T3_P12ihipStream_tbEUlT_E_NS1_11comp_targetILNS1_3genE9ELNS1_11target_archE1100ELNS1_3gpuE3ELNS1_3repE0EEENS1_30default_config_static_selectorELNS0_4arch9wavefront6targetE0EEEvSP_ ; -- Begin function _ZN7rocprim17ROCPRIM_400000_NS6detail17trampoline_kernelINS0_14default_configENS1_32segmented_reduce_config_selectorIfEEZNS1_21segmented_reduce_implIS3_PKfPfPKlfN6hipcub16HIPCUB_304000_NS6detail27convert_result_type_wrapperIS8_S9_N2at6native12_GLOBAL__N_19CustomMaxEEEEE10hipError_tPvRmT0_T1_jT2_SQ_T4_T3_P12ihipStream_tbEUlT_E_NS1_11comp_targetILNS1_3genE9ELNS1_11target_archE1100ELNS1_3gpuE3ELNS1_3repE0EEENS1_30default_config_static_selectorELNS0_4arch9wavefront6targetE0EEEvSP_
	.p2align	8
	.type	_ZN7rocprim17ROCPRIM_400000_NS6detail17trampoline_kernelINS0_14default_configENS1_32segmented_reduce_config_selectorIfEEZNS1_21segmented_reduce_implIS3_PKfPfPKlfN6hipcub16HIPCUB_304000_NS6detail27convert_result_type_wrapperIS8_S9_N2at6native12_GLOBAL__N_19CustomMaxEEEEE10hipError_tPvRmT0_T1_jT2_SQ_T4_T3_P12ihipStream_tbEUlT_E_NS1_11comp_targetILNS1_3genE9ELNS1_11target_archE1100ELNS1_3gpuE3ELNS1_3repE0EEENS1_30default_config_static_selectorELNS0_4arch9wavefront6targetE0EEEvSP_,@function
_ZN7rocprim17ROCPRIM_400000_NS6detail17trampoline_kernelINS0_14default_configENS1_32segmented_reduce_config_selectorIfEEZNS1_21segmented_reduce_implIS3_PKfPfPKlfN6hipcub16HIPCUB_304000_NS6detail27convert_result_type_wrapperIS8_S9_N2at6native12_GLOBAL__N_19CustomMaxEEEEE10hipError_tPvRmT0_T1_jT2_SQ_T4_T3_P12ihipStream_tbEUlT_E_NS1_11comp_targetILNS1_3genE9ELNS1_11target_archE1100ELNS1_3gpuE3ELNS1_3repE0EEENS1_30default_config_static_selectorELNS0_4arch9wavefront6targetE0EEEvSP_: ; @_ZN7rocprim17ROCPRIM_400000_NS6detail17trampoline_kernelINS0_14default_configENS1_32segmented_reduce_config_selectorIfEEZNS1_21segmented_reduce_implIS3_PKfPfPKlfN6hipcub16HIPCUB_304000_NS6detail27convert_result_type_wrapperIS8_S9_N2at6native12_GLOBAL__N_19CustomMaxEEEEE10hipError_tPvRmT0_T1_jT2_SQ_T4_T3_P12ihipStream_tbEUlT_E_NS1_11comp_targetILNS1_3genE9ELNS1_11target_archE1100ELNS1_3gpuE3ELNS1_3repE0EEENS1_30default_config_static_selectorELNS0_4arch9wavefront6targetE0EEEvSP_
; %bb.0:
	.section	.rodata,"a",@progbits
	.p2align	6, 0x0
	.amdhsa_kernel _ZN7rocprim17ROCPRIM_400000_NS6detail17trampoline_kernelINS0_14default_configENS1_32segmented_reduce_config_selectorIfEEZNS1_21segmented_reduce_implIS3_PKfPfPKlfN6hipcub16HIPCUB_304000_NS6detail27convert_result_type_wrapperIS8_S9_N2at6native12_GLOBAL__N_19CustomMaxEEEEE10hipError_tPvRmT0_T1_jT2_SQ_T4_T3_P12ihipStream_tbEUlT_E_NS1_11comp_targetILNS1_3genE9ELNS1_11target_archE1100ELNS1_3gpuE3ELNS1_3repE0EEENS1_30default_config_static_selectorELNS0_4arch9wavefront6targetE0EEEvSP_
		.amdhsa_group_segment_fixed_size 0
		.amdhsa_private_segment_fixed_size 0
		.amdhsa_kernarg_size 48
		.amdhsa_user_sgpr_count 2
		.amdhsa_user_sgpr_dispatch_ptr 0
		.amdhsa_user_sgpr_queue_ptr 0
		.amdhsa_user_sgpr_kernarg_segment_ptr 1
		.amdhsa_user_sgpr_dispatch_id 0
		.amdhsa_user_sgpr_kernarg_preload_length 0
		.amdhsa_user_sgpr_kernarg_preload_offset 0
		.amdhsa_user_sgpr_private_segment_size 0
		.amdhsa_wavefront_size32 1
		.amdhsa_uses_dynamic_stack 0
		.amdhsa_enable_private_segment 0
		.amdhsa_system_sgpr_workgroup_id_x 1
		.amdhsa_system_sgpr_workgroup_id_y 0
		.amdhsa_system_sgpr_workgroup_id_z 0
		.amdhsa_system_sgpr_workgroup_info 0
		.amdhsa_system_vgpr_workitem_id 0
		.amdhsa_next_free_vgpr 1
		.amdhsa_next_free_sgpr 1
		.amdhsa_named_barrier_count 0
		.amdhsa_reserve_vcc 0
		.amdhsa_float_round_mode_32 0
		.amdhsa_float_round_mode_16_64 0
		.amdhsa_float_denorm_mode_32 3
		.amdhsa_float_denorm_mode_16_64 3
		.amdhsa_fp16_overflow 0
		.amdhsa_memory_ordered 1
		.amdhsa_forward_progress 1
		.amdhsa_inst_pref_size 0
		.amdhsa_round_robin_scheduling 0
		.amdhsa_exception_fp_ieee_invalid_op 0
		.amdhsa_exception_fp_denorm_src 0
		.amdhsa_exception_fp_ieee_div_zero 0
		.amdhsa_exception_fp_ieee_overflow 0
		.amdhsa_exception_fp_ieee_underflow 0
		.amdhsa_exception_fp_ieee_inexact 0
		.amdhsa_exception_int_div_zero 0
	.end_amdhsa_kernel
	.section	.text._ZN7rocprim17ROCPRIM_400000_NS6detail17trampoline_kernelINS0_14default_configENS1_32segmented_reduce_config_selectorIfEEZNS1_21segmented_reduce_implIS3_PKfPfPKlfN6hipcub16HIPCUB_304000_NS6detail27convert_result_type_wrapperIS8_S9_N2at6native12_GLOBAL__N_19CustomMaxEEEEE10hipError_tPvRmT0_T1_jT2_SQ_T4_T3_P12ihipStream_tbEUlT_E_NS1_11comp_targetILNS1_3genE9ELNS1_11target_archE1100ELNS1_3gpuE3ELNS1_3repE0EEENS1_30default_config_static_selectorELNS0_4arch9wavefront6targetE0EEEvSP_,"axG",@progbits,_ZN7rocprim17ROCPRIM_400000_NS6detail17trampoline_kernelINS0_14default_configENS1_32segmented_reduce_config_selectorIfEEZNS1_21segmented_reduce_implIS3_PKfPfPKlfN6hipcub16HIPCUB_304000_NS6detail27convert_result_type_wrapperIS8_S9_N2at6native12_GLOBAL__N_19CustomMaxEEEEE10hipError_tPvRmT0_T1_jT2_SQ_T4_T3_P12ihipStream_tbEUlT_E_NS1_11comp_targetILNS1_3genE9ELNS1_11target_archE1100ELNS1_3gpuE3ELNS1_3repE0EEENS1_30default_config_static_selectorELNS0_4arch9wavefront6targetE0EEEvSP_,comdat
.Lfunc_end185:
	.size	_ZN7rocprim17ROCPRIM_400000_NS6detail17trampoline_kernelINS0_14default_configENS1_32segmented_reduce_config_selectorIfEEZNS1_21segmented_reduce_implIS3_PKfPfPKlfN6hipcub16HIPCUB_304000_NS6detail27convert_result_type_wrapperIS8_S9_N2at6native12_GLOBAL__N_19CustomMaxEEEEE10hipError_tPvRmT0_T1_jT2_SQ_T4_T3_P12ihipStream_tbEUlT_E_NS1_11comp_targetILNS1_3genE9ELNS1_11target_archE1100ELNS1_3gpuE3ELNS1_3repE0EEENS1_30default_config_static_selectorELNS0_4arch9wavefront6targetE0EEEvSP_, .Lfunc_end185-_ZN7rocprim17ROCPRIM_400000_NS6detail17trampoline_kernelINS0_14default_configENS1_32segmented_reduce_config_selectorIfEEZNS1_21segmented_reduce_implIS3_PKfPfPKlfN6hipcub16HIPCUB_304000_NS6detail27convert_result_type_wrapperIS8_S9_N2at6native12_GLOBAL__N_19CustomMaxEEEEE10hipError_tPvRmT0_T1_jT2_SQ_T4_T3_P12ihipStream_tbEUlT_E_NS1_11comp_targetILNS1_3genE9ELNS1_11target_archE1100ELNS1_3gpuE3ELNS1_3repE0EEENS1_30default_config_static_selectorELNS0_4arch9wavefront6targetE0EEEvSP_
                                        ; -- End function
	.set _ZN7rocprim17ROCPRIM_400000_NS6detail17trampoline_kernelINS0_14default_configENS1_32segmented_reduce_config_selectorIfEEZNS1_21segmented_reduce_implIS3_PKfPfPKlfN6hipcub16HIPCUB_304000_NS6detail27convert_result_type_wrapperIS8_S9_N2at6native12_GLOBAL__N_19CustomMaxEEEEE10hipError_tPvRmT0_T1_jT2_SQ_T4_T3_P12ihipStream_tbEUlT_E_NS1_11comp_targetILNS1_3genE9ELNS1_11target_archE1100ELNS1_3gpuE3ELNS1_3repE0EEENS1_30default_config_static_selectorELNS0_4arch9wavefront6targetE0EEEvSP_.num_vgpr, 0
	.set _ZN7rocprim17ROCPRIM_400000_NS6detail17trampoline_kernelINS0_14default_configENS1_32segmented_reduce_config_selectorIfEEZNS1_21segmented_reduce_implIS3_PKfPfPKlfN6hipcub16HIPCUB_304000_NS6detail27convert_result_type_wrapperIS8_S9_N2at6native12_GLOBAL__N_19CustomMaxEEEEE10hipError_tPvRmT0_T1_jT2_SQ_T4_T3_P12ihipStream_tbEUlT_E_NS1_11comp_targetILNS1_3genE9ELNS1_11target_archE1100ELNS1_3gpuE3ELNS1_3repE0EEENS1_30default_config_static_selectorELNS0_4arch9wavefront6targetE0EEEvSP_.num_agpr, 0
	.set _ZN7rocprim17ROCPRIM_400000_NS6detail17trampoline_kernelINS0_14default_configENS1_32segmented_reduce_config_selectorIfEEZNS1_21segmented_reduce_implIS3_PKfPfPKlfN6hipcub16HIPCUB_304000_NS6detail27convert_result_type_wrapperIS8_S9_N2at6native12_GLOBAL__N_19CustomMaxEEEEE10hipError_tPvRmT0_T1_jT2_SQ_T4_T3_P12ihipStream_tbEUlT_E_NS1_11comp_targetILNS1_3genE9ELNS1_11target_archE1100ELNS1_3gpuE3ELNS1_3repE0EEENS1_30default_config_static_selectorELNS0_4arch9wavefront6targetE0EEEvSP_.numbered_sgpr, 0
	.set _ZN7rocprim17ROCPRIM_400000_NS6detail17trampoline_kernelINS0_14default_configENS1_32segmented_reduce_config_selectorIfEEZNS1_21segmented_reduce_implIS3_PKfPfPKlfN6hipcub16HIPCUB_304000_NS6detail27convert_result_type_wrapperIS8_S9_N2at6native12_GLOBAL__N_19CustomMaxEEEEE10hipError_tPvRmT0_T1_jT2_SQ_T4_T3_P12ihipStream_tbEUlT_E_NS1_11comp_targetILNS1_3genE9ELNS1_11target_archE1100ELNS1_3gpuE3ELNS1_3repE0EEENS1_30default_config_static_selectorELNS0_4arch9wavefront6targetE0EEEvSP_.num_named_barrier, 0
	.set _ZN7rocprim17ROCPRIM_400000_NS6detail17trampoline_kernelINS0_14default_configENS1_32segmented_reduce_config_selectorIfEEZNS1_21segmented_reduce_implIS3_PKfPfPKlfN6hipcub16HIPCUB_304000_NS6detail27convert_result_type_wrapperIS8_S9_N2at6native12_GLOBAL__N_19CustomMaxEEEEE10hipError_tPvRmT0_T1_jT2_SQ_T4_T3_P12ihipStream_tbEUlT_E_NS1_11comp_targetILNS1_3genE9ELNS1_11target_archE1100ELNS1_3gpuE3ELNS1_3repE0EEENS1_30default_config_static_selectorELNS0_4arch9wavefront6targetE0EEEvSP_.private_seg_size, 0
	.set _ZN7rocprim17ROCPRIM_400000_NS6detail17trampoline_kernelINS0_14default_configENS1_32segmented_reduce_config_selectorIfEEZNS1_21segmented_reduce_implIS3_PKfPfPKlfN6hipcub16HIPCUB_304000_NS6detail27convert_result_type_wrapperIS8_S9_N2at6native12_GLOBAL__N_19CustomMaxEEEEE10hipError_tPvRmT0_T1_jT2_SQ_T4_T3_P12ihipStream_tbEUlT_E_NS1_11comp_targetILNS1_3genE9ELNS1_11target_archE1100ELNS1_3gpuE3ELNS1_3repE0EEENS1_30default_config_static_selectorELNS0_4arch9wavefront6targetE0EEEvSP_.uses_vcc, 0
	.set _ZN7rocprim17ROCPRIM_400000_NS6detail17trampoline_kernelINS0_14default_configENS1_32segmented_reduce_config_selectorIfEEZNS1_21segmented_reduce_implIS3_PKfPfPKlfN6hipcub16HIPCUB_304000_NS6detail27convert_result_type_wrapperIS8_S9_N2at6native12_GLOBAL__N_19CustomMaxEEEEE10hipError_tPvRmT0_T1_jT2_SQ_T4_T3_P12ihipStream_tbEUlT_E_NS1_11comp_targetILNS1_3genE9ELNS1_11target_archE1100ELNS1_3gpuE3ELNS1_3repE0EEENS1_30default_config_static_selectorELNS0_4arch9wavefront6targetE0EEEvSP_.uses_flat_scratch, 0
	.set _ZN7rocprim17ROCPRIM_400000_NS6detail17trampoline_kernelINS0_14default_configENS1_32segmented_reduce_config_selectorIfEEZNS1_21segmented_reduce_implIS3_PKfPfPKlfN6hipcub16HIPCUB_304000_NS6detail27convert_result_type_wrapperIS8_S9_N2at6native12_GLOBAL__N_19CustomMaxEEEEE10hipError_tPvRmT0_T1_jT2_SQ_T4_T3_P12ihipStream_tbEUlT_E_NS1_11comp_targetILNS1_3genE9ELNS1_11target_archE1100ELNS1_3gpuE3ELNS1_3repE0EEENS1_30default_config_static_selectorELNS0_4arch9wavefront6targetE0EEEvSP_.has_dyn_sized_stack, 0
	.set _ZN7rocprim17ROCPRIM_400000_NS6detail17trampoline_kernelINS0_14default_configENS1_32segmented_reduce_config_selectorIfEEZNS1_21segmented_reduce_implIS3_PKfPfPKlfN6hipcub16HIPCUB_304000_NS6detail27convert_result_type_wrapperIS8_S9_N2at6native12_GLOBAL__N_19CustomMaxEEEEE10hipError_tPvRmT0_T1_jT2_SQ_T4_T3_P12ihipStream_tbEUlT_E_NS1_11comp_targetILNS1_3genE9ELNS1_11target_archE1100ELNS1_3gpuE3ELNS1_3repE0EEENS1_30default_config_static_selectorELNS0_4arch9wavefront6targetE0EEEvSP_.has_recursion, 0
	.set _ZN7rocprim17ROCPRIM_400000_NS6detail17trampoline_kernelINS0_14default_configENS1_32segmented_reduce_config_selectorIfEEZNS1_21segmented_reduce_implIS3_PKfPfPKlfN6hipcub16HIPCUB_304000_NS6detail27convert_result_type_wrapperIS8_S9_N2at6native12_GLOBAL__N_19CustomMaxEEEEE10hipError_tPvRmT0_T1_jT2_SQ_T4_T3_P12ihipStream_tbEUlT_E_NS1_11comp_targetILNS1_3genE9ELNS1_11target_archE1100ELNS1_3gpuE3ELNS1_3repE0EEENS1_30default_config_static_selectorELNS0_4arch9wavefront6targetE0EEEvSP_.has_indirect_call, 0
	.section	.AMDGPU.csdata,"",@progbits
; Kernel info:
; codeLenInByte = 0
; TotalNumSgprs: 0
; NumVgprs: 0
; ScratchSize: 0
; MemoryBound: 0
; FloatMode: 240
; IeeeMode: 1
; LDSByteSize: 0 bytes/workgroup (compile time only)
; SGPRBlocks: 0
; VGPRBlocks: 0
; NumSGPRsForWavesPerEU: 1
; NumVGPRsForWavesPerEU: 1
; NamedBarCnt: 0
; Occupancy: 16
; WaveLimiterHint : 0
; COMPUTE_PGM_RSRC2:SCRATCH_EN: 0
; COMPUTE_PGM_RSRC2:USER_SGPR: 2
; COMPUTE_PGM_RSRC2:TRAP_HANDLER: 0
; COMPUTE_PGM_RSRC2:TGID_X_EN: 1
; COMPUTE_PGM_RSRC2:TGID_Y_EN: 0
; COMPUTE_PGM_RSRC2:TGID_Z_EN: 0
; COMPUTE_PGM_RSRC2:TIDIG_COMP_CNT: 0
	.section	.text._ZN7rocprim17ROCPRIM_400000_NS6detail17trampoline_kernelINS0_14default_configENS1_32segmented_reduce_config_selectorIfEEZNS1_21segmented_reduce_implIS3_PKfPfPKlfN6hipcub16HIPCUB_304000_NS6detail27convert_result_type_wrapperIS8_S9_N2at6native12_GLOBAL__N_19CustomMaxEEEEE10hipError_tPvRmT0_T1_jT2_SQ_T4_T3_P12ihipStream_tbEUlT_E_NS1_11comp_targetILNS1_3genE8ELNS1_11target_archE1030ELNS1_3gpuE2ELNS1_3repE0EEENS1_30default_config_static_selectorELNS0_4arch9wavefront6targetE0EEEvSP_,"axG",@progbits,_ZN7rocprim17ROCPRIM_400000_NS6detail17trampoline_kernelINS0_14default_configENS1_32segmented_reduce_config_selectorIfEEZNS1_21segmented_reduce_implIS3_PKfPfPKlfN6hipcub16HIPCUB_304000_NS6detail27convert_result_type_wrapperIS8_S9_N2at6native12_GLOBAL__N_19CustomMaxEEEEE10hipError_tPvRmT0_T1_jT2_SQ_T4_T3_P12ihipStream_tbEUlT_E_NS1_11comp_targetILNS1_3genE8ELNS1_11target_archE1030ELNS1_3gpuE2ELNS1_3repE0EEENS1_30default_config_static_selectorELNS0_4arch9wavefront6targetE0EEEvSP_,comdat
	.globl	_ZN7rocprim17ROCPRIM_400000_NS6detail17trampoline_kernelINS0_14default_configENS1_32segmented_reduce_config_selectorIfEEZNS1_21segmented_reduce_implIS3_PKfPfPKlfN6hipcub16HIPCUB_304000_NS6detail27convert_result_type_wrapperIS8_S9_N2at6native12_GLOBAL__N_19CustomMaxEEEEE10hipError_tPvRmT0_T1_jT2_SQ_T4_T3_P12ihipStream_tbEUlT_E_NS1_11comp_targetILNS1_3genE8ELNS1_11target_archE1030ELNS1_3gpuE2ELNS1_3repE0EEENS1_30default_config_static_selectorELNS0_4arch9wavefront6targetE0EEEvSP_ ; -- Begin function _ZN7rocprim17ROCPRIM_400000_NS6detail17trampoline_kernelINS0_14default_configENS1_32segmented_reduce_config_selectorIfEEZNS1_21segmented_reduce_implIS3_PKfPfPKlfN6hipcub16HIPCUB_304000_NS6detail27convert_result_type_wrapperIS8_S9_N2at6native12_GLOBAL__N_19CustomMaxEEEEE10hipError_tPvRmT0_T1_jT2_SQ_T4_T3_P12ihipStream_tbEUlT_E_NS1_11comp_targetILNS1_3genE8ELNS1_11target_archE1030ELNS1_3gpuE2ELNS1_3repE0EEENS1_30default_config_static_selectorELNS0_4arch9wavefront6targetE0EEEvSP_
	.p2align	8
	.type	_ZN7rocprim17ROCPRIM_400000_NS6detail17trampoline_kernelINS0_14default_configENS1_32segmented_reduce_config_selectorIfEEZNS1_21segmented_reduce_implIS3_PKfPfPKlfN6hipcub16HIPCUB_304000_NS6detail27convert_result_type_wrapperIS8_S9_N2at6native12_GLOBAL__N_19CustomMaxEEEEE10hipError_tPvRmT0_T1_jT2_SQ_T4_T3_P12ihipStream_tbEUlT_E_NS1_11comp_targetILNS1_3genE8ELNS1_11target_archE1030ELNS1_3gpuE2ELNS1_3repE0EEENS1_30default_config_static_selectorELNS0_4arch9wavefront6targetE0EEEvSP_,@function
_ZN7rocprim17ROCPRIM_400000_NS6detail17trampoline_kernelINS0_14default_configENS1_32segmented_reduce_config_selectorIfEEZNS1_21segmented_reduce_implIS3_PKfPfPKlfN6hipcub16HIPCUB_304000_NS6detail27convert_result_type_wrapperIS8_S9_N2at6native12_GLOBAL__N_19CustomMaxEEEEE10hipError_tPvRmT0_T1_jT2_SQ_T4_T3_P12ihipStream_tbEUlT_E_NS1_11comp_targetILNS1_3genE8ELNS1_11target_archE1030ELNS1_3gpuE2ELNS1_3repE0EEENS1_30default_config_static_selectorELNS0_4arch9wavefront6targetE0EEEvSP_: ; @_ZN7rocprim17ROCPRIM_400000_NS6detail17trampoline_kernelINS0_14default_configENS1_32segmented_reduce_config_selectorIfEEZNS1_21segmented_reduce_implIS3_PKfPfPKlfN6hipcub16HIPCUB_304000_NS6detail27convert_result_type_wrapperIS8_S9_N2at6native12_GLOBAL__N_19CustomMaxEEEEE10hipError_tPvRmT0_T1_jT2_SQ_T4_T3_P12ihipStream_tbEUlT_E_NS1_11comp_targetILNS1_3genE8ELNS1_11target_archE1030ELNS1_3gpuE2ELNS1_3repE0EEENS1_30default_config_static_selectorELNS0_4arch9wavefront6targetE0EEEvSP_
; %bb.0:
	.section	.rodata,"a",@progbits
	.p2align	6, 0x0
	.amdhsa_kernel _ZN7rocprim17ROCPRIM_400000_NS6detail17trampoline_kernelINS0_14default_configENS1_32segmented_reduce_config_selectorIfEEZNS1_21segmented_reduce_implIS3_PKfPfPKlfN6hipcub16HIPCUB_304000_NS6detail27convert_result_type_wrapperIS8_S9_N2at6native12_GLOBAL__N_19CustomMaxEEEEE10hipError_tPvRmT0_T1_jT2_SQ_T4_T3_P12ihipStream_tbEUlT_E_NS1_11comp_targetILNS1_3genE8ELNS1_11target_archE1030ELNS1_3gpuE2ELNS1_3repE0EEENS1_30default_config_static_selectorELNS0_4arch9wavefront6targetE0EEEvSP_
		.amdhsa_group_segment_fixed_size 0
		.amdhsa_private_segment_fixed_size 0
		.amdhsa_kernarg_size 48
		.amdhsa_user_sgpr_count 2
		.amdhsa_user_sgpr_dispatch_ptr 0
		.amdhsa_user_sgpr_queue_ptr 0
		.amdhsa_user_sgpr_kernarg_segment_ptr 1
		.amdhsa_user_sgpr_dispatch_id 0
		.amdhsa_user_sgpr_kernarg_preload_length 0
		.amdhsa_user_sgpr_kernarg_preload_offset 0
		.amdhsa_user_sgpr_private_segment_size 0
		.amdhsa_wavefront_size32 1
		.amdhsa_uses_dynamic_stack 0
		.amdhsa_enable_private_segment 0
		.amdhsa_system_sgpr_workgroup_id_x 1
		.amdhsa_system_sgpr_workgroup_id_y 0
		.amdhsa_system_sgpr_workgroup_id_z 0
		.amdhsa_system_sgpr_workgroup_info 0
		.amdhsa_system_vgpr_workitem_id 0
		.amdhsa_next_free_vgpr 1
		.amdhsa_next_free_sgpr 1
		.amdhsa_named_barrier_count 0
		.amdhsa_reserve_vcc 0
		.amdhsa_float_round_mode_32 0
		.amdhsa_float_round_mode_16_64 0
		.amdhsa_float_denorm_mode_32 3
		.amdhsa_float_denorm_mode_16_64 3
		.amdhsa_fp16_overflow 0
		.amdhsa_memory_ordered 1
		.amdhsa_forward_progress 1
		.amdhsa_inst_pref_size 0
		.amdhsa_round_robin_scheduling 0
		.amdhsa_exception_fp_ieee_invalid_op 0
		.amdhsa_exception_fp_denorm_src 0
		.amdhsa_exception_fp_ieee_div_zero 0
		.amdhsa_exception_fp_ieee_overflow 0
		.amdhsa_exception_fp_ieee_underflow 0
		.amdhsa_exception_fp_ieee_inexact 0
		.amdhsa_exception_int_div_zero 0
	.end_amdhsa_kernel
	.section	.text._ZN7rocprim17ROCPRIM_400000_NS6detail17trampoline_kernelINS0_14default_configENS1_32segmented_reduce_config_selectorIfEEZNS1_21segmented_reduce_implIS3_PKfPfPKlfN6hipcub16HIPCUB_304000_NS6detail27convert_result_type_wrapperIS8_S9_N2at6native12_GLOBAL__N_19CustomMaxEEEEE10hipError_tPvRmT0_T1_jT2_SQ_T4_T3_P12ihipStream_tbEUlT_E_NS1_11comp_targetILNS1_3genE8ELNS1_11target_archE1030ELNS1_3gpuE2ELNS1_3repE0EEENS1_30default_config_static_selectorELNS0_4arch9wavefront6targetE0EEEvSP_,"axG",@progbits,_ZN7rocprim17ROCPRIM_400000_NS6detail17trampoline_kernelINS0_14default_configENS1_32segmented_reduce_config_selectorIfEEZNS1_21segmented_reduce_implIS3_PKfPfPKlfN6hipcub16HIPCUB_304000_NS6detail27convert_result_type_wrapperIS8_S9_N2at6native12_GLOBAL__N_19CustomMaxEEEEE10hipError_tPvRmT0_T1_jT2_SQ_T4_T3_P12ihipStream_tbEUlT_E_NS1_11comp_targetILNS1_3genE8ELNS1_11target_archE1030ELNS1_3gpuE2ELNS1_3repE0EEENS1_30default_config_static_selectorELNS0_4arch9wavefront6targetE0EEEvSP_,comdat
.Lfunc_end186:
	.size	_ZN7rocprim17ROCPRIM_400000_NS6detail17trampoline_kernelINS0_14default_configENS1_32segmented_reduce_config_selectorIfEEZNS1_21segmented_reduce_implIS3_PKfPfPKlfN6hipcub16HIPCUB_304000_NS6detail27convert_result_type_wrapperIS8_S9_N2at6native12_GLOBAL__N_19CustomMaxEEEEE10hipError_tPvRmT0_T1_jT2_SQ_T4_T3_P12ihipStream_tbEUlT_E_NS1_11comp_targetILNS1_3genE8ELNS1_11target_archE1030ELNS1_3gpuE2ELNS1_3repE0EEENS1_30default_config_static_selectorELNS0_4arch9wavefront6targetE0EEEvSP_, .Lfunc_end186-_ZN7rocprim17ROCPRIM_400000_NS6detail17trampoline_kernelINS0_14default_configENS1_32segmented_reduce_config_selectorIfEEZNS1_21segmented_reduce_implIS3_PKfPfPKlfN6hipcub16HIPCUB_304000_NS6detail27convert_result_type_wrapperIS8_S9_N2at6native12_GLOBAL__N_19CustomMaxEEEEE10hipError_tPvRmT0_T1_jT2_SQ_T4_T3_P12ihipStream_tbEUlT_E_NS1_11comp_targetILNS1_3genE8ELNS1_11target_archE1030ELNS1_3gpuE2ELNS1_3repE0EEENS1_30default_config_static_selectorELNS0_4arch9wavefront6targetE0EEEvSP_
                                        ; -- End function
	.set _ZN7rocprim17ROCPRIM_400000_NS6detail17trampoline_kernelINS0_14default_configENS1_32segmented_reduce_config_selectorIfEEZNS1_21segmented_reduce_implIS3_PKfPfPKlfN6hipcub16HIPCUB_304000_NS6detail27convert_result_type_wrapperIS8_S9_N2at6native12_GLOBAL__N_19CustomMaxEEEEE10hipError_tPvRmT0_T1_jT2_SQ_T4_T3_P12ihipStream_tbEUlT_E_NS1_11comp_targetILNS1_3genE8ELNS1_11target_archE1030ELNS1_3gpuE2ELNS1_3repE0EEENS1_30default_config_static_selectorELNS0_4arch9wavefront6targetE0EEEvSP_.num_vgpr, 0
	.set _ZN7rocprim17ROCPRIM_400000_NS6detail17trampoline_kernelINS0_14default_configENS1_32segmented_reduce_config_selectorIfEEZNS1_21segmented_reduce_implIS3_PKfPfPKlfN6hipcub16HIPCUB_304000_NS6detail27convert_result_type_wrapperIS8_S9_N2at6native12_GLOBAL__N_19CustomMaxEEEEE10hipError_tPvRmT0_T1_jT2_SQ_T4_T3_P12ihipStream_tbEUlT_E_NS1_11comp_targetILNS1_3genE8ELNS1_11target_archE1030ELNS1_3gpuE2ELNS1_3repE0EEENS1_30default_config_static_selectorELNS0_4arch9wavefront6targetE0EEEvSP_.num_agpr, 0
	.set _ZN7rocprim17ROCPRIM_400000_NS6detail17trampoline_kernelINS0_14default_configENS1_32segmented_reduce_config_selectorIfEEZNS1_21segmented_reduce_implIS3_PKfPfPKlfN6hipcub16HIPCUB_304000_NS6detail27convert_result_type_wrapperIS8_S9_N2at6native12_GLOBAL__N_19CustomMaxEEEEE10hipError_tPvRmT0_T1_jT2_SQ_T4_T3_P12ihipStream_tbEUlT_E_NS1_11comp_targetILNS1_3genE8ELNS1_11target_archE1030ELNS1_3gpuE2ELNS1_3repE0EEENS1_30default_config_static_selectorELNS0_4arch9wavefront6targetE0EEEvSP_.numbered_sgpr, 0
	.set _ZN7rocprim17ROCPRIM_400000_NS6detail17trampoline_kernelINS0_14default_configENS1_32segmented_reduce_config_selectorIfEEZNS1_21segmented_reduce_implIS3_PKfPfPKlfN6hipcub16HIPCUB_304000_NS6detail27convert_result_type_wrapperIS8_S9_N2at6native12_GLOBAL__N_19CustomMaxEEEEE10hipError_tPvRmT0_T1_jT2_SQ_T4_T3_P12ihipStream_tbEUlT_E_NS1_11comp_targetILNS1_3genE8ELNS1_11target_archE1030ELNS1_3gpuE2ELNS1_3repE0EEENS1_30default_config_static_selectorELNS0_4arch9wavefront6targetE0EEEvSP_.num_named_barrier, 0
	.set _ZN7rocprim17ROCPRIM_400000_NS6detail17trampoline_kernelINS0_14default_configENS1_32segmented_reduce_config_selectorIfEEZNS1_21segmented_reduce_implIS3_PKfPfPKlfN6hipcub16HIPCUB_304000_NS6detail27convert_result_type_wrapperIS8_S9_N2at6native12_GLOBAL__N_19CustomMaxEEEEE10hipError_tPvRmT0_T1_jT2_SQ_T4_T3_P12ihipStream_tbEUlT_E_NS1_11comp_targetILNS1_3genE8ELNS1_11target_archE1030ELNS1_3gpuE2ELNS1_3repE0EEENS1_30default_config_static_selectorELNS0_4arch9wavefront6targetE0EEEvSP_.private_seg_size, 0
	.set _ZN7rocprim17ROCPRIM_400000_NS6detail17trampoline_kernelINS0_14default_configENS1_32segmented_reduce_config_selectorIfEEZNS1_21segmented_reduce_implIS3_PKfPfPKlfN6hipcub16HIPCUB_304000_NS6detail27convert_result_type_wrapperIS8_S9_N2at6native12_GLOBAL__N_19CustomMaxEEEEE10hipError_tPvRmT0_T1_jT2_SQ_T4_T3_P12ihipStream_tbEUlT_E_NS1_11comp_targetILNS1_3genE8ELNS1_11target_archE1030ELNS1_3gpuE2ELNS1_3repE0EEENS1_30default_config_static_selectorELNS0_4arch9wavefront6targetE0EEEvSP_.uses_vcc, 0
	.set _ZN7rocprim17ROCPRIM_400000_NS6detail17trampoline_kernelINS0_14default_configENS1_32segmented_reduce_config_selectorIfEEZNS1_21segmented_reduce_implIS3_PKfPfPKlfN6hipcub16HIPCUB_304000_NS6detail27convert_result_type_wrapperIS8_S9_N2at6native12_GLOBAL__N_19CustomMaxEEEEE10hipError_tPvRmT0_T1_jT2_SQ_T4_T3_P12ihipStream_tbEUlT_E_NS1_11comp_targetILNS1_3genE8ELNS1_11target_archE1030ELNS1_3gpuE2ELNS1_3repE0EEENS1_30default_config_static_selectorELNS0_4arch9wavefront6targetE0EEEvSP_.uses_flat_scratch, 0
	.set _ZN7rocprim17ROCPRIM_400000_NS6detail17trampoline_kernelINS0_14default_configENS1_32segmented_reduce_config_selectorIfEEZNS1_21segmented_reduce_implIS3_PKfPfPKlfN6hipcub16HIPCUB_304000_NS6detail27convert_result_type_wrapperIS8_S9_N2at6native12_GLOBAL__N_19CustomMaxEEEEE10hipError_tPvRmT0_T1_jT2_SQ_T4_T3_P12ihipStream_tbEUlT_E_NS1_11comp_targetILNS1_3genE8ELNS1_11target_archE1030ELNS1_3gpuE2ELNS1_3repE0EEENS1_30default_config_static_selectorELNS0_4arch9wavefront6targetE0EEEvSP_.has_dyn_sized_stack, 0
	.set _ZN7rocprim17ROCPRIM_400000_NS6detail17trampoline_kernelINS0_14default_configENS1_32segmented_reduce_config_selectorIfEEZNS1_21segmented_reduce_implIS3_PKfPfPKlfN6hipcub16HIPCUB_304000_NS6detail27convert_result_type_wrapperIS8_S9_N2at6native12_GLOBAL__N_19CustomMaxEEEEE10hipError_tPvRmT0_T1_jT2_SQ_T4_T3_P12ihipStream_tbEUlT_E_NS1_11comp_targetILNS1_3genE8ELNS1_11target_archE1030ELNS1_3gpuE2ELNS1_3repE0EEENS1_30default_config_static_selectorELNS0_4arch9wavefront6targetE0EEEvSP_.has_recursion, 0
	.set _ZN7rocprim17ROCPRIM_400000_NS6detail17trampoline_kernelINS0_14default_configENS1_32segmented_reduce_config_selectorIfEEZNS1_21segmented_reduce_implIS3_PKfPfPKlfN6hipcub16HIPCUB_304000_NS6detail27convert_result_type_wrapperIS8_S9_N2at6native12_GLOBAL__N_19CustomMaxEEEEE10hipError_tPvRmT0_T1_jT2_SQ_T4_T3_P12ihipStream_tbEUlT_E_NS1_11comp_targetILNS1_3genE8ELNS1_11target_archE1030ELNS1_3gpuE2ELNS1_3repE0EEENS1_30default_config_static_selectorELNS0_4arch9wavefront6targetE0EEEvSP_.has_indirect_call, 0
	.section	.AMDGPU.csdata,"",@progbits
; Kernel info:
; codeLenInByte = 0
; TotalNumSgprs: 0
; NumVgprs: 0
; ScratchSize: 0
; MemoryBound: 0
; FloatMode: 240
; IeeeMode: 1
; LDSByteSize: 0 bytes/workgroup (compile time only)
; SGPRBlocks: 0
; VGPRBlocks: 0
; NumSGPRsForWavesPerEU: 1
; NumVGPRsForWavesPerEU: 1
; NamedBarCnt: 0
; Occupancy: 16
; WaveLimiterHint : 0
; COMPUTE_PGM_RSRC2:SCRATCH_EN: 0
; COMPUTE_PGM_RSRC2:USER_SGPR: 2
; COMPUTE_PGM_RSRC2:TRAP_HANDLER: 0
; COMPUTE_PGM_RSRC2:TGID_X_EN: 1
; COMPUTE_PGM_RSRC2:TGID_Y_EN: 0
; COMPUTE_PGM_RSRC2:TGID_Z_EN: 0
; COMPUTE_PGM_RSRC2:TIDIG_COMP_CNT: 0
	.section	.text._ZN7rocprim17ROCPRIM_400000_NS6detail17trampoline_kernelINS0_14default_configENS1_32segmented_reduce_config_selectorIfEEZNS1_21segmented_reduce_implIS3_PKfPfPKlfN6hipcub16HIPCUB_304000_NS6detail27convert_result_type_wrapperIS8_S9_N2at6native12_GLOBAL__N_19CustomSumEEEEE10hipError_tPvRmT0_T1_jT2_SQ_T4_T3_P12ihipStream_tbEUlT_E_NS1_11comp_targetILNS1_3genE0ELNS1_11target_archE4294967295ELNS1_3gpuE0ELNS1_3repE0EEENS1_30default_config_static_selectorELNS0_4arch9wavefront6targetE0EEEvSP_,"axG",@progbits,_ZN7rocprim17ROCPRIM_400000_NS6detail17trampoline_kernelINS0_14default_configENS1_32segmented_reduce_config_selectorIfEEZNS1_21segmented_reduce_implIS3_PKfPfPKlfN6hipcub16HIPCUB_304000_NS6detail27convert_result_type_wrapperIS8_S9_N2at6native12_GLOBAL__N_19CustomSumEEEEE10hipError_tPvRmT0_T1_jT2_SQ_T4_T3_P12ihipStream_tbEUlT_E_NS1_11comp_targetILNS1_3genE0ELNS1_11target_archE4294967295ELNS1_3gpuE0ELNS1_3repE0EEENS1_30default_config_static_selectorELNS0_4arch9wavefront6targetE0EEEvSP_,comdat
	.globl	_ZN7rocprim17ROCPRIM_400000_NS6detail17trampoline_kernelINS0_14default_configENS1_32segmented_reduce_config_selectorIfEEZNS1_21segmented_reduce_implIS3_PKfPfPKlfN6hipcub16HIPCUB_304000_NS6detail27convert_result_type_wrapperIS8_S9_N2at6native12_GLOBAL__N_19CustomSumEEEEE10hipError_tPvRmT0_T1_jT2_SQ_T4_T3_P12ihipStream_tbEUlT_E_NS1_11comp_targetILNS1_3genE0ELNS1_11target_archE4294967295ELNS1_3gpuE0ELNS1_3repE0EEENS1_30default_config_static_selectorELNS0_4arch9wavefront6targetE0EEEvSP_ ; -- Begin function _ZN7rocprim17ROCPRIM_400000_NS6detail17trampoline_kernelINS0_14default_configENS1_32segmented_reduce_config_selectorIfEEZNS1_21segmented_reduce_implIS3_PKfPfPKlfN6hipcub16HIPCUB_304000_NS6detail27convert_result_type_wrapperIS8_S9_N2at6native12_GLOBAL__N_19CustomSumEEEEE10hipError_tPvRmT0_T1_jT2_SQ_T4_T3_P12ihipStream_tbEUlT_E_NS1_11comp_targetILNS1_3genE0ELNS1_11target_archE4294967295ELNS1_3gpuE0ELNS1_3repE0EEENS1_30default_config_static_selectorELNS0_4arch9wavefront6targetE0EEEvSP_
	.p2align	8
	.type	_ZN7rocprim17ROCPRIM_400000_NS6detail17trampoline_kernelINS0_14default_configENS1_32segmented_reduce_config_selectorIfEEZNS1_21segmented_reduce_implIS3_PKfPfPKlfN6hipcub16HIPCUB_304000_NS6detail27convert_result_type_wrapperIS8_S9_N2at6native12_GLOBAL__N_19CustomSumEEEEE10hipError_tPvRmT0_T1_jT2_SQ_T4_T3_P12ihipStream_tbEUlT_E_NS1_11comp_targetILNS1_3genE0ELNS1_11target_archE4294967295ELNS1_3gpuE0ELNS1_3repE0EEENS1_30default_config_static_selectorELNS0_4arch9wavefront6targetE0EEEvSP_,@function
_ZN7rocprim17ROCPRIM_400000_NS6detail17trampoline_kernelINS0_14default_configENS1_32segmented_reduce_config_selectorIfEEZNS1_21segmented_reduce_implIS3_PKfPfPKlfN6hipcub16HIPCUB_304000_NS6detail27convert_result_type_wrapperIS8_S9_N2at6native12_GLOBAL__N_19CustomSumEEEEE10hipError_tPvRmT0_T1_jT2_SQ_T4_T3_P12ihipStream_tbEUlT_E_NS1_11comp_targetILNS1_3genE0ELNS1_11target_archE4294967295ELNS1_3gpuE0ELNS1_3repE0EEENS1_30default_config_static_selectorELNS0_4arch9wavefront6targetE0EEEvSP_: ; @_ZN7rocprim17ROCPRIM_400000_NS6detail17trampoline_kernelINS0_14default_configENS1_32segmented_reduce_config_selectorIfEEZNS1_21segmented_reduce_implIS3_PKfPfPKlfN6hipcub16HIPCUB_304000_NS6detail27convert_result_type_wrapperIS8_S9_N2at6native12_GLOBAL__N_19CustomSumEEEEE10hipError_tPvRmT0_T1_jT2_SQ_T4_T3_P12ihipStream_tbEUlT_E_NS1_11comp_targetILNS1_3genE0ELNS1_11target_archE4294967295ELNS1_3gpuE0ELNS1_3repE0EEENS1_30default_config_static_selectorELNS0_4arch9wavefront6targetE0EEEvSP_
; %bb.0:
	s_clause 0x1
	s_load_b256 s[16:23], s[0:1], 0x0
	s_load_b64 s[2:3], s[0:1], 0x20
	s_bfe_u32 s4, ttmp6, 0x4000c
	s_and_b32 s5, ttmp6, 15
	s_add_co_i32 s4, s4, 1
	s_getreg_b32 s6, hwreg(HW_REG_IB_STS2, 6, 4)
	s_mul_i32 s4, ttmp9, s4
	s_load_b32 s15, s[0:1], 0x2c
	s_add_co_i32 s7, s5, s4
	s_mov_b32 s30, 0
	s_wait_kmcnt 0x0
	s_lshl_b64 s[0:1], s[20:21], 3
	s_cmp_eq_u32 s6, 0
	s_add_nc_u64 s[4:5], s[22:23], s[0:1]
	s_cselect_b32 s22, ttmp9, s7
	s_add_nc_u64 s[0:1], s[2:3], s[0:1]
	s_load_b64 s[26:27], s[4:5], s22 offset:0x0 scale_offset
	s_load_b64 s[24:25], s[0:1], s22 offset:0x0 scale_offset
	s_mov_b32 s23, 0
	s_wait_xcnt 0x0
	s_mov_b32 s1, -1
	s_wait_kmcnt 0x0
	v_cmp_gt_i64_e64 s0, s[24:25], s[26:27]
	s_and_b32 vcc_lo, exec_lo, s0
	v_cmp_eq_u32_e64 s0, 0, v0
	s_cbranch_vccnz .LBB187_2
; %bb.1:
	s_mov_b32 s1, 0
	s_and_b32 s30, s0, exec_lo
.LBB187_2:
	s_and_not1_b32 vcc_lo, exec_lo, s1
	s_cbranch_vccnz .LBB187_44
; %bb.3:
	s_add_nc_u64 s[0:1], s[26:27], 0x1000
	s_delay_alu instid0(SALU_CYCLE_1)
	v_cmp_le_i64_e64 s2, s[0:1], s[24:25]
	s_and_b32 vcc_lo, exec_lo, s2
	s_cbranch_vccz .LBB187_45
; %bb.4:
	s_lshl_b64 s[2:3], s[26:27], 2
	s_add_nc_u64 s[4:5], s[26:27], 0x2000
	s_add_nc_u64 s[2:3], s[16:17], s[2:3]
	v_cmp_ge_i64_e64 s4, s[4:5], s[24:25]
	s_clause 0x7
	global_load_b32 v8, v0, s[2:3] scale_offset
	global_load_b32 v1, v0, s[2:3] offset:1024 scale_offset
	global_load_b32 v2, v0, s[2:3] offset:2048 scale_offset
	;; [unrolled: 1-line block ×7, first 2 shown]
	s_and_b32 vcc_lo, exec_lo, s4
	s_wait_loadcnt 0x6
	v_add_f32_e32 v9, v8, v1
	s_wait_loadcnt 0x5
	s_delay_alu instid0(VALU_DEP_1) | instskip(SKIP_1) | instid1(VALU_DEP_1)
	v_add_f32_e32 v9, v9, v2
	s_wait_loadcnt 0x4
	v_add_f32_e32 v9, v9, v3
	s_wait_loadcnt 0x3
	s_delay_alu instid0(VALU_DEP_1) | instskip(SKIP_1) | instid1(VALU_DEP_1)
	v_add_f32_e32 v9, v9, v4
	;; [unrolled: 5-line block ×3, first 2 shown]
	s_wait_loadcnt 0x0
	v_add_f32_e32 v17, v9, v7
	s_clause 0x7
	global_load_b32 v16, v0, s[2:3] offset:8192 scale_offset
	global_load_b32 v9, v0, s[2:3] offset:9216 scale_offset
	global_load_b32 v10, v0, s[2:3] offset:10240 scale_offset
	global_load_b32 v11, v0, s[2:3] offset:11264 scale_offset
	global_load_b32 v12, v0, s[2:3] offset:12288 scale_offset
	global_load_b32 v13, v0, s[2:3] offset:13312 scale_offset
	global_load_b32 v14, v0, s[2:3] offset:14336 scale_offset
	global_load_b32 v15, v0, s[2:3] offset:15360 scale_offset
	s_wait_loadcnt 0x7
	v_add_f32_e32 v17, v17, v16
	s_wait_loadcnt 0x6
	s_delay_alu instid0(VALU_DEP_1) | instskip(SKIP_1) | instid1(VALU_DEP_1)
	v_add_f32_e32 v17, v17, v9
	s_wait_loadcnt 0x5
	v_add_f32_e32 v17, v17, v10
	s_wait_loadcnt 0x4
	s_delay_alu instid0(VALU_DEP_1) | instskip(SKIP_1) | instid1(VALU_DEP_1)
	v_add_f32_e32 v17, v17, v11
	;; [unrolled: 5-line block ×3, first 2 shown]
	s_wait_loadcnt 0x1
	v_add_f32_e32 v17, v17, v14
	s_wait_loadcnt 0x0
	s_delay_alu instid0(VALU_DEP_1)
	v_dual_add_f32 v20, v17, v15 :: v_dual_mov_b32 v17, 0
	s_cbranch_vccnz .LBB187_7
; %bb.5:
	v_lshlrev_b32_e32 v16, 2, v0
	s_delay_alu instid0(VALU_DEP_1) | instskip(NEXT) | instid1(VALU_DEP_1)
	v_add_nc_u64_e32 v[2:3], s[2:3], v[16:17]
	v_add_nc_u64_e32 v[18:19], 0x4000, v[2:3]
.LBB187_6:                              ; =>This Inner Loop Header: Depth=1
	s_clause 0x7
	global_load_b32 v8, v[18:19], off
	global_load_b32 v1, v[18:19], off offset:1024
	global_load_b32 v2, v[18:19], off offset:2048
	;; [unrolled: 1-line block ×7, first 2 shown]
	s_add_nc_u64 s[2:3], s[0:1], 0x2000
	s_add_nc_u64 s[0:1], s[0:1], 0x1000
	v_cmp_lt_i64_e64 s2, s[2:3], s[24:25]
	s_and_b32 vcc_lo, exec_lo, s2
	s_wait_loadcnt 0x7
	v_add_f32_e32 v9, v20, v8
	s_wait_loadcnt 0x6
	s_delay_alu instid0(VALU_DEP_1) | instskip(SKIP_1) | instid1(VALU_DEP_1)
	v_add_f32_e32 v9, v9, v1
	s_wait_loadcnt 0x5
	v_add_f32_e32 v9, v9, v2
	s_wait_loadcnt 0x4
	s_delay_alu instid0(VALU_DEP_1) | instskip(SKIP_1) | instid1(VALU_DEP_1)
	v_add_f32_e32 v9, v9, v3
	;; [unrolled: 5-line block ×3, first 2 shown]
	s_wait_loadcnt 0x1
	v_add_f32_e32 v9, v9, v6
	s_wait_loadcnt 0x0
	s_delay_alu instid0(VALU_DEP_1)
	v_add_f32_e32 v17, v9, v7
	s_clause 0x7
	global_load_b32 v16, v[18:19], off offset:8192
	global_load_b32 v9, v[18:19], off offset:9216
	;; [unrolled: 1-line block ×8, first 2 shown]
	s_wait_xcnt 0x0
	v_add_nc_u64_e32 v[18:19], 0x4000, v[18:19]
	s_wait_loadcnt 0x7
	v_add_f32_e32 v17, v17, v16
	s_wait_loadcnt 0x6
	s_delay_alu instid0(VALU_DEP_1) | instskip(SKIP_1) | instid1(VALU_DEP_1)
	v_add_f32_e32 v17, v17, v9
	s_wait_loadcnt 0x5
	v_add_f32_e32 v17, v17, v10
	s_wait_loadcnt 0x4
	s_delay_alu instid0(VALU_DEP_1) | instskip(SKIP_1) | instid1(VALU_DEP_1)
	v_add_f32_e32 v17, v17, v11
	;; [unrolled: 5-line block ×3, first 2 shown]
	s_wait_loadcnt 0x1
	v_add_f32_e32 v17, v17, v14
	s_wait_loadcnt 0x0
	s_delay_alu instid0(VALU_DEP_1)
	v_add_f32_e32 v20, v17, v15
	s_cbranch_vccnz .LBB187_6
.LBB187_7:
	s_sub_co_i32 s14, s24, s0
	s_lshl_b64 s[0:1], s[0:1], 2
	v_cmp_gt_u32_e32 vcc_lo, s14, v0
	s_add_nc_u64 s[28:29], s[16:17], s[0:1]
	s_and_saveexec_b32 s0, vcc_lo
	s_cbranch_execz .LBB187_9
; %bb.8:
	global_load_b32 v8, v0, s[28:29] scale_offset
.LBB187_9:
	s_wait_xcnt 0x0
	s_or_b32 exec_lo, exec_lo, s0
	v_or_b32_e32 v17, 0x100, v0
	s_delay_alu instid0(VALU_DEP_1)
	v_cmp_gt_u32_e64 s0, s14, v17
	s_and_saveexec_b32 s1, s0
	s_cbranch_execz .LBB187_11
; %bb.10:
	global_load_b32 v1, v0, s[28:29] offset:1024 scale_offset
.LBB187_11:
	s_wait_xcnt 0x0
	s_or_b32 exec_lo, exec_lo, s1
	v_or_b32_e32 v17, 0x200, v0
	s_delay_alu instid0(VALU_DEP_1)
	v_cmp_gt_u32_e64 s1, s14, v17
	s_and_saveexec_b32 s2, s1
	s_cbranch_execz .LBB187_13
; %bb.12:
	global_load_b32 v2, v0, s[28:29] offset:2048 scale_offset
.LBB187_13:
	;; [unrolled: 10-line block ×15, first 2 shown]
	s_wait_xcnt 0x0
	s_or_b32 exec_lo, exec_lo, s31
	s_wait_loadcnt 0x0
	v_add_f32_e32 v8, v20, v8
	s_delay_alu instid0(VALU_DEP_1) | instskip(NEXT) | instid1(VALU_DEP_1)
	v_cndmask_b32_e32 v8, v20, v8, vcc_lo
	v_add_f32_e32 v1, v1, v8
	s_delay_alu instid0(VALU_DEP_1) | instskip(SKIP_1) | instid1(VALU_DEP_1)
	v_cndmask_b32_e64 v1, v8, v1, s0
	s_mov_b32 s0, exec_lo
	v_add_f32_e32 v2, v2, v1
	s_delay_alu instid0(VALU_DEP_1) | instskip(NEXT) | instid1(VALU_DEP_1)
	v_cndmask_b32_e64 v1, v1, v2, s1
	v_add_f32_e32 v2, v3, v1
	s_delay_alu instid0(VALU_DEP_1) | instskip(NEXT) | instid1(VALU_DEP_1)
	v_cndmask_b32_e64 v1, v1, v2, s2
	;; [unrolled: 3-line block ×14, first 2 shown]
	v_mov_b32_dpp v2, v1 quad_perm:[1,0,3,2] row_mask:0xf bank_mask:0xf
	s_delay_alu instid0(VALU_DEP_1) | instskip(NEXT) | instid1(VALU_DEP_1)
	v_add_f32_e32 v1, v1, v2
	v_mov_b32_dpp v2, v1 quad_perm:[2,3,0,1] row_mask:0xf bank_mask:0xf
	s_delay_alu instid0(VALU_DEP_1) | instskip(NEXT) | instid1(VALU_DEP_1)
	v_add_f32_e32 v1, v1, v2
	v_mov_b32_dpp v2, v1 row_ror:4 row_mask:0xf bank_mask:0xf
	s_delay_alu instid0(VALU_DEP_1) | instskip(NEXT) | instid1(VALU_DEP_1)
	v_add_f32_e32 v1, v1, v2
	v_mov_b32_dpp v2, v1 row_ror:8 row_mask:0xf bank_mask:0xf
	s_delay_alu instid0(VALU_DEP_1)
	v_add_f32_e32 v1, v1, v2
	ds_swizzle_b32 v2, v1 offset:swizzle(BROADCAST,32,15)
	s_wait_dscnt 0x0
	v_dual_add_f32 v1, v1, v2 :: v_dual_mov_b32 v2, 0
	ds_bpermute_b32 v3, v2, v1 offset:124
	v_mbcnt_lo_u32_b32 v1, -1, 0
	s_delay_alu instid0(VALU_DEP_1)
	v_cmpx_eq_u32_e32 0, v1
	s_cbranch_execz .LBB187_41
; %bb.40:
	v_lshrrev_b32_e32 v2, 3, v0
	s_delay_alu instid0(VALU_DEP_1)
	v_and_b32_e32 v2, 28, v2
	s_wait_dscnt 0x0
	ds_store_b32 v2, v3
.LBB187_41:
	s_or_b32 exec_lo, exec_lo, s0
	s_delay_alu instid0(SALU_CYCLE_1)
	s_mov_b32 s0, exec_lo
	s_wait_dscnt 0x0
	s_barrier_signal -1
	s_barrier_wait -1
	v_cmpx_gt_u32_e32 32, v0
	s_cbranch_execz .LBB187_43
; %bb.42:
	v_and_b32_e32 v2, 7, v1
	s_delay_alu instid0(VALU_DEP_1) | instskip(SKIP_1) | instid1(VALU_DEP_1)
	v_cmp_ne_u32_e32 vcc_lo, 7, v2
	v_add_co_ci_u32_e64 v4, null, 0, v1, vcc_lo
	v_lshlrev_b32_e32 v4, 2, v4
	v_cmp_gt_u32_e32 vcc_lo, 6, v2
	v_lshlrev_b32_e32 v3, 2, v2
	v_cndmask_b32_e64 v2, 0, 2, vcc_lo
	s_delay_alu instid0(VALU_DEP_1)
	v_add_lshl_u32 v2, v2, v1, 2
	v_lshlrev_b32_e32 v1, 2, v1
	ds_load_b32 v3, v3
	v_or_b32_e32 v1, 16, v1
	s_wait_dscnt 0x0
	ds_bpermute_b32 v4, v4, v3
	s_wait_dscnt 0x0
	v_add_f32_e32 v3, v3, v4
	ds_bpermute_b32 v2, v2, v3
	s_wait_dscnt 0x0
	v_add_f32_e32 v2, v3, v2
	;; [unrolled: 3-line block ×3, first 2 shown]
.LBB187_43:
	s_or_b32 exec_lo, exec_lo, s0
	s_branch .LBB187_64
.LBB187_44:
	v_mov_b32_e32 v1, s15
	s_and_saveexec_b32 s0, s30
	s_cbranch_execnz .LBB187_67
	s_branch .LBB187_68
.LBB187_45:
                                        ; implicit-def: $vgpr3
	s_cbranch_execz .LBB187_64
; %bb.46:
	s_sub_co_i32 s2, s24, s26
	s_mov_b32 s0, exec_lo
                                        ; implicit-def: $vgpr1
	v_cmpx_gt_u32_e64 s2, v0
	s_cbranch_execz .LBB187_52
; %bb.47:
	v_mov_b32_e32 v1, 0
	s_mov_b32 s1, exec_lo
	s_delay_alu instid0(VALU_DEP_1) | instskip(NEXT) | instid1(VALU_DEP_1)
	v_add_nc_u64_e32 v[2:3], s[26:27], v[0:1]
	v_lshl_add_u64 v[4:5], v[2:3], 2, s[16:17]
	v_add_nc_u64_e32 v[2:3], 0x100, v[2:3]
	global_load_b32 v1, v[4:5], off
	s_wait_xcnt 0x0
	v_cmpx_gt_i64_e64 s[24:25], v[2:3]
	s_cbranch_execz .LBB187_51
; %bb.48:
	v_add_nc_u64_e32 v[4:5], 0x400, v[4:5]
	s_mov_b32 s3, 0
.LBB187_49:                             ; =>This Inner Loop Header: Depth=1
	global_load_b32 v6, v[4:5], off
	v_add_nc_u64_e32 v[2:3], 0x100, v[2:3]
	s_wait_xcnt 0x0
	v_add_nc_u64_e32 v[4:5], 0x400, v[4:5]
	s_delay_alu instid0(VALU_DEP_2)
	v_cmp_le_i64_e32 vcc_lo, s[24:25], v[2:3]
	s_or_b32 s3, vcc_lo, s3
	s_wait_loadcnt 0x0
	v_add_f32_e32 v1, v1, v6
	s_and_not1_b32 exec_lo, exec_lo, s3
	s_cbranch_execnz .LBB187_49
; %bb.50:
	s_or_b32 exec_lo, exec_lo, s3
.LBB187_51:
	s_delay_alu instid0(SALU_CYCLE_1)
	s_or_b32 exec_lo, exec_lo, s1
.LBB187_52:
	s_delay_alu instid0(SALU_CYCLE_1) | instskip(SKIP_3) | instid1(VALU_DEP_1)
	s_or_b32 exec_lo, exec_lo, s0
	v_mbcnt_lo_u32_b32 v2, -1, 0
	s_cmp_lt_u32 s2, 0x100
	s_mov_b32 s0, -1
                                        ; implicit-def: $vgpr3
	v_cmp_eq_u32_e32 vcc_lo, 0, v2
	s_cbranch_scc0 .LBB187_58
; %bb.53:
	v_cmp_ne_u32_e64 s0, 31, v2
	v_and_b32_e32 v4, 0xe0, v0
	v_cmp_gt_u32_e64 s1, 28, v2
	v_add_nc_u32_e32 v5, 1, v2
	s_delay_alu instid0(VALU_DEP_4) | instskip(SKIP_2) | instid1(VALU_DEP_3)
	v_add_co_ci_u32_e64 v3, null, 0, v2, s0
	v_cmp_gt_u32_e64 s0, 30, v2
	v_sub_nc_u32_e64 v7, s2, v4 clamp
	v_lshlrev_b32_e32 v3, 2, v3
	s_delay_alu instid0(VALU_DEP_3) | instskip(NEXT) | instid1(VALU_DEP_3)
	v_cndmask_b32_e64 v6, 0, 2, s0
	v_cmp_lt_u32_e64 s0, v5, v7
	v_cndmask_b32_e64 v5, 0, 4, s1
	s_wait_loadcnt 0x0
	ds_bpermute_b32 v3, v3, v1
	v_add_lshl_u32 v4, v6, v2, 2
	v_add_nc_u32_e32 v6, 2, v2
	v_add_lshl_u32 v5, v5, v2, 2
	s_delay_alu instid0(VALU_DEP_2) | instskip(SKIP_2) | instid1(VALU_DEP_1)
	v_cmp_lt_u32_e64 s1, v6, v7
	s_wait_dscnt 0x0
	v_dual_add_f32 v3, v1, v3 :: v_dual_add_nc_u32 v6, 4, v2
	v_cndmask_b32_e64 v3, v1, v3, s0
	ds_bpermute_b32 v4, v4, v3
	s_wait_dscnt 0x0
	v_add_f32_e32 v4, v3, v4
	s_delay_alu instid0(VALU_DEP_1) | instskip(SKIP_4) | instid1(VALU_DEP_2)
	v_cndmask_b32_e64 v3, v3, v4, s1
	v_cmp_gt_u32_e64 s1, 24, v2
	ds_bpermute_b32 v4, v5, v3
	v_cndmask_b32_e64 v5, 0, 8, s1
	v_cmp_lt_u32_e64 s1, v6, v7
	v_add_lshl_u32 v5, v5, v2, 2
	s_wait_dscnt 0x0
	v_add_f32_e32 v4, v3, v4
	s_delay_alu instid0(VALU_DEP_1) | instskip(SKIP_2) | instid1(VALU_DEP_1)
	v_cndmask_b32_e64 v3, v3, v4, s1
	ds_bpermute_b32 v4, v5, v3
	v_add_nc_u32_e32 v5, 8, v2
	v_cmp_lt_u32_e64 s1, v5, v7
	s_wait_dscnt 0x0
	v_dual_add_f32 v6, v3, v4 :: v_dual_lshlrev_b32 v4, 2, v2
	s_delay_alu instid0(VALU_DEP_1) | instskip(SKIP_3) | instid1(VALU_DEP_1)
	v_dual_cndmask_b32 v3, v3, v6, s1 :: v_dual_bitop2_b32 v5, 64, v4 bitop3:0x54
	ds_bpermute_b32 v5, v5, v3
	s_wait_dscnt 0x0
	v_dual_add_f32 v5, v3, v5 :: v_dual_add_nc_u32 v6, 16, v2
	v_cmp_lt_u32_e64 s1, v6, v7
	s_delay_alu instid0(VALU_DEP_1) | instskip(NEXT) | instid1(VALU_DEP_1)
	v_cndmask_b32_e64 v3, v3, v5, s1
	v_cndmask_b32_e64 v3, v1, v3, s0
	s_and_saveexec_b32 s0, vcc_lo
; %bb.54:
	v_lshrrev_b32_e32 v5, 3, v0
	s_delay_alu instid0(VALU_DEP_1)
	v_and_b32_e32 v5, 28, v5
	ds_store_b32 v5, v3
; %bb.55:
	s_or_b32 exec_lo, exec_lo, s0
	s_delay_alu instid0(SALU_CYCLE_1)
	s_mov_b32 s1, exec_lo
	s_wait_dscnt 0x0
	s_barrier_signal -1
	s_barrier_wait -1
	v_cmpx_gt_u32_e32 8, v0
	s_cbranch_execz .LBB187_57
; %bb.56:
	ds_load_b32 v3, v4
	v_and_b32_e32 v5, 7, v2
	s_add_co_i32 s2, s2, 31
	v_or_b32_e32 v4, 16, v4
	s_lshr_b32 s2, s2, 5
	s_delay_alu instid0(VALU_DEP_2) | instskip(SKIP_3) | instid1(VALU_DEP_2)
	v_cmp_ne_u32_e32 vcc_lo, 7, v5
	v_add_nc_u32_e32 v8, 1, v5
	v_add_co_ci_u32_e64 v6, null, 0, v2, vcc_lo
	v_cmp_gt_u32_e32 vcc_lo, 6, v5
	v_lshlrev_b32_e32 v6, 2, v6
	v_cndmask_b32_e64 v7, 0, 2, vcc_lo
	v_cmp_gt_u32_e32 vcc_lo, s2, v8
	s_wait_dscnt 0x0
	ds_bpermute_b32 v6, v6, v3
	v_add_lshl_u32 v7, v7, v2, 2
	s_wait_dscnt 0x0
	v_add_f32_e32 v6, v3, v6
	s_delay_alu instid0(VALU_DEP_1) | instskip(SKIP_4) | instid1(VALU_DEP_2)
	v_cndmask_b32_e32 v6, v3, v6, vcc_lo
	ds_bpermute_b32 v7, v7, v6
	s_wait_dscnt 0x0
	v_dual_add_f32 v7, v6, v7 :: v_dual_add_nc_u32 v8, 2, v5
	v_add_nc_u32_e32 v5, 4, v5
	v_cmp_gt_u32_e64 s0, s2, v8
	s_delay_alu instid0(VALU_DEP_1) | instskip(NEXT) | instid1(VALU_DEP_3)
	v_cndmask_b32_e64 v6, v6, v7, s0
	v_cmp_gt_u32_e64 s0, s2, v5
	ds_bpermute_b32 v4, v4, v6
	s_wait_dscnt 0x0
	v_add_f32_e32 v4, v6, v4
	s_delay_alu instid0(VALU_DEP_1) | instskip(NEXT) | instid1(VALU_DEP_1)
	v_cndmask_b32_e64 v4, v6, v4, s0
	v_cndmask_b32_e32 v3, v3, v4, vcc_lo
.LBB187_57:
	s_or_b32 exec_lo, exec_lo, s1
	s_mov_b32 s0, 0
.LBB187_58:
	s_delay_alu instid0(SALU_CYCLE_1)
	s_and_b32 vcc_lo, exec_lo, s0
	s_cbranch_vccz .LBB187_64
; %bb.59:
	s_wait_loadcnt 0x0
	v_mov_b32_dpp v3, v1 quad_perm:[1,0,3,2] row_mask:0xf bank_mask:0xf
	s_mov_b32 s0, exec_lo
	s_delay_alu instid0(VALU_DEP_1) | instskip(NEXT) | instid1(VALU_DEP_1)
	v_add_f32_e32 v1, v1, v3
	v_mov_b32_dpp v3, v1 quad_perm:[2,3,0,1] row_mask:0xf bank_mask:0xf
	s_delay_alu instid0(VALU_DEP_1) | instskip(NEXT) | instid1(VALU_DEP_1)
	v_add_f32_e32 v1, v1, v3
	v_mov_b32_dpp v3, v1 row_ror:4 row_mask:0xf bank_mask:0xf
	s_delay_alu instid0(VALU_DEP_1) | instskip(NEXT) | instid1(VALU_DEP_1)
	v_add_f32_e32 v1, v1, v3
	v_mov_b32_dpp v3, v1 row_ror:8 row_mask:0xf bank_mask:0xf
	s_delay_alu instid0(VALU_DEP_1)
	v_add_f32_e32 v1, v1, v3
	ds_swizzle_b32 v3, v1 offset:swizzle(BROADCAST,32,15)
	s_wait_dscnt 0x0
	v_dual_add_f32 v1, v1, v3 :: v_dual_mov_b32 v3, 0
	ds_bpermute_b32 v3, v3, v1 offset:124
	v_cmpx_eq_u32_e32 0, v2
	s_cbranch_execz .LBB187_61
; %bb.60:
	v_lshrrev_b32_e32 v1, 3, v0
	s_delay_alu instid0(VALU_DEP_1)
	v_and_b32_e32 v1, 28, v1
	s_wait_dscnt 0x0
	ds_store_b32 v1, v3
.LBB187_61:
	s_or_b32 exec_lo, exec_lo, s0
	s_delay_alu instid0(SALU_CYCLE_1)
	s_mov_b32 s0, exec_lo
	s_wait_dscnt 0x0
	s_barrier_signal -1
	s_barrier_wait -1
	v_cmpx_gt_u32_e32 32, v0
	s_cbranch_execz .LBB187_63
; %bb.62:
	v_and_b32_e32 v1, 7, v2
	s_delay_alu instid0(VALU_DEP_1) | instskip(SKIP_1) | instid1(VALU_DEP_1)
	v_cmp_ne_u32_e32 vcc_lo, 7, v1
	v_add_co_ci_u32_e64 v4, null, 0, v2, vcc_lo
	v_lshlrev_b32_e32 v4, 2, v4
	v_cmp_gt_u32_e32 vcc_lo, 6, v1
	v_lshlrev_b32_e32 v3, 2, v1
	v_cndmask_b32_e64 v1, 0, 2, vcc_lo
	s_delay_alu instid0(VALU_DEP_1)
	v_add_lshl_u32 v1, v1, v2, 2
	v_lshlrev_b32_e32 v2, 2, v2
	ds_load_b32 v3, v3
	v_or_b32_e32 v2, 16, v2
	s_wait_dscnt 0x0
	ds_bpermute_b32 v4, v4, v3
	s_wait_dscnt 0x0
	v_add_f32_e32 v3, v3, v4
	ds_bpermute_b32 v1, v1, v3
	s_wait_dscnt 0x0
	v_add_f32_e32 v1, v3, v1
	;; [unrolled: 3-line block ×3, first 2 shown]
.LBB187_63:
	s_or_b32 exec_lo, exec_lo, s0
.LBB187_64:
	s_delay_alu instid0(SALU_CYCLE_1)
	s_mov_b32 s0, exec_lo
                                        ; implicit-def: $vgpr1
	v_cmpx_eq_u32_e32 0, v0
	s_cbranch_execz .LBB187_66
; %bb.65:
	s_wait_loadcnt 0x0
	v_add_f32_e32 v1, s15, v3
	s_or_b32 s30, s30, exec_lo
.LBB187_66:
	s_or_b32 exec_lo, exec_lo, s0
	s_and_saveexec_b32 s0, s30
	s_cbranch_execz .LBB187_68
.LBB187_67:
	s_lshl_b64 s[0:1], s[20:21], 2
	v_mov_b32_e32 v0, 0
	s_add_nc_u64 s[0:1], s[18:19], s[0:1]
	s_lshl_b64 s[2:3], s[22:23], 2
	s_delay_alu instid0(SALU_CYCLE_1)
	s_add_nc_u64 s[0:1], s[0:1], s[2:3]
	s_wait_loadcnt 0x0
	global_store_b32 v0, v1, s[0:1]
.LBB187_68:
	s_endpgm
	.section	.rodata,"a",@progbits
	.p2align	6, 0x0
	.amdhsa_kernel _ZN7rocprim17ROCPRIM_400000_NS6detail17trampoline_kernelINS0_14default_configENS1_32segmented_reduce_config_selectorIfEEZNS1_21segmented_reduce_implIS3_PKfPfPKlfN6hipcub16HIPCUB_304000_NS6detail27convert_result_type_wrapperIS8_S9_N2at6native12_GLOBAL__N_19CustomSumEEEEE10hipError_tPvRmT0_T1_jT2_SQ_T4_T3_P12ihipStream_tbEUlT_E_NS1_11comp_targetILNS1_3genE0ELNS1_11target_archE4294967295ELNS1_3gpuE0ELNS1_3repE0EEENS1_30default_config_static_selectorELNS0_4arch9wavefront6targetE0EEEvSP_
		.amdhsa_group_segment_fixed_size 32
		.amdhsa_private_segment_fixed_size 0
		.amdhsa_kernarg_size 48
		.amdhsa_user_sgpr_count 2
		.amdhsa_user_sgpr_dispatch_ptr 0
		.amdhsa_user_sgpr_queue_ptr 0
		.amdhsa_user_sgpr_kernarg_segment_ptr 1
		.amdhsa_user_sgpr_dispatch_id 0
		.amdhsa_user_sgpr_kernarg_preload_length 0
		.amdhsa_user_sgpr_kernarg_preload_offset 0
		.amdhsa_user_sgpr_private_segment_size 0
		.amdhsa_wavefront_size32 1
		.amdhsa_uses_dynamic_stack 0
		.amdhsa_enable_private_segment 0
		.amdhsa_system_sgpr_workgroup_id_x 1
		.amdhsa_system_sgpr_workgroup_id_y 0
		.amdhsa_system_sgpr_workgroup_id_z 0
		.amdhsa_system_sgpr_workgroup_info 0
		.amdhsa_system_vgpr_workitem_id 0
		.amdhsa_next_free_vgpr 21
		.amdhsa_next_free_sgpr 32
		.amdhsa_named_barrier_count 0
		.amdhsa_reserve_vcc 1
		.amdhsa_float_round_mode_32 0
		.amdhsa_float_round_mode_16_64 0
		.amdhsa_float_denorm_mode_32 3
		.amdhsa_float_denorm_mode_16_64 3
		.amdhsa_fp16_overflow 0
		.amdhsa_memory_ordered 1
		.amdhsa_forward_progress 1
		.amdhsa_inst_pref_size 28
		.amdhsa_round_robin_scheduling 0
		.amdhsa_exception_fp_ieee_invalid_op 0
		.amdhsa_exception_fp_denorm_src 0
		.amdhsa_exception_fp_ieee_div_zero 0
		.amdhsa_exception_fp_ieee_overflow 0
		.amdhsa_exception_fp_ieee_underflow 0
		.amdhsa_exception_fp_ieee_inexact 0
		.amdhsa_exception_int_div_zero 0
	.end_amdhsa_kernel
	.section	.text._ZN7rocprim17ROCPRIM_400000_NS6detail17trampoline_kernelINS0_14default_configENS1_32segmented_reduce_config_selectorIfEEZNS1_21segmented_reduce_implIS3_PKfPfPKlfN6hipcub16HIPCUB_304000_NS6detail27convert_result_type_wrapperIS8_S9_N2at6native12_GLOBAL__N_19CustomSumEEEEE10hipError_tPvRmT0_T1_jT2_SQ_T4_T3_P12ihipStream_tbEUlT_E_NS1_11comp_targetILNS1_3genE0ELNS1_11target_archE4294967295ELNS1_3gpuE0ELNS1_3repE0EEENS1_30default_config_static_selectorELNS0_4arch9wavefront6targetE0EEEvSP_,"axG",@progbits,_ZN7rocprim17ROCPRIM_400000_NS6detail17trampoline_kernelINS0_14default_configENS1_32segmented_reduce_config_selectorIfEEZNS1_21segmented_reduce_implIS3_PKfPfPKlfN6hipcub16HIPCUB_304000_NS6detail27convert_result_type_wrapperIS8_S9_N2at6native12_GLOBAL__N_19CustomSumEEEEE10hipError_tPvRmT0_T1_jT2_SQ_T4_T3_P12ihipStream_tbEUlT_E_NS1_11comp_targetILNS1_3genE0ELNS1_11target_archE4294967295ELNS1_3gpuE0ELNS1_3repE0EEENS1_30default_config_static_selectorELNS0_4arch9wavefront6targetE0EEEvSP_,comdat
.Lfunc_end187:
	.size	_ZN7rocprim17ROCPRIM_400000_NS6detail17trampoline_kernelINS0_14default_configENS1_32segmented_reduce_config_selectorIfEEZNS1_21segmented_reduce_implIS3_PKfPfPKlfN6hipcub16HIPCUB_304000_NS6detail27convert_result_type_wrapperIS8_S9_N2at6native12_GLOBAL__N_19CustomSumEEEEE10hipError_tPvRmT0_T1_jT2_SQ_T4_T3_P12ihipStream_tbEUlT_E_NS1_11comp_targetILNS1_3genE0ELNS1_11target_archE4294967295ELNS1_3gpuE0ELNS1_3repE0EEENS1_30default_config_static_selectorELNS0_4arch9wavefront6targetE0EEEvSP_, .Lfunc_end187-_ZN7rocprim17ROCPRIM_400000_NS6detail17trampoline_kernelINS0_14default_configENS1_32segmented_reduce_config_selectorIfEEZNS1_21segmented_reduce_implIS3_PKfPfPKlfN6hipcub16HIPCUB_304000_NS6detail27convert_result_type_wrapperIS8_S9_N2at6native12_GLOBAL__N_19CustomSumEEEEE10hipError_tPvRmT0_T1_jT2_SQ_T4_T3_P12ihipStream_tbEUlT_E_NS1_11comp_targetILNS1_3genE0ELNS1_11target_archE4294967295ELNS1_3gpuE0ELNS1_3repE0EEENS1_30default_config_static_selectorELNS0_4arch9wavefront6targetE0EEEvSP_
                                        ; -- End function
	.set _ZN7rocprim17ROCPRIM_400000_NS6detail17trampoline_kernelINS0_14default_configENS1_32segmented_reduce_config_selectorIfEEZNS1_21segmented_reduce_implIS3_PKfPfPKlfN6hipcub16HIPCUB_304000_NS6detail27convert_result_type_wrapperIS8_S9_N2at6native12_GLOBAL__N_19CustomSumEEEEE10hipError_tPvRmT0_T1_jT2_SQ_T4_T3_P12ihipStream_tbEUlT_E_NS1_11comp_targetILNS1_3genE0ELNS1_11target_archE4294967295ELNS1_3gpuE0ELNS1_3repE0EEENS1_30default_config_static_selectorELNS0_4arch9wavefront6targetE0EEEvSP_.num_vgpr, 21
	.set _ZN7rocprim17ROCPRIM_400000_NS6detail17trampoline_kernelINS0_14default_configENS1_32segmented_reduce_config_selectorIfEEZNS1_21segmented_reduce_implIS3_PKfPfPKlfN6hipcub16HIPCUB_304000_NS6detail27convert_result_type_wrapperIS8_S9_N2at6native12_GLOBAL__N_19CustomSumEEEEE10hipError_tPvRmT0_T1_jT2_SQ_T4_T3_P12ihipStream_tbEUlT_E_NS1_11comp_targetILNS1_3genE0ELNS1_11target_archE4294967295ELNS1_3gpuE0ELNS1_3repE0EEENS1_30default_config_static_selectorELNS0_4arch9wavefront6targetE0EEEvSP_.num_agpr, 0
	.set _ZN7rocprim17ROCPRIM_400000_NS6detail17trampoline_kernelINS0_14default_configENS1_32segmented_reduce_config_selectorIfEEZNS1_21segmented_reduce_implIS3_PKfPfPKlfN6hipcub16HIPCUB_304000_NS6detail27convert_result_type_wrapperIS8_S9_N2at6native12_GLOBAL__N_19CustomSumEEEEE10hipError_tPvRmT0_T1_jT2_SQ_T4_T3_P12ihipStream_tbEUlT_E_NS1_11comp_targetILNS1_3genE0ELNS1_11target_archE4294967295ELNS1_3gpuE0ELNS1_3repE0EEENS1_30default_config_static_selectorELNS0_4arch9wavefront6targetE0EEEvSP_.numbered_sgpr, 32
	.set _ZN7rocprim17ROCPRIM_400000_NS6detail17trampoline_kernelINS0_14default_configENS1_32segmented_reduce_config_selectorIfEEZNS1_21segmented_reduce_implIS3_PKfPfPKlfN6hipcub16HIPCUB_304000_NS6detail27convert_result_type_wrapperIS8_S9_N2at6native12_GLOBAL__N_19CustomSumEEEEE10hipError_tPvRmT0_T1_jT2_SQ_T4_T3_P12ihipStream_tbEUlT_E_NS1_11comp_targetILNS1_3genE0ELNS1_11target_archE4294967295ELNS1_3gpuE0ELNS1_3repE0EEENS1_30default_config_static_selectorELNS0_4arch9wavefront6targetE0EEEvSP_.num_named_barrier, 0
	.set _ZN7rocprim17ROCPRIM_400000_NS6detail17trampoline_kernelINS0_14default_configENS1_32segmented_reduce_config_selectorIfEEZNS1_21segmented_reduce_implIS3_PKfPfPKlfN6hipcub16HIPCUB_304000_NS6detail27convert_result_type_wrapperIS8_S9_N2at6native12_GLOBAL__N_19CustomSumEEEEE10hipError_tPvRmT0_T1_jT2_SQ_T4_T3_P12ihipStream_tbEUlT_E_NS1_11comp_targetILNS1_3genE0ELNS1_11target_archE4294967295ELNS1_3gpuE0ELNS1_3repE0EEENS1_30default_config_static_selectorELNS0_4arch9wavefront6targetE0EEEvSP_.private_seg_size, 0
	.set _ZN7rocprim17ROCPRIM_400000_NS6detail17trampoline_kernelINS0_14default_configENS1_32segmented_reduce_config_selectorIfEEZNS1_21segmented_reduce_implIS3_PKfPfPKlfN6hipcub16HIPCUB_304000_NS6detail27convert_result_type_wrapperIS8_S9_N2at6native12_GLOBAL__N_19CustomSumEEEEE10hipError_tPvRmT0_T1_jT2_SQ_T4_T3_P12ihipStream_tbEUlT_E_NS1_11comp_targetILNS1_3genE0ELNS1_11target_archE4294967295ELNS1_3gpuE0ELNS1_3repE0EEENS1_30default_config_static_selectorELNS0_4arch9wavefront6targetE0EEEvSP_.uses_vcc, 1
	.set _ZN7rocprim17ROCPRIM_400000_NS6detail17trampoline_kernelINS0_14default_configENS1_32segmented_reduce_config_selectorIfEEZNS1_21segmented_reduce_implIS3_PKfPfPKlfN6hipcub16HIPCUB_304000_NS6detail27convert_result_type_wrapperIS8_S9_N2at6native12_GLOBAL__N_19CustomSumEEEEE10hipError_tPvRmT0_T1_jT2_SQ_T4_T3_P12ihipStream_tbEUlT_E_NS1_11comp_targetILNS1_3genE0ELNS1_11target_archE4294967295ELNS1_3gpuE0ELNS1_3repE0EEENS1_30default_config_static_selectorELNS0_4arch9wavefront6targetE0EEEvSP_.uses_flat_scratch, 0
	.set _ZN7rocprim17ROCPRIM_400000_NS6detail17trampoline_kernelINS0_14default_configENS1_32segmented_reduce_config_selectorIfEEZNS1_21segmented_reduce_implIS3_PKfPfPKlfN6hipcub16HIPCUB_304000_NS6detail27convert_result_type_wrapperIS8_S9_N2at6native12_GLOBAL__N_19CustomSumEEEEE10hipError_tPvRmT0_T1_jT2_SQ_T4_T3_P12ihipStream_tbEUlT_E_NS1_11comp_targetILNS1_3genE0ELNS1_11target_archE4294967295ELNS1_3gpuE0ELNS1_3repE0EEENS1_30default_config_static_selectorELNS0_4arch9wavefront6targetE0EEEvSP_.has_dyn_sized_stack, 0
	.set _ZN7rocprim17ROCPRIM_400000_NS6detail17trampoline_kernelINS0_14default_configENS1_32segmented_reduce_config_selectorIfEEZNS1_21segmented_reduce_implIS3_PKfPfPKlfN6hipcub16HIPCUB_304000_NS6detail27convert_result_type_wrapperIS8_S9_N2at6native12_GLOBAL__N_19CustomSumEEEEE10hipError_tPvRmT0_T1_jT2_SQ_T4_T3_P12ihipStream_tbEUlT_E_NS1_11comp_targetILNS1_3genE0ELNS1_11target_archE4294967295ELNS1_3gpuE0ELNS1_3repE0EEENS1_30default_config_static_selectorELNS0_4arch9wavefront6targetE0EEEvSP_.has_recursion, 0
	.set _ZN7rocprim17ROCPRIM_400000_NS6detail17trampoline_kernelINS0_14default_configENS1_32segmented_reduce_config_selectorIfEEZNS1_21segmented_reduce_implIS3_PKfPfPKlfN6hipcub16HIPCUB_304000_NS6detail27convert_result_type_wrapperIS8_S9_N2at6native12_GLOBAL__N_19CustomSumEEEEE10hipError_tPvRmT0_T1_jT2_SQ_T4_T3_P12ihipStream_tbEUlT_E_NS1_11comp_targetILNS1_3genE0ELNS1_11target_archE4294967295ELNS1_3gpuE0ELNS1_3repE0EEENS1_30default_config_static_selectorELNS0_4arch9wavefront6targetE0EEEvSP_.has_indirect_call, 0
	.section	.AMDGPU.csdata,"",@progbits
; Kernel info:
; codeLenInByte = 3508
; TotalNumSgprs: 34
; NumVgprs: 21
; ScratchSize: 0
; MemoryBound: 0
; FloatMode: 240
; IeeeMode: 1
; LDSByteSize: 32 bytes/workgroup (compile time only)
; SGPRBlocks: 0
; VGPRBlocks: 1
; NumSGPRsForWavesPerEU: 34
; NumVGPRsForWavesPerEU: 21
; NamedBarCnt: 0
; Occupancy: 16
; WaveLimiterHint : 1
; COMPUTE_PGM_RSRC2:SCRATCH_EN: 0
; COMPUTE_PGM_RSRC2:USER_SGPR: 2
; COMPUTE_PGM_RSRC2:TRAP_HANDLER: 0
; COMPUTE_PGM_RSRC2:TGID_X_EN: 1
; COMPUTE_PGM_RSRC2:TGID_Y_EN: 0
; COMPUTE_PGM_RSRC2:TGID_Z_EN: 0
; COMPUTE_PGM_RSRC2:TIDIG_COMP_CNT: 0
	.section	.text._ZN7rocprim17ROCPRIM_400000_NS6detail17trampoline_kernelINS0_14default_configENS1_32segmented_reduce_config_selectorIfEEZNS1_21segmented_reduce_implIS3_PKfPfPKlfN6hipcub16HIPCUB_304000_NS6detail27convert_result_type_wrapperIS8_S9_N2at6native12_GLOBAL__N_19CustomSumEEEEE10hipError_tPvRmT0_T1_jT2_SQ_T4_T3_P12ihipStream_tbEUlT_E_NS1_11comp_targetILNS1_3genE5ELNS1_11target_archE942ELNS1_3gpuE9ELNS1_3repE0EEENS1_30default_config_static_selectorELNS0_4arch9wavefront6targetE0EEEvSP_,"axG",@progbits,_ZN7rocprim17ROCPRIM_400000_NS6detail17trampoline_kernelINS0_14default_configENS1_32segmented_reduce_config_selectorIfEEZNS1_21segmented_reduce_implIS3_PKfPfPKlfN6hipcub16HIPCUB_304000_NS6detail27convert_result_type_wrapperIS8_S9_N2at6native12_GLOBAL__N_19CustomSumEEEEE10hipError_tPvRmT0_T1_jT2_SQ_T4_T3_P12ihipStream_tbEUlT_E_NS1_11comp_targetILNS1_3genE5ELNS1_11target_archE942ELNS1_3gpuE9ELNS1_3repE0EEENS1_30default_config_static_selectorELNS0_4arch9wavefront6targetE0EEEvSP_,comdat
	.globl	_ZN7rocprim17ROCPRIM_400000_NS6detail17trampoline_kernelINS0_14default_configENS1_32segmented_reduce_config_selectorIfEEZNS1_21segmented_reduce_implIS3_PKfPfPKlfN6hipcub16HIPCUB_304000_NS6detail27convert_result_type_wrapperIS8_S9_N2at6native12_GLOBAL__N_19CustomSumEEEEE10hipError_tPvRmT0_T1_jT2_SQ_T4_T3_P12ihipStream_tbEUlT_E_NS1_11comp_targetILNS1_3genE5ELNS1_11target_archE942ELNS1_3gpuE9ELNS1_3repE0EEENS1_30default_config_static_selectorELNS0_4arch9wavefront6targetE0EEEvSP_ ; -- Begin function _ZN7rocprim17ROCPRIM_400000_NS6detail17trampoline_kernelINS0_14default_configENS1_32segmented_reduce_config_selectorIfEEZNS1_21segmented_reduce_implIS3_PKfPfPKlfN6hipcub16HIPCUB_304000_NS6detail27convert_result_type_wrapperIS8_S9_N2at6native12_GLOBAL__N_19CustomSumEEEEE10hipError_tPvRmT0_T1_jT2_SQ_T4_T3_P12ihipStream_tbEUlT_E_NS1_11comp_targetILNS1_3genE5ELNS1_11target_archE942ELNS1_3gpuE9ELNS1_3repE0EEENS1_30default_config_static_selectorELNS0_4arch9wavefront6targetE0EEEvSP_
	.p2align	8
	.type	_ZN7rocprim17ROCPRIM_400000_NS6detail17trampoline_kernelINS0_14default_configENS1_32segmented_reduce_config_selectorIfEEZNS1_21segmented_reduce_implIS3_PKfPfPKlfN6hipcub16HIPCUB_304000_NS6detail27convert_result_type_wrapperIS8_S9_N2at6native12_GLOBAL__N_19CustomSumEEEEE10hipError_tPvRmT0_T1_jT2_SQ_T4_T3_P12ihipStream_tbEUlT_E_NS1_11comp_targetILNS1_3genE5ELNS1_11target_archE942ELNS1_3gpuE9ELNS1_3repE0EEENS1_30default_config_static_selectorELNS0_4arch9wavefront6targetE0EEEvSP_,@function
_ZN7rocprim17ROCPRIM_400000_NS6detail17trampoline_kernelINS0_14default_configENS1_32segmented_reduce_config_selectorIfEEZNS1_21segmented_reduce_implIS3_PKfPfPKlfN6hipcub16HIPCUB_304000_NS6detail27convert_result_type_wrapperIS8_S9_N2at6native12_GLOBAL__N_19CustomSumEEEEE10hipError_tPvRmT0_T1_jT2_SQ_T4_T3_P12ihipStream_tbEUlT_E_NS1_11comp_targetILNS1_3genE5ELNS1_11target_archE942ELNS1_3gpuE9ELNS1_3repE0EEENS1_30default_config_static_selectorELNS0_4arch9wavefront6targetE0EEEvSP_: ; @_ZN7rocprim17ROCPRIM_400000_NS6detail17trampoline_kernelINS0_14default_configENS1_32segmented_reduce_config_selectorIfEEZNS1_21segmented_reduce_implIS3_PKfPfPKlfN6hipcub16HIPCUB_304000_NS6detail27convert_result_type_wrapperIS8_S9_N2at6native12_GLOBAL__N_19CustomSumEEEEE10hipError_tPvRmT0_T1_jT2_SQ_T4_T3_P12ihipStream_tbEUlT_E_NS1_11comp_targetILNS1_3genE5ELNS1_11target_archE942ELNS1_3gpuE9ELNS1_3repE0EEENS1_30default_config_static_selectorELNS0_4arch9wavefront6targetE0EEEvSP_
; %bb.0:
	.section	.rodata,"a",@progbits
	.p2align	6, 0x0
	.amdhsa_kernel _ZN7rocprim17ROCPRIM_400000_NS6detail17trampoline_kernelINS0_14default_configENS1_32segmented_reduce_config_selectorIfEEZNS1_21segmented_reduce_implIS3_PKfPfPKlfN6hipcub16HIPCUB_304000_NS6detail27convert_result_type_wrapperIS8_S9_N2at6native12_GLOBAL__N_19CustomSumEEEEE10hipError_tPvRmT0_T1_jT2_SQ_T4_T3_P12ihipStream_tbEUlT_E_NS1_11comp_targetILNS1_3genE5ELNS1_11target_archE942ELNS1_3gpuE9ELNS1_3repE0EEENS1_30default_config_static_selectorELNS0_4arch9wavefront6targetE0EEEvSP_
		.amdhsa_group_segment_fixed_size 0
		.amdhsa_private_segment_fixed_size 0
		.amdhsa_kernarg_size 48
		.amdhsa_user_sgpr_count 2
		.amdhsa_user_sgpr_dispatch_ptr 0
		.amdhsa_user_sgpr_queue_ptr 0
		.amdhsa_user_sgpr_kernarg_segment_ptr 1
		.amdhsa_user_sgpr_dispatch_id 0
		.amdhsa_user_sgpr_kernarg_preload_length 0
		.amdhsa_user_sgpr_kernarg_preload_offset 0
		.amdhsa_user_sgpr_private_segment_size 0
		.amdhsa_wavefront_size32 1
		.amdhsa_uses_dynamic_stack 0
		.amdhsa_enable_private_segment 0
		.amdhsa_system_sgpr_workgroup_id_x 1
		.amdhsa_system_sgpr_workgroup_id_y 0
		.amdhsa_system_sgpr_workgroup_id_z 0
		.amdhsa_system_sgpr_workgroup_info 0
		.amdhsa_system_vgpr_workitem_id 0
		.amdhsa_next_free_vgpr 1
		.amdhsa_next_free_sgpr 1
		.amdhsa_named_barrier_count 0
		.amdhsa_reserve_vcc 0
		.amdhsa_float_round_mode_32 0
		.amdhsa_float_round_mode_16_64 0
		.amdhsa_float_denorm_mode_32 3
		.amdhsa_float_denorm_mode_16_64 3
		.amdhsa_fp16_overflow 0
		.amdhsa_memory_ordered 1
		.amdhsa_forward_progress 1
		.amdhsa_inst_pref_size 0
		.amdhsa_round_robin_scheduling 0
		.amdhsa_exception_fp_ieee_invalid_op 0
		.amdhsa_exception_fp_denorm_src 0
		.amdhsa_exception_fp_ieee_div_zero 0
		.amdhsa_exception_fp_ieee_overflow 0
		.amdhsa_exception_fp_ieee_underflow 0
		.amdhsa_exception_fp_ieee_inexact 0
		.amdhsa_exception_int_div_zero 0
	.end_amdhsa_kernel
	.section	.text._ZN7rocprim17ROCPRIM_400000_NS6detail17trampoline_kernelINS0_14default_configENS1_32segmented_reduce_config_selectorIfEEZNS1_21segmented_reduce_implIS3_PKfPfPKlfN6hipcub16HIPCUB_304000_NS6detail27convert_result_type_wrapperIS8_S9_N2at6native12_GLOBAL__N_19CustomSumEEEEE10hipError_tPvRmT0_T1_jT2_SQ_T4_T3_P12ihipStream_tbEUlT_E_NS1_11comp_targetILNS1_3genE5ELNS1_11target_archE942ELNS1_3gpuE9ELNS1_3repE0EEENS1_30default_config_static_selectorELNS0_4arch9wavefront6targetE0EEEvSP_,"axG",@progbits,_ZN7rocprim17ROCPRIM_400000_NS6detail17trampoline_kernelINS0_14default_configENS1_32segmented_reduce_config_selectorIfEEZNS1_21segmented_reduce_implIS3_PKfPfPKlfN6hipcub16HIPCUB_304000_NS6detail27convert_result_type_wrapperIS8_S9_N2at6native12_GLOBAL__N_19CustomSumEEEEE10hipError_tPvRmT0_T1_jT2_SQ_T4_T3_P12ihipStream_tbEUlT_E_NS1_11comp_targetILNS1_3genE5ELNS1_11target_archE942ELNS1_3gpuE9ELNS1_3repE0EEENS1_30default_config_static_selectorELNS0_4arch9wavefront6targetE0EEEvSP_,comdat
.Lfunc_end188:
	.size	_ZN7rocprim17ROCPRIM_400000_NS6detail17trampoline_kernelINS0_14default_configENS1_32segmented_reduce_config_selectorIfEEZNS1_21segmented_reduce_implIS3_PKfPfPKlfN6hipcub16HIPCUB_304000_NS6detail27convert_result_type_wrapperIS8_S9_N2at6native12_GLOBAL__N_19CustomSumEEEEE10hipError_tPvRmT0_T1_jT2_SQ_T4_T3_P12ihipStream_tbEUlT_E_NS1_11comp_targetILNS1_3genE5ELNS1_11target_archE942ELNS1_3gpuE9ELNS1_3repE0EEENS1_30default_config_static_selectorELNS0_4arch9wavefront6targetE0EEEvSP_, .Lfunc_end188-_ZN7rocprim17ROCPRIM_400000_NS6detail17trampoline_kernelINS0_14default_configENS1_32segmented_reduce_config_selectorIfEEZNS1_21segmented_reduce_implIS3_PKfPfPKlfN6hipcub16HIPCUB_304000_NS6detail27convert_result_type_wrapperIS8_S9_N2at6native12_GLOBAL__N_19CustomSumEEEEE10hipError_tPvRmT0_T1_jT2_SQ_T4_T3_P12ihipStream_tbEUlT_E_NS1_11comp_targetILNS1_3genE5ELNS1_11target_archE942ELNS1_3gpuE9ELNS1_3repE0EEENS1_30default_config_static_selectorELNS0_4arch9wavefront6targetE0EEEvSP_
                                        ; -- End function
	.set _ZN7rocprim17ROCPRIM_400000_NS6detail17trampoline_kernelINS0_14default_configENS1_32segmented_reduce_config_selectorIfEEZNS1_21segmented_reduce_implIS3_PKfPfPKlfN6hipcub16HIPCUB_304000_NS6detail27convert_result_type_wrapperIS8_S9_N2at6native12_GLOBAL__N_19CustomSumEEEEE10hipError_tPvRmT0_T1_jT2_SQ_T4_T3_P12ihipStream_tbEUlT_E_NS1_11comp_targetILNS1_3genE5ELNS1_11target_archE942ELNS1_3gpuE9ELNS1_3repE0EEENS1_30default_config_static_selectorELNS0_4arch9wavefront6targetE0EEEvSP_.num_vgpr, 0
	.set _ZN7rocprim17ROCPRIM_400000_NS6detail17trampoline_kernelINS0_14default_configENS1_32segmented_reduce_config_selectorIfEEZNS1_21segmented_reduce_implIS3_PKfPfPKlfN6hipcub16HIPCUB_304000_NS6detail27convert_result_type_wrapperIS8_S9_N2at6native12_GLOBAL__N_19CustomSumEEEEE10hipError_tPvRmT0_T1_jT2_SQ_T4_T3_P12ihipStream_tbEUlT_E_NS1_11comp_targetILNS1_3genE5ELNS1_11target_archE942ELNS1_3gpuE9ELNS1_3repE0EEENS1_30default_config_static_selectorELNS0_4arch9wavefront6targetE0EEEvSP_.num_agpr, 0
	.set _ZN7rocprim17ROCPRIM_400000_NS6detail17trampoline_kernelINS0_14default_configENS1_32segmented_reduce_config_selectorIfEEZNS1_21segmented_reduce_implIS3_PKfPfPKlfN6hipcub16HIPCUB_304000_NS6detail27convert_result_type_wrapperIS8_S9_N2at6native12_GLOBAL__N_19CustomSumEEEEE10hipError_tPvRmT0_T1_jT2_SQ_T4_T3_P12ihipStream_tbEUlT_E_NS1_11comp_targetILNS1_3genE5ELNS1_11target_archE942ELNS1_3gpuE9ELNS1_3repE0EEENS1_30default_config_static_selectorELNS0_4arch9wavefront6targetE0EEEvSP_.numbered_sgpr, 0
	.set _ZN7rocprim17ROCPRIM_400000_NS6detail17trampoline_kernelINS0_14default_configENS1_32segmented_reduce_config_selectorIfEEZNS1_21segmented_reduce_implIS3_PKfPfPKlfN6hipcub16HIPCUB_304000_NS6detail27convert_result_type_wrapperIS8_S9_N2at6native12_GLOBAL__N_19CustomSumEEEEE10hipError_tPvRmT0_T1_jT2_SQ_T4_T3_P12ihipStream_tbEUlT_E_NS1_11comp_targetILNS1_3genE5ELNS1_11target_archE942ELNS1_3gpuE9ELNS1_3repE0EEENS1_30default_config_static_selectorELNS0_4arch9wavefront6targetE0EEEvSP_.num_named_barrier, 0
	.set _ZN7rocprim17ROCPRIM_400000_NS6detail17trampoline_kernelINS0_14default_configENS1_32segmented_reduce_config_selectorIfEEZNS1_21segmented_reduce_implIS3_PKfPfPKlfN6hipcub16HIPCUB_304000_NS6detail27convert_result_type_wrapperIS8_S9_N2at6native12_GLOBAL__N_19CustomSumEEEEE10hipError_tPvRmT0_T1_jT2_SQ_T4_T3_P12ihipStream_tbEUlT_E_NS1_11comp_targetILNS1_3genE5ELNS1_11target_archE942ELNS1_3gpuE9ELNS1_3repE0EEENS1_30default_config_static_selectorELNS0_4arch9wavefront6targetE0EEEvSP_.private_seg_size, 0
	.set _ZN7rocprim17ROCPRIM_400000_NS6detail17trampoline_kernelINS0_14default_configENS1_32segmented_reduce_config_selectorIfEEZNS1_21segmented_reduce_implIS3_PKfPfPKlfN6hipcub16HIPCUB_304000_NS6detail27convert_result_type_wrapperIS8_S9_N2at6native12_GLOBAL__N_19CustomSumEEEEE10hipError_tPvRmT0_T1_jT2_SQ_T4_T3_P12ihipStream_tbEUlT_E_NS1_11comp_targetILNS1_3genE5ELNS1_11target_archE942ELNS1_3gpuE9ELNS1_3repE0EEENS1_30default_config_static_selectorELNS0_4arch9wavefront6targetE0EEEvSP_.uses_vcc, 0
	.set _ZN7rocprim17ROCPRIM_400000_NS6detail17trampoline_kernelINS0_14default_configENS1_32segmented_reduce_config_selectorIfEEZNS1_21segmented_reduce_implIS3_PKfPfPKlfN6hipcub16HIPCUB_304000_NS6detail27convert_result_type_wrapperIS8_S9_N2at6native12_GLOBAL__N_19CustomSumEEEEE10hipError_tPvRmT0_T1_jT2_SQ_T4_T3_P12ihipStream_tbEUlT_E_NS1_11comp_targetILNS1_3genE5ELNS1_11target_archE942ELNS1_3gpuE9ELNS1_3repE0EEENS1_30default_config_static_selectorELNS0_4arch9wavefront6targetE0EEEvSP_.uses_flat_scratch, 0
	.set _ZN7rocprim17ROCPRIM_400000_NS6detail17trampoline_kernelINS0_14default_configENS1_32segmented_reduce_config_selectorIfEEZNS1_21segmented_reduce_implIS3_PKfPfPKlfN6hipcub16HIPCUB_304000_NS6detail27convert_result_type_wrapperIS8_S9_N2at6native12_GLOBAL__N_19CustomSumEEEEE10hipError_tPvRmT0_T1_jT2_SQ_T4_T3_P12ihipStream_tbEUlT_E_NS1_11comp_targetILNS1_3genE5ELNS1_11target_archE942ELNS1_3gpuE9ELNS1_3repE0EEENS1_30default_config_static_selectorELNS0_4arch9wavefront6targetE0EEEvSP_.has_dyn_sized_stack, 0
	.set _ZN7rocprim17ROCPRIM_400000_NS6detail17trampoline_kernelINS0_14default_configENS1_32segmented_reduce_config_selectorIfEEZNS1_21segmented_reduce_implIS3_PKfPfPKlfN6hipcub16HIPCUB_304000_NS6detail27convert_result_type_wrapperIS8_S9_N2at6native12_GLOBAL__N_19CustomSumEEEEE10hipError_tPvRmT0_T1_jT2_SQ_T4_T3_P12ihipStream_tbEUlT_E_NS1_11comp_targetILNS1_3genE5ELNS1_11target_archE942ELNS1_3gpuE9ELNS1_3repE0EEENS1_30default_config_static_selectorELNS0_4arch9wavefront6targetE0EEEvSP_.has_recursion, 0
	.set _ZN7rocprim17ROCPRIM_400000_NS6detail17trampoline_kernelINS0_14default_configENS1_32segmented_reduce_config_selectorIfEEZNS1_21segmented_reduce_implIS3_PKfPfPKlfN6hipcub16HIPCUB_304000_NS6detail27convert_result_type_wrapperIS8_S9_N2at6native12_GLOBAL__N_19CustomSumEEEEE10hipError_tPvRmT0_T1_jT2_SQ_T4_T3_P12ihipStream_tbEUlT_E_NS1_11comp_targetILNS1_3genE5ELNS1_11target_archE942ELNS1_3gpuE9ELNS1_3repE0EEENS1_30default_config_static_selectorELNS0_4arch9wavefront6targetE0EEEvSP_.has_indirect_call, 0
	.section	.AMDGPU.csdata,"",@progbits
; Kernel info:
; codeLenInByte = 0
; TotalNumSgprs: 0
; NumVgprs: 0
; ScratchSize: 0
; MemoryBound: 0
; FloatMode: 240
; IeeeMode: 1
; LDSByteSize: 0 bytes/workgroup (compile time only)
; SGPRBlocks: 0
; VGPRBlocks: 0
; NumSGPRsForWavesPerEU: 1
; NumVGPRsForWavesPerEU: 1
; NamedBarCnt: 0
; Occupancy: 16
; WaveLimiterHint : 0
; COMPUTE_PGM_RSRC2:SCRATCH_EN: 0
; COMPUTE_PGM_RSRC2:USER_SGPR: 2
; COMPUTE_PGM_RSRC2:TRAP_HANDLER: 0
; COMPUTE_PGM_RSRC2:TGID_X_EN: 1
; COMPUTE_PGM_RSRC2:TGID_Y_EN: 0
; COMPUTE_PGM_RSRC2:TGID_Z_EN: 0
; COMPUTE_PGM_RSRC2:TIDIG_COMP_CNT: 0
	.section	.text._ZN7rocprim17ROCPRIM_400000_NS6detail17trampoline_kernelINS0_14default_configENS1_32segmented_reduce_config_selectorIfEEZNS1_21segmented_reduce_implIS3_PKfPfPKlfN6hipcub16HIPCUB_304000_NS6detail27convert_result_type_wrapperIS8_S9_N2at6native12_GLOBAL__N_19CustomSumEEEEE10hipError_tPvRmT0_T1_jT2_SQ_T4_T3_P12ihipStream_tbEUlT_E_NS1_11comp_targetILNS1_3genE10ELNS1_11target_archE1201ELNS1_3gpuE5ELNS1_3repE0EEENS1_30default_config_static_selectorELNS0_4arch9wavefront6targetE0EEEvSP_,"axG",@progbits,_ZN7rocprim17ROCPRIM_400000_NS6detail17trampoline_kernelINS0_14default_configENS1_32segmented_reduce_config_selectorIfEEZNS1_21segmented_reduce_implIS3_PKfPfPKlfN6hipcub16HIPCUB_304000_NS6detail27convert_result_type_wrapperIS8_S9_N2at6native12_GLOBAL__N_19CustomSumEEEEE10hipError_tPvRmT0_T1_jT2_SQ_T4_T3_P12ihipStream_tbEUlT_E_NS1_11comp_targetILNS1_3genE10ELNS1_11target_archE1201ELNS1_3gpuE5ELNS1_3repE0EEENS1_30default_config_static_selectorELNS0_4arch9wavefront6targetE0EEEvSP_,comdat
	.globl	_ZN7rocprim17ROCPRIM_400000_NS6detail17trampoline_kernelINS0_14default_configENS1_32segmented_reduce_config_selectorIfEEZNS1_21segmented_reduce_implIS3_PKfPfPKlfN6hipcub16HIPCUB_304000_NS6detail27convert_result_type_wrapperIS8_S9_N2at6native12_GLOBAL__N_19CustomSumEEEEE10hipError_tPvRmT0_T1_jT2_SQ_T4_T3_P12ihipStream_tbEUlT_E_NS1_11comp_targetILNS1_3genE10ELNS1_11target_archE1201ELNS1_3gpuE5ELNS1_3repE0EEENS1_30default_config_static_selectorELNS0_4arch9wavefront6targetE0EEEvSP_ ; -- Begin function _ZN7rocprim17ROCPRIM_400000_NS6detail17trampoline_kernelINS0_14default_configENS1_32segmented_reduce_config_selectorIfEEZNS1_21segmented_reduce_implIS3_PKfPfPKlfN6hipcub16HIPCUB_304000_NS6detail27convert_result_type_wrapperIS8_S9_N2at6native12_GLOBAL__N_19CustomSumEEEEE10hipError_tPvRmT0_T1_jT2_SQ_T4_T3_P12ihipStream_tbEUlT_E_NS1_11comp_targetILNS1_3genE10ELNS1_11target_archE1201ELNS1_3gpuE5ELNS1_3repE0EEENS1_30default_config_static_selectorELNS0_4arch9wavefront6targetE0EEEvSP_
	.p2align	8
	.type	_ZN7rocprim17ROCPRIM_400000_NS6detail17trampoline_kernelINS0_14default_configENS1_32segmented_reduce_config_selectorIfEEZNS1_21segmented_reduce_implIS3_PKfPfPKlfN6hipcub16HIPCUB_304000_NS6detail27convert_result_type_wrapperIS8_S9_N2at6native12_GLOBAL__N_19CustomSumEEEEE10hipError_tPvRmT0_T1_jT2_SQ_T4_T3_P12ihipStream_tbEUlT_E_NS1_11comp_targetILNS1_3genE10ELNS1_11target_archE1201ELNS1_3gpuE5ELNS1_3repE0EEENS1_30default_config_static_selectorELNS0_4arch9wavefront6targetE0EEEvSP_,@function
_ZN7rocprim17ROCPRIM_400000_NS6detail17trampoline_kernelINS0_14default_configENS1_32segmented_reduce_config_selectorIfEEZNS1_21segmented_reduce_implIS3_PKfPfPKlfN6hipcub16HIPCUB_304000_NS6detail27convert_result_type_wrapperIS8_S9_N2at6native12_GLOBAL__N_19CustomSumEEEEE10hipError_tPvRmT0_T1_jT2_SQ_T4_T3_P12ihipStream_tbEUlT_E_NS1_11comp_targetILNS1_3genE10ELNS1_11target_archE1201ELNS1_3gpuE5ELNS1_3repE0EEENS1_30default_config_static_selectorELNS0_4arch9wavefront6targetE0EEEvSP_: ; @_ZN7rocprim17ROCPRIM_400000_NS6detail17trampoline_kernelINS0_14default_configENS1_32segmented_reduce_config_selectorIfEEZNS1_21segmented_reduce_implIS3_PKfPfPKlfN6hipcub16HIPCUB_304000_NS6detail27convert_result_type_wrapperIS8_S9_N2at6native12_GLOBAL__N_19CustomSumEEEEE10hipError_tPvRmT0_T1_jT2_SQ_T4_T3_P12ihipStream_tbEUlT_E_NS1_11comp_targetILNS1_3genE10ELNS1_11target_archE1201ELNS1_3gpuE5ELNS1_3repE0EEENS1_30default_config_static_selectorELNS0_4arch9wavefront6targetE0EEEvSP_
; %bb.0:
	.section	.rodata,"a",@progbits
	.p2align	6, 0x0
	.amdhsa_kernel _ZN7rocprim17ROCPRIM_400000_NS6detail17trampoline_kernelINS0_14default_configENS1_32segmented_reduce_config_selectorIfEEZNS1_21segmented_reduce_implIS3_PKfPfPKlfN6hipcub16HIPCUB_304000_NS6detail27convert_result_type_wrapperIS8_S9_N2at6native12_GLOBAL__N_19CustomSumEEEEE10hipError_tPvRmT0_T1_jT2_SQ_T4_T3_P12ihipStream_tbEUlT_E_NS1_11comp_targetILNS1_3genE10ELNS1_11target_archE1201ELNS1_3gpuE5ELNS1_3repE0EEENS1_30default_config_static_selectorELNS0_4arch9wavefront6targetE0EEEvSP_
		.amdhsa_group_segment_fixed_size 0
		.amdhsa_private_segment_fixed_size 0
		.amdhsa_kernarg_size 48
		.amdhsa_user_sgpr_count 2
		.amdhsa_user_sgpr_dispatch_ptr 0
		.amdhsa_user_sgpr_queue_ptr 0
		.amdhsa_user_sgpr_kernarg_segment_ptr 1
		.amdhsa_user_sgpr_dispatch_id 0
		.amdhsa_user_sgpr_kernarg_preload_length 0
		.amdhsa_user_sgpr_kernarg_preload_offset 0
		.amdhsa_user_sgpr_private_segment_size 0
		.amdhsa_wavefront_size32 1
		.amdhsa_uses_dynamic_stack 0
		.amdhsa_enable_private_segment 0
		.amdhsa_system_sgpr_workgroup_id_x 1
		.amdhsa_system_sgpr_workgroup_id_y 0
		.amdhsa_system_sgpr_workgroup_id_z 0
		.amdhsa_system_sgpr_workgroup_info 0
		.amdhsa_system_vgpr_workitem_id 0
		.amdhsa_next_free_vgpr 1
		.amdhsa_next_free_sgpr 1
		.amdhsa_named_barrier_count 0
		.amdhsa_reserve_vcc 0
		.amdhsa_float_round_mode_32 0
		.amdhsa_float_round_mode_16_64 0
		.amdhsa_float_denorm_mode_32 3
		.amdhsa_float_denorm_mode_16_64 3
		.amdhsa_fp16_overflow 0
		.amdhsa_memory_ordered 1
		.amdhsa_forward_progress 1
		.amdhsa_inst_pref_size 0
		.amdhsa_round_robin_scheduling 0
		.amdhsa_exception_fp_ieee_invalid_op 0
		.amdhsa_exception_fp_denorm_src 0
		.amdhsa_exception_fp_ieee_div_zero 0
		.amdhsa_exception_fp_ieee_overflow 0
		.amdhsa_exception_fp_ieee_underflow 0
		.amdhsa_exception_fp_ieee_inexact 0
		.amdhsa_exception_int_div_zero 0
	.end_amdhsa_kernel
	.section	.text._ZN7rocprim17ROCPRIM_400000_NS6detail17trampoline_kernelINS0_14default_configENS1_32segmented_reduce_config_selectorIfEEZNS1_21segmented_reduce_implIS3_PKfPfPKlfN6hipcub16HIPCUB_304000_NS6detail27convert_result_type_wrapperIS8_S9_N2at6native12_GLOBAL__N_19CustomSumEEEEE10hipError_tPvRmT0_T1_jT2_SQ_T4_T3_P12ihipStream_tbEUlT_E_NS1_11comp_targetILNS1_3genE10ELNS1_11target_archE1201ELNS1_3gpuE5ELNS1_3repE0EEENS1_30default_config_static_selectorELNS0_4arch9wavefront6targetE0EEEvSP_,"axG",@progbits,_ZN7rocprim17ROCPRIM_400000_NS6detail17trampoline_kernelINS0_14default_configENS1_32segmented_reduce_config_selectorIfEEZNS1_21segmented_reduce_implIS3_PKfPfPKlfN6hipcub16HIPCUB_304000_NS6detail27convert_result_type_wrapperIS8_S9_N2at6native12_GLOBAL__N_19CustomSumEEEEE10hipError_tPvRmT0_T1_jT2_SQ_T4_T3_P12ihipStream_tbEUlT_E_NS1_11comp_targetILNS1_3genE10ELNS1_11target_archE1201ELNS1_3gpuE5ELNS1_3repE0EEENS1_30default_config_static_selectorELNS0_4arch9wavefront6targetE0EEEvSP_,comdat
.Lfunc_end189:
	.size	_ZN7rocprim17ROCPRIM_400000_NS6detail17trampoline_kernelINS0_14default_configENS1_32segmented_reduce_config_selectorIfEEZNS1_21segmented_reduce_implIS3_PKfPfPKlfN6hipcub16HIPCUB_304000_NS6detail27convert_result_type_wrapperIS8_S9_N2at6native12_GLOBAL__N_19CustomSumEEEEE10hipError_tPvRmT0_T1_jT2_SQ_T4_T3_P12ihipStream_tbEUlT_E_NS1_11comp_targetILNS1_3genE10ELNS1_11target_archE1201ELNS1_3gpuE5ELNS1_3repE0EEENS1_30default_config_static_selectorELNS0_4arch9wavefront6targetE0EEEvSP_, .Lfunc_end189-_ZN7rocprim17ROCPRIM_400000_NS6detail17trampoline_kernelINS0_14default_configENS1_32segmented_reduce_config_selectorIfEEZNS1_21segmented_reduce_implIS3_PKfPfPKlfN6hipcub16HIPCUB_304000_NS6detail27convert_result_type_wrapperIS8_S9_N2at6native12_GLOBAL__N_19CustomSumEEEEE10hipError_tPvRmT0_T1_jT2_SQ_T4_T3_P12ihipStream_tbEUlT_E_NS1_11comp_targetILNS1_3genE10ELNS1_11target_archE1201ELNS1_3gpuE5ELNS1_3repE0EEENS1_30default_config_static_selectorELNS0_4arch9wavefront6targetE0EEEvSP_
                                        ; -- End function
	.set _ZN7rocprim17ROCPRIM_400000_NS6detail17trampoline_kernelINS0_14default_configENS1_32segmented_reduce_config_selectorIfEEZNS1_21segmented_reduce_implIS3_PKfPfPKlfN6hipcub16HIPCUB_304000_NS6detail27convert_result_type_wrapperIS8_S9_N2at6native12_GLOBAL__N_19CustomSumEEEEE10hipError_tPvRmT0_T1_jT2_SQ_T4_T3_P12ihipStream_tbEUlT_E_NS1_11comp_targetILNS1_3genE10ELNS1_11target_archE1201ELNS1_3gpuE5ELNS1_3repE0EEENS1_30default_config_static_selectorELNS0_4arch9wavefront6targetE0EEEvSP_.num_vgpr, 0
	.set _ZN7rocprim17ROCPRIM_400000_NS6detail17trampoline_kernelINS0_14default_configENS1_32segmented_reduce_config_selectorIfEEZNS1_21segmented_reduce_implIS3_PKfPfPKlfN6hipcub16HIPCUB_304000_NS6detail27convert_result_type_wrapperIS8_S9_N2at6native12_GLOBAL__N_19CustomSumEEEEE10hipError_tPvRmT0_T1_jT2_SQ_T4_T3_P12ihipStream_tbEUlT_E_NS1_11comp_targetILNS1_3genE10ELNS1_11target_archE1201ELNS1_3gpuE5ELNS1_3repE0EEENS1_30default_config_static_selectorELNS0_4arch9wavefront6targetE0EEEvSP_.num_agpr, 0
	.set _ZN7rocprim17ROCPRIM_400000_NS6detail17trampoline_kernelINS0_14default_configENS1_32segmented_reduce_config_selectorIfEEZNS1_21segmented_reduce_implIS3_PKfPfPKlfN6hipcub16HIPCUB_304000_NS6detail27convert_result_type_wrapperIS8_S9_N2at6native12_GLOBAL__N_19CustomSumEEEEE10hipError_tPvRmT0_T1_jT2_SQ_T4_T3_P12ihipStream_tbEUlT_E_NS1_11comp_targetILNS1_3genE10ELNS1_11target_archE1201ELNS1_3gpuE5ELNS1_3repE0EEENS1_30default_config_static_selectorELNS0_4arch9wavefront6targetE0EEEvSP_.numbered_sgpr, 0
	.set _ZN7rocprim17ROCPRIM_400000_NS6detail17trampoline_kernelINS0_14default_configENS1_32segmented_reduce_config_selectorIfEEZNS1_21segmented_reduce_implIS3_PKfPfPKlfN6hipcub16HIPCUB_304000_NS6detail27convert_result_type_wrapperIS8_S9_N2at6native12_GLOBAL__N_19CustomSumEEEEE10hipError_tPvRmT0_T1_jT2_SQ_T4_T3_P12ihipStream_tbEUlT_E_NS1_11comp_targetILNS1_3genE10ELNS1_11target_archE1201ELNS1_3gpuE5ELNS1_3repE0EEENS1_30default_config_static_selectorELNS0_4arch9wavefront6targetE0EEEvSP_.num_named_barrier, 0
	.set _ZN7rocprim17ROCPRIM_400000_NS6detail17trampoline_kernelINS0_14default_configENS1_32segmented_reduce_config_selectorIfEEZNS1_21segmented_reduce_implIS3_PKfPfPKlfN6hipcub16HIPCUB_304000_NS6detail27convert_result_type_wrapperIS8_S9_N2at6native12_GLOBAL__N_19CustomSumEEEEE10hipError_tPvRmT0_T1_jT2_SQ_T4_T3_P12ihipStream_tbEUlT_E_NS1_11comp_targetILNS1_3genE10ELNS1_11target_archE1201ELNS1_3gpuE5ELNS1_3repE0EEENS1_30default_config_static_selectorELNS0_4arch9wavefront6targetE0EEEvSP_.private_seg_size, 0
	.set _ZN7rocprim17ROCPRIM_400000_NS6detail17trampoline_kernelINS0_14default_configENS1_32segmented_reduce_config_selectorIfEEZNS1_21segmented_reduce_implIS3_PKfPfPKlfN6hipcub16HIPCUB_304000_NS6detail27convert_result_type_wrapperIS8_S9_N2at6native12_GLOBAL__N_19CustomSumEEEEE10hipError_tPvRmT0_T1_jT2_SQ_T4_T3_P12ihipStream_tbEUlT_E_NS1_11comp_targetILNS1_3genE10ELNS1_11target_archE1201ELNS1_3gpuE5ELNS1_3repE0EEENS1_30default_config_static_selectorELNS0_4arch9wavefront6targetE0EEEvSP_.uses_vcc, 0
	.set _ZN7rocprim17ROCPRIM_400000_NS6detail17trampoline_kernelINS0_14default_configENS1_32segmented_reduce_config_selectorIfEEZNS1_21segmented_reduce_implIS3_PKfPfPKlfN6hipcub16HIPCUB_304000_NS6detail27convert_result_type_wrapperIS8_S9_N2at6native12_GLOBAL__N_19CustomSumEEEEE10hipError_tPvRmT0_T1_jT2_SQ_T4_T3_P12ihipStream_tbEUlT_E_NS1_11comp_targetILNS1_3genE10ELNS1_11target_archE1201ELNS1_3gpuE5ELNS1_3repE0EEENS1_30default_config_static_selectorELNS0_4arch9wavefront6targetE0EEEvSP_.uses_flat_scratch, 0
	.set _ZN7rocprim17ROCPRIM_400000_NS6detail17trampoline_kernelINS0_14default_configENS1_32segmented_reduce_config_selectorIfEEZNS1_21segmented_reduce_implIS3_PKfPfPKlfN6hipcub16HIPCUB_304000_NS6detail27convert_result_type_wrapperIS8_S9_N2at6native12_GLOBAL__N_19CustomSumEEEEE10hipError_tPvRmT0_T1_jT2_SQ_T4_T3_P12ihipStream_tbEUlT_E_NS1_11comp_targetILNS1_3genE10ELNS1_11target_archE1201ELNS1_3gpuE5ELNS1_3repE0EEENS1_30default_config_static_selectorELNS0_4arch9wavefront6targetE0EEEvSP_.has_dyn_sized_stack, 0
	.set _ZN7rocprim17ROCPRIM_400000_NS6detail17trampoline_kernelINS0_14default_configENS1_32segmented_reduce_config_selectorIfEEZNS1_21segmented_reduce_implIS3_PKfPfPKlfN6hipcub16HIPCUB_304000_NS6detail27convert_result_type_wrapperIS8_S9_N2at6native12_GLOBAL__N_19CustomSumEEEEE10hipError_tPvRmT0_T1_jT2_SQ_T4_T3_P12ihipStream_tbEUlT_E_NS1_11comp_targetILNS1_3genE10ELNS1_11target_archE1201ELNS1_3gpuE5ELNS1_3repE0EEENS1_30default_config_static_selectorELNS0_4arch9wavefront6targetE0EEEvSP_.has_recursion, 0
	.set _ZN7rocprim17ROCPRIM_400000_NS6detail17trampoline_kernelINS0_14default_configENS1_32segmented_reduce_config_selectorIfEEZNS1_21segmented_reduce_implIS3_PKfPfPKlfN6hipcub16HIPCUB_304000_NS6detail27convert_result_type_wrapperIS8_S9_N2at6native12_GLOBAL__N_19CustomSumEEEEE10hipError_tPvRmT0_T1_jT2_SQ_T4_T3_P12ihipStream_tbEUlT_E_NS1_11comp_targetILNS1_3genE10ELNS1_11target_archE1201ELNS1_3gpuE5ELNS1_3repE0EEENS1_30default_config_static_selectorELNS0_4arch9wavefront6targetE0EEEvSP_.has_indirect_call, 0
	.section	.AMDGPU.csdata,"",@progbits
; Kernel info:
; codeLenInByte = 0
; TotalNumSgprs: 0
; NumVgprs: 0
; ScratchSize: 0
; MemoryBound: 0
; FloatMode: 240
; IeeeMode: 1
; LDSByteSize: 0 bytes/workgroup (compile time only)
; SGPRBlocks: 0
; VGPRBlocks: 0
; NumSGPRsForWavesPerEU: 1
; NumVGPRsForWavesPerEU: 1
; NamedBarCnt: 0
; Occupancy: 16
; WaveLimiterHint : 0
; COMPUTE_PGM_RSRC2:SCRATCH_EN: 0
; COMPUTE_PGM_RSRC2:USER_SGPR: 2
; COMPUTE_PGM_RSRC2:TRAP_HANDLER: 0
; COMPUTE_PGM_RSRC2:TGID_X_EN: 1
; COMPUTE_PGM_RSRC2:TGID_Y_EN: 0
; COMPUTE_PGM_RSRC2:TGID_Z_EN: 0
; COMPUTE_PGM_RSRC2:TIDIG_COMP_CNT: 0
	.section	.text._ZN7rocprim17ROCPRIM_400000_NS6detail17trampoline_kernelINS0_14default_configENS1_32segmented_reduce_config_selectorIfEEZNS1_21segmented_reduce_implIS3_PKfPfPKlfN6hipcub16HIPCUB_304000_NS6detail27convert_result_type_wrapperIS8_S9_N2at6native12_GLOBAL__N_19CustomSumEEEEE10hipError_tPvRmT0_T1_jT2_SQ_T4_T3_P12ihipStream_tbEUlT_E_NS1_11comp_targetILNS1_3genE4ELNS1_11target_archE910ELNS1_3gpuE8ELNS1_3repE0EEENS1_30default_config_static_selectorELNS0_4arch9wavefront6targetE0EEEvSP_,"axG",@progbits,_ZN7rocprim17ROCPRIM_400000_NS6detail17trampoline_kernelINS0_14default_configENS1_32segmented_reduce_config_selectorIfEEZNS1_21segmented_reduce_implIS3_PKfPfPKlfN6hipcub16HIPCUB_304000_NS6detail27convert_result_type_wrapperIS8_S9_N2at6native12_GLOBAL__N_19CustomSumEEEEE10hipError_tPvRmT0_T1_jT2_SQ_T4_T3_P12ihipStream_tbEUlT_E_NS1_11comp_targetILNS1_3genE4ELNS1_11target_archE910ELNS1_3gpuE8ELNS1_3repE0EEENS1_30default_config_static_selectorELNS0_4arch9wavefront6targetE0EEEvSP_,comdat
	.globl	_ZN7rocprim17ROCPRIM_400000_NS6detail17trampoline_kernelINS0_14default_configENS1_32segmented_reduce_config_selectorIfEEZNS1_21segmented_reduce_implIS3_PKfPfPKlfN6hipcub16HIPCUB_304000_NS6detail27convert_result_type_wrapperIS8_S9_N2at6native12_GLOBAL__N_19CustomSumEEEEE10hipError_tPvRmT0_T1_jT2_SQ_T4_T3_P12ihipStream_tbEUlT_E_NS1_11comp_targetILNS1_3genE4ELNS1_11target_archE910ELNS1_3gpuE8ELNS1_3repE0EEENS1_30default_config_static_selectorELNS0_4arch9wavefront6targetE0EEEvSP_ ; -- Begin function _ZN7rocprim17ROCPRIM_400000_NS6detail17trampoline_kernelINS0_14default_configENS1_32segmented_reduce_config_selectorIfEEZNS1_21segmented_reduce_implIS3_PKfPfPKlfN6hipcub16HIPCUB_304000_NS6detail27convert_result_type_wrapperIS8_S9_N2at6native12_GLOBAL__N_19CustomSumEEEEE10hipError_tPvRmT0_T1_jT2_SQ_T4_T3_P12ihipStream_tbEUlT_E_NS1_11comp_targetILNS1_3genE4ELNS1_11target_archE910ELNS1_3gpuE8ELNS1_3repE0EEENS1_30default_config_static_selectorELNS0_4arch9wavefront6targetE0EEEvSP_
	.p2align	8
	.type	_ZN7rocprim17ROCPRIM_400000_NS6detail17trampoline_kernelINS0_14default_configENS1_32segmented_reduce_config_selectorIfEEZNS1_21segmented_reduce_implIS3_PKfPfPKlfN6hipcub16HIPCUB_304000_NS6detail27convert_result_type_wrapperIS8_S9_N2at6native12_GLOBAL__N_19CustomSumEEEEE10hipError_tPvRmT0_T1_jT2_SQ_T4_T3_P12ihipStream_tbEUlT_E_NS1_11comp_targetILNS1_3genE4ELNS1_11target_archE910ELNS1_3gpuE8ELNS1_3repE0EEENS1_30default_config_static_selectorELNS0_4arch9wavefront6targetE0EEEvSP_,@function
_ZN7rocprim17ROCPRIM_400000_NS6detail17trampoline_kernelINS0_14default_configENS1_32segmented_reduce_config_selectorIfEEZNS1_21segmented_reduce_implIS3_PKfPfPKlfN6hipcub16HIPCUB_304000_NS6detail27convert_result_type_wrapperIS8_S9_N2at6native12_GLOBAL__N_19CustomSumEEEEE10hipError_tPvRmT0_T1_jT2_SQ_T4_T3_P12ihipStream_tbEUlT_E_NS1_11comp_targetILNS1_3genE4ELNS1_11target_archE910ELNS1_3gpuE8ELNS1_3repE0EEENS1_30default_config_static_selectorELNS0_4arch9wavefront6targetE0EEEvSP_: ; @_ZN7rocprim17ROCPRIM_400000_NS6detail17trampoline_kernelINS0_14default_configENS1_32segmented_reduce_config_selectorIfEEZNS1_21segmented_reduce_implIS3_PKfPfPKlfN6hipcub16HIPCUB_304000_NS6detail27convert_result_type_wrapperIS8_S9_N2at6native12_GLOBAL__N_19CustomSumEEEEE10hipError_tPvRmT0_T1_jT2_SQ_T4_T3_P12ihipStream_tbEUlT_E_NS1_11comp_targetILNS1_3genE4ELNS1_11target_archE910ELNS1_3gpuE8ELNS1_3repE0EEENS1_30default_config_static_selectorELNS0_4arch9wavefront6targetE0EEEvSP_
; %bb.0:
	.section	.rodata,"a",@progbits
	.p2align	6, 0x0
	.amdhsa_kernel _ZN7rocprim17ROCPRIM_400000_NS6detail17trampoline_kernelINS0_14default_configENS1_32segmented_reduce_config_selectorIfEEZNS1_21segmented_reduce_implIS3_PKfPfPKlfN6hipcub16HIPCUB_304000_NS6detail27convert_result_type_wrapperIS8_S9_N2at6native12_GLOBAL__N_19CustomSumEEEEE10hipError_tPvRmT0_T1_jT2_SQ_T4_T3_P12ihipStream_tbEUlT_E_NS1_11comp_targetILNS1_3genE4ELNS1_11target_archE910ELNS1_3gpuE8ELNS1_3repE0EEENS1_30default_config_static_selectorELNS0_4arch9wavefront6targetE0EEEvSP_
		.amdhsa_group_segment_fixed_size 0
		.amdhsa_private_segment_fixed_size 0
		.amdhsa_kernarg_size 48
		.amdhsa_user_sgpr_count 2
		.amdhsa_user_sgpr_dispatch_ptr 0
		.amdhsa_user_sgpr_queue_ptr 0
		.amdhsa_user_sgpr_kernarg_segment_ptr 1
		.amdhsa_user_sgpr_dispatch_id 0
		.amdhsa_user_sgpr_kernarg_preload_length 0
		.amdhsa_user_sgpr_kernarg_preload_offset 0
		.amdhsa_user_sgpr_private_segment_size 0
		.amdhsa_wavefront_size32 1
		.amdhsa_uses_dynamic_stack 0
		.amdhsa_enable_private_segment 0
		.amdhsa_system_sgpr_workgroup_id_x 1
		.amdhsa_system_sgpr_workgroup_id_y 0
		.amdhsa_system_sgpr_workgroup_id_z 0
		.amdhsa_system_sgpr_workgroup_info 0
		.amdhsa_system_vgpr_workitem_id 0
		.amdhsa_next_free_vgpr 1
		.amdhsa_next_free_sgpr 1
		.amdhsa_named_barrier_count 0
		.amdhsa_reserve_vcc 0
		.amdhsa_float_round_mode_32 0
		.amdhsa_float_round_mode_16_64 0
		.amdhsa_float_denorm_mode_32 3
		.amdhsa_float_denorm_mode_16_64 3
		.amdhsa_fp16_overflow 0
		.amdhsa_memory_ordered 1
		.amdhsa_forward_progress 1
		.amdhsa_inst_pref_size 0
		.amdhsa_round_robin_scheduling 0
		.amdhsa_exception_fp_ieee_invalid_op 0
		.amdhsa_exception_fp_denorm_src 0
		.amdhsa_exception_fp_ieee_div_zero 0
		.amdhsa_exception_fp_ieee_overflow 0
		.amdhsa_exception_fp_ieee_underflow 0
		.amdhsa_exception_fp_ieee_inexact 0
		.amdhsa_exception_int_div_zero 0
	.end_amdhsa_kernel
	.section	.text._ZN7rocprim17ROCPRIM_400000_NS6detail17trampoline_kernelINS0_14default_configENS1_32segmented_reduce_config_selectorIfEEZNS1_21segmented_reduce_implIS3_PKfPfPKlfN6hipcub16HIPCUB_304000_NS6detail27convert_result_type_wrapperIS8_S9_N2at6native12_GLOBAL__N_19CustomSumEEEEE10hipError_tPvRmT0_T1_jT2_SQ_T4_T3_P12ihipStream_tbEUlT_E_NS1_11comp_targetILNS1_3genE4ELNS1_11target_archE910ELNS1_3gpuE8ELNS1_3repE0EEENS1_30default_config_static_selectorELNS0_4arch9wavefront6targetE0EEEvSP_,"axG",@progbits,_ZN7rocprim17ROCPRIM_400000_NS6detail17trampoline_kernelINS0_14default_configENS1_32segmented_reduce_config_selectorIfEEZNS1_21segmented_reduce_implIS3_PKfPfPKlfN6hipcub16HIPCUB_304000_NS6detail27convert_result_type_wrapperIS8_S9_N2at6native12_GLOBAL__N_19CustomSumEEEEE10hipError_tPvRmT0_T1_jT2_SQ_T4_T3_P12ihipStream_tbEUlT_E_NS1_11comp_targetILNS1_3genE4ELNS1_11target_archE910ELNS1_3gpuE8ELNS1_3repE0EEENS1_30default_config_static_selectorELNS0_4arch9wavefront6targetE0EEEvSP_,comdat
.Lfunc_end190:
	.size	_ZN7rocprim17ROCPRIM_400000_NS6detail17trampoline_kernelINS0_14default_configENS1_32segmented_reduce_config_selectorIfEEZNS1_21segmented_reduce_implIS3_PKfPfPKlfN6hipcub16HIPCUB_304000_NS6detail27convert_result_type_wrapperIS8_S9_N2at6native12_GLOBAL__N_19CustomSumEEEEE10hipError_tPvRmT0_T1_jT2_SQ_T4_T3_P12ihipStream_tbEUlT_E_NS1_11comp_targetILNS1_3genE4ELNS1_11target_archE910ELNS1_3gpuE8ELNS1_3repE0EEENS1_30default_config_static_selectorELNS0_4arch9wavefront6targetE0EEEvSP_, .Lfunc_end190-_ZN7rocprim17ROCPRIM_400000_NS6detail17trampoline_kernelINS0_14default_configENS1_32segmented_reduce_config_selectorIfEEZNS1_21segmented_reduce_implIS3_PKfPfPKlfN6hipcub16HIPCUB_304000_NS6detail27convert_result_type_wrapperIS8_S9_N2at6native12_GLOBAL__N_19CustomSumEEEEE10hipError_tPvRmT0_T1_jT2_SQ_T4_T3_P12ihipStream_tbEUlT_E_NS1_11comp_targetILNS1_3genE4ELNS1_11target_archE910ELNS1_3gpuE8ELNS1_3repE0EEENS1_30default_config_static_selectorELNS0_4arch9wavefront6targetE0EEEvSP_
                                        ; -- End function
	.set _ZN7rocprim17ROCPRIM_400000_NS6detail17trampoline_kernelINS0_14default_configENS1_32segmented_reduce_config_selectorIfEEZNS1_21segmented_reduce_implIS3_PKfPfPKlfN6hipcub16HIPCUB_304000_NS6detail27convert_result_type_wrapperIS8_S9_N2at6native12_GLOBAL__N_19CustomSumEEEEE10hipError_tPvRmT0_T1_jT2_SQ_T4_T3_P12ihipStream_tbEUlT_E_NS1_11comp_targetILNS1_3genE4ELNS1_11target_archE910ELNS1_3gpuE8ELNS1_3repE0EEENS1_30default_config_static_selectorELNS0_4arch9wavefront6targetE0EEEvSP_.num_vgpr, 0
	.set _ZN7rocprim17ROCPRIM_400000_NS6detail17trampoline_kernelINS0_14default_configENS1_32segmented_reduce_config_selectorIfEEZNS1_21segmented_reduce_implIS3_PKfPfPKlfN6hipcub16HIPCUB_304000_NS6detail27convert_result_type_wrapperIS8_S9_N2at6native12_GLOBAL__N_19CustomSumEEEEE10hipError_tPvRmT0_T1_jT2_SQ_T4_T3_P12ihipStream_tbEUlT_E_NS1_11comp_targetILNS1_3genE4ELNS1_11target_archE910ELNS1_3gpuE8ELNS1_3repE0EEENS1_30default_config_static_selectorELNS0_4arch9wavefront6targetE0EEEvSP_.num_agpr, 0
	.set _ZN7rocprim17ROCPRIM_400000_NS6detail17trampoline_kernelINS0_14default_configENS1_32segmented_reduce_config_selectorIfEEZNS1_21segmented_reduce_implIS3_PKfPfPKlfN6hipcub16HIPCUB_304000_NS6detail27convert_result_type_wrapperIS8_S9_N2at6native12_GLOBAL__N_19CustomSumEEEEE10hipError_tPvRmT0_T1_jT2_SQ_T4_T3_P12ihipStream_tbEUlT_E_NS1_11comp_targetILNS1_3genE4ELNS1_11target_archE910ELNS1_3gpuE8ELNS1_3repE0EEENS1_30default_config_static_selectorELNS0_4arch9wavefront6targetE0EEEvSP_.numbered_sgpr, 0
	.set _ZN7rocprim17ROCPRIM_400000_NS6detail17trampoline_kernelINS0_14default_configENS1_32segmented_reduce_config_selectorIfEEZNS1_21segmented_reduce_implIS3_PKfPfPKlfN6hipcub16HIPCUB_304000_NS6detail27convert_result_type_wrapperIS8_S9_N2at6native12_GLOBAL__N_19CustomSumEEEEE10hipError_tPvRmT0_T1_jT2_SQ_T4_T3_P12ihipStream_tbEUlT_E_NS1_11comp_targetILNS1_3genE4ELNS1_11target_archE910ELNS1_3gpuE8ELNS1_3repE0EEENS1_30default_config_static_selectorELNS0_4arch9wavefront6targetE0EEEvSP_.num_named_barrier, 0
	.set _ZN7rocprim17ROCPRIM_400000_NS6detail17trampoline_kernelINS0_14default_configENS1_32segmented_reduce_config_selectorIfEEZNS1_21segmented_reduce_implIS3_PKfPfPKlfN6hipcub16HIPCUB_304000_NS6detail27convert_result_type_wrapperIS8_S9_N2at6native12_GLOBAL__N_19CustomSumEEEEE10hipError_tPvRmT0_T1_jT2_SQ_T4_T3_P12ihipStream_tbEUlT_E_NS1_11comp_targetILNS1_3genE4ELNS1_11target_archE910ELNS1_3gpuE8ELNS1_3repE0EEENS1_30default_config_static_selectorELNS0_4arch9wavefront6targetE0EEEvSP_.private_seg_size, 0
	.set _ZN7rocprim17ROCPRIM_400000_NS6detail17trampoline_kernelINS0_14default_configENS1_32segmented_reduce_config_selectorIfEEZNS1_21segmented_reduce_implIS3_PKfPfPKlfN6hipcub16HIPCUB_304000_NS6detail27convert_result_type_wrapperIS8_S9_N2at6native12_GLOBAL__N_19CustomSumEEEEE10hipError_tPvRmT0_T1_jT2_SQ_T4_T3_P12ihipStream_tbEUlT_E_NS1_11comp_targetILNS1_3genE4ELNS1_11target_archE910ELNS1_3gpuE8ELNS1_3repE0EEENS1_30default_config_static_selectorELNS0_4arch9wavefront6targetE0EEEvSP_.uses_vcc, 0
	.set _ZN7rocprim17ROCPRIM_400000_NS6detail17trampoline_kernelINS0_14default_configENS1_32segmented_reduce_config_selectorIfEEZNS1_21segmented_reduce_implIS3_PKfPfPKlfN6hipcub16HIPCUB_304000_NS6detail27convert_result_type_wrapperIS8_S9_N2at6native12_GLOBAL__N_19CustomSumEEEEE10hipError_tPvRmT0_T1_jT2_SQ_T4_T3_P12ihipStream_tbEUlT_E_NS1_11comp_targetILNS1_3genE4ELNS1_11target_archE910ELNS1_3gpuE8ELNS1_3repE0EEENS1_30default_config_static_selectorELNS0_4arch9wavefront6targetE0EEEvSP_.uses_flat_scratch, 0
	.set _ZN7rocprim17ROCPRIM_400000_NS6detail17trampoline_kernelINS0_14default_configENS1_32segmented_reduce_config_selectorIfEEZNS1_21segmented_reduce_implIS3_PKfPfPKlfN6hipcub16HIPCUB_304000_NS6detail27convert_result_type_wrapperIS8_S9_N2at6native12_GLOBAL__N_19CustomSumEEEEE10hipError_tPvRmT0_T1_jT2_SQ_T4_T3_P12ihipStream_tbEUlT_E_NS1_11comp_targetILNS1_3genE4ELNS1_11target_archE910ELNS1_3gpuE8ELNS1_3repE0EEENS1_30default_config_static_selectorELNS0_4arch9wavefront6targetE0EEEvSP_.has_dyn_sized_stack, 0
	.set _ZN7rocprim17ROCPRIM_400000_NS6detail17trampoline_kernelINS0_14default_configENS1_32segmented_reduce_config_selectorIfEEZNS1_21segmented_reduce_implIS3_PKfPfPKlfN6hipcub16HIPCUB_304000_NS6detail27convert_result_type_wrapperIS8_S9_N2at6native12_GLOBAL__N_19CustomSumEEEEE10hipError_tPvRmT0_T1_jT2_SQ_T4_T3_P12ihipStream_tbEUlT_E_NS1_11comp_targetILNS1_3genE4ELNS1_11target_archE910ELNS1_3gpuE8ELNS1_3repE0EEENS1_30default_config_static_selectorELNS0_4arch9wavefront6targetE0EEEvSP_.has_recursion, 0
	.set _ZN7rocprim17ROCPRIM_400000_NS6detail17trampoline_kernelINS0_14default_configENS1_32segmented_reduce_config_selectorIfEEZNS1_21segmented_reduce_implIS3_PKfPfPKlfN6hipcub16HIPCUB_304000_NS6detail27convert_result_type_wrapperIS8_S9_N2at6native12_GLOBAL__N_19CustomSumEEEEE10hipError_tPvRmT0_T1_jT2_SQ_T4_T3_P12ihipStream_tbEUlT_E_NS1_11comp_targetILNS1_3genE4ELNS1_11target_archE910ELNS1_3gpuE8ELNS1_3repE0EEENS1_30default_config_static_selectorELNS0_4arch9wavefront6targetE0EEEvSP_.has_indirect_call, 0
	.section	.AMDGPU.csdata,"",@progbits
; Kernel info:
; codeLenInByte = 0
; TotalNumSgprs: 0
; NumVgprs: 0
; ScratchSize: 0
; MemoryBound: 0
; FloatMode: 240
; IeeeMode: 1
; LDSByteSize: 0 bytes/workgroup (compile time only)
; SGPRBlocks: 0
; VGPRBlocks: 0
; NumSGPRsForWavesPerEU: 1
; NumVGPRsForWavesPerEU: 1
; NamedBarCnt: 0
; Occupancy: 16
; WaveLimiterHint : 0
; COMPUTE_PGM_RSRC2:SCRATCH_EN: 0
; COMPUTE_PGM_RSRC2:USER_SGPR: 2
; COMPUTE_PGM_RSRC2:TRAP_HANDLER: 0
; COMPUTE_PGM_RSRC2:TGID_X_EN: 1
; COMPUTE_PGM_RSRC2:TGID_Y_EN: 0
; COMPUTE_PGM_RSRC2:TGID_Z_EN: 0
; COMPUTE_PGM_RSRC2:TIDIG_COMP_CNT: 0
	.section	.text._ZN7rocprim17ROCPRIM_400000_NS6detail17trampoline_kernelINS0_14default_configENS1_32segmented_reduce_config_selectorIfEEZNS1_21segmented_reduce_implIS3_PKfPfPKlfN6hipcub16HIPCUB_304000_NS6detail27convert_result_type_wrapperIS8_S9_N2at6native12_GLOBAL__N_19CustomSumEEEEE10hipError_tPvRmT0_T1_jT2_SQ_T4_T3_P12ihipStream_tbEUlT_E_NS1_11comp_targetILNS1_3genE3ELNS1_11target_archE908ELNS1_3gpuE7ELNS1_3repE0EEENS1_30default_config_static_selectorELNS0_4arch9wavefront6targetE0EEEvSP_,"axG",@progbits,_ZN7rocprim17ROCPRIM_400000_NS6detail17trampoline_kernelINS0_14default_configENS1_32segmented_reduce_config_selectorIfEEZNS1_21segmented_reduce_implIS3_PKfPfPKlfN6hipcub16HIPCUB_304000_NS6detail27convert_result_type_wrapperIS8_S9_N2at6native12_GLOBAL__N_19CustomSumEEEEE10hipError_tPvRmT0_T1_jT2_SQ_T4_T3_P12ihipStream_tbEUlT_E_NS1_11comp_targetILNS1_3genE3ELNS1_11target_archE908ELNS1_3gpuE7ELNS1_3repE0EEENS1_30default_config_static_selectorELNS0_4arch9wavefront6targetE0EEEvSP_,comdat
	.globl	_ZN7rocprim17ROCPRIM_400000_NS6detail17trampoline_kernelINS0_14default_configENS1_32segmented_reduce_config_selectorIfEEZNS1_21segmented_reduce_implIS3_PKfPfPKlfN6hipcub16HIPCUB_304000_NS6detail27convert_result_type_wrapperIS8_S9_N2at6native12_GLOBAL__N_19CustomSumEEEEE10hipError_tPvRmT0_T1_jT2_SQ_T4_T3_P12ihipStream_tbEUlT_E_NS1_11comp_targetILNS1_3genE3ELNS1_11target_archE908ELNS1_3gpuE7ELNS1_3repE0EEENS1_30default_config_static_selectorELNS0_4arch9wavefront6targetE0EEEvSP_ ; -- Begin function _ZN7rocprim17ROCPRIM_400000_NS6detail17trampoline_kernelINS0_14default_configENS1_32segmented_reduce_config_selectorIfEEZNS1_21segmented_reduce_implIS3_PKfPfPKlfN6hipcub16HIPCUB_304000_NS6detail27convert_result_type_wrapperIS8_S9_N2at6native12_GLOBAL__N_19CustomSumEEEEE10hipError_tPvRmT0_T1_jT2_SQ_T4_T3_P12ihipStream_tbEUlT_E_NS1_11comp_targetILNS1_3genE3ELNS1_11target_archE908ELNS1_3gpuE7ELNS1_3repE0EEENS1_30default_config_static_selectorELNS0_4arch9wavefront6targetE0EEEvSP_
	.p2align	8
	.type	_ZN7rocprim17ROCPRIM_400000_NS6detail17trampoline_kernelINS0_14default_configENS1_32segmented_reduce_config_selectorIfEEZNS1_21segmented_reduce_implIS3_PKfPfPKlfN6hipcub16HIPCUB_304000_NS6detail27convert_result_type_wrapperIS8_S9_N2at6native12_GLOBAL__N_19CustomSumEEEEE10hipError_tPvRmT0_T1_jT2_SQ_T4_T3_P12ihipStream_tbEUlT_E_NS1_11comp_targetILNS1_3genE3ELNS1_11target_archE908ELNS1_3gpuE7ELNS1_3repE0EEENS1_30default_config_static_selectorELNS0_4arch9wavefront6targetE0EEEvSP_,@function
_ZN7rocprim17ROCPRIM_400000_NS6detail17trampoline_kernelINS0_14default_configENS1_32segmented_reduce_config_selectorIfEEZNS1_21segmented_reduce_implIS3_PKfPfPKlfN6hipcub16HIPCUB_304000_NS6detail27convert_result_type_wrapperIS8_S9_N2at6native12_GLOBAL__N_19CustomSumEEEEE10hipError_tPvRmT0_T1_jT2_SQ_T4_T3_P12ihipStream_tbEUlT_E_NS1_11comp_targetILNS1_3genE3ELNS1_11target_archE908ELNS1_3gpuE7ELNS1_3repE0EEENS1_30default_config_static_selectorELNS0_4arch9wavefront6targetE0EEEvSP_: ; @_ZN7rocprim17ROCPRIM_400000_NS6detail17trampoline_kernelINS0_14default_configENS1_32segmented_reduce_config_selectorIfEEZNS1_21segmented_reduce_implIS3_PKfPfPKlfN6hipcub16HIPCUB_304000_NS6detail27convert_result_type_wrapperIS8_S9_N2at6native12_GLOBAL__N_19CustomSumEEEEE10hipError_tPvRmT0_T1_jT2_SQ_T4_T3_P12ihipStream_tbEUlT_E_NS1_11comp_targetILNS1_3genE3ELNS1_11target_archE908ELNS1_3gpuE7ELNS1_3repE0EEENS1_30default_config_static_selectorELNS0_4arch9wavefront6targetE0EEEvSP_
; %bb.0:
	.section	.rodata,"a",@progbits
	.p2align	6, 0x0
	.amdhsa_kernel _ZN7rocprim17ROCPRIM_400000_NS6detail17trampoline_kernelINS0_14default_configENS1_32segmented_reduce_config_selectorIfEEZNS1_21segmented_reduce_implIS3_PKfPfPKlfN6hipcub16HIPCUB_304000_NS6detail27convert_result_type_wrapperIS8_S9_N2at6native12_GLOBAL__N_19CustomSumEEEEE10hipError_tPvRmT0_T1_jT2_SQ_T4_T3_P12ihipStream_tbEUlT_E_NS1_11comp_targetILNS1_3genE3ELNS1_11target_archE908ELNS1_3gpuE7ELNS1_3repE0EEENS1_30default_config_static_selectorELNS0_4arch9wavefront6targetE0EEEvSP_
		.amdhsa_group_segment_fixed_size 0
		.amdhsa_private_segment_fixed_size 0
		.amdhsa_kernarg_size 48
		.amdhsa_user_sgpr_count 2
		.amdhsa_user_sgpr_dispatch_ptr 0
		.amdhsa_user_sgpr_queue_ptr 0
		.amdhsa_user_sgpr_kernarg_segment_ptr 1
		.amdhsa_user_sgpr_dispatch_id 0
		.amdhsa_user_sgpr_kernarg_preload_length 0
		.amdhsa_user_sgpr_kernarg_preload_offset 0
		.amdhsa_user_sgpr_private_segment_size 0
		.amdhsa_wavefront_size32 1
		.amdhsa_uses_dynamic_stack 0
		.amdhsa_enable_private_segment 0
		.amdhsa_system_sgpr_workgroup_id_x 1
		.amdhsa_system_sgpr_workgroup_id_y 0
		.amdhsa_system_sgpr_workgroup_id_z 0
		.amdhsa_system_sgpr_workgroup_info 0
		.amdhsa_system_vgpr_workitem_id 0
		.amdhsa_next_free_vgpr 1
		.amdhsa_next_free_sgpr 1
		.amdhsa_named_barrier_count 0
		.amdhsa_reserve_vcc 0
		.amdhsa_float_round_mode_32 0
		.amdhsa_float_round_mode_16_64 0
		.amdhsa_float_denorm_mode_32 3
		.amdhsa_float_denorm_mode_16_64 3
		.amdhsa_fp16_overflow 0
		.amdhsa_memory_ordered 1
		.amdhsa_forward_progress 1
		.amdhsa_inst_pref_size 0
		.amdhsa_round_robin_scheduling 0
		.amdhsa_exception_fp_ieee_invalid_op 0
		.amdhsa_exception_fp_denorm_src 0
		.amdhsa_exception_fp_ieee_div_zero 0
		.amdhsa_exception_fp_ieee_overflow 0
		.amdhsa_exception_fp_ieee_underflow 0
		.amdhsa_exception_fp_ieee_inexact 0
		.amdhsa_exception_int_div_zero 0
	.end_amdhsa_kernel
	.section	.text._ZN7rocprim17ROCPRIM_400000_NS6detail17trampoline_kernelINS0_14default_configENS1_32segmented_reduce_config_selectorIfEEZNS1_21segmented_reduce_implIS3_PKfPfPKlfN6hipcub16HIPCUB_304000_NS6detail27convert_result_type_wrapperIS8_S9_N2at6native12_GLOBAL__N_19CustomSumEEEEE10hipError_tPvRmT0_T1_jT2_SQ_T4_T3_P12ihipStream_tbEUlT_E_NS1_11comp_targetILNS1_3genE3ELNS1_11target_archE908ELNS1_3gpuE7ELNS1_3repE0EEENS1_30default_config_static_selectorELNS0_4arch9wavefront6targetE0EEEvSP_,"axG",@progbits,_ZN7rocprim17ROCPRIM_400000_NS6detail17trampoline_kernelINS0_14default_configENS1_32segmented_reduce_config_selectorIfEEZNS1_21segmented_reduce_implIS3_PKfPfPKlfN6hipcub16HIPCUB_304000_NS6detail27convert_result_type_wrapperIS8_S9_N2at6native12_GLOBAL__N_19CustomSumEEEEE10hipError_tPvRmT0_T1_jT2_SQ_T4_T3_P12ihipStream_tbEUlT_E_NS1_11comp_targetILNS1_3genE3ELNS1_11target_archE908ELNS1_3gpuE7ELNS1_3repE0EEENS1_30default_config_static_selectorELNS0_4arch9wavefront6targetE0EEEvSP_,comdat
.Lfunc_end191:
	.size	_ZN7rocprim17ROCPRIM_400000_NS6detail17trampoline_kernelINS0_14default_configENS1_32segmented_reduce_config_selectorIfEEZNS1_21segmented_reduce_implIS3_PKfPfPKlfN6hipcub16HIPCUB_304000_NS6detail27convert_result_type_wrapperIS8_S9_N2at6native12_GLOBAL__N_19CustomSumEEEEE10hipError_tPvRmT0_T1_jT2_SQ_T4_T3_P12ihipStream_tbEUlT_E_NS1_11comp_targetILNS1_3genE3ELNS1_11target_archE908ELNS1_3gpuE7ELNS1_3repE0EEENS1_30default_config_static_selectorELNS0_4arch9wavefront6targetE0EEEvSP_, .Lfunc_end191-_ZN7rocprim17ROCPRIM_400000_NS6detail17trampoline_kernelINS0_14default_configENS1_32segmented_reduce_config_selectorIfEEZNS1_21segmented_reduce_implIS3_PKfPfPKlfN6hipcub16HIPCUB_304000_NS6detail27convert_result_type_wrapperIS8_S9_N2at6native12_GLOBAL__N_19CustomSumEEEEE10hipError_tPvRmT0_T1_jT2_SQ_T4_T3_P12ihipStream_tbEUlT_E_NS1_11comp_targetILNS1_3genE3ELNS1_11target_archE908ELNS1_3gpuE7ELNS1_3repE0EEENS1_30default_config_static_selectorELNS0_4arch9wavefront6targetE0EEEvSP_
                                        ; -- End function
	.set _ZN7rocprim17ROCPRIM_400000_NS6detail17trampoline_kernelINS0_14default_configENS1_32segmented_reduce_config_selectorIfEEZNS1_21segmented_reduce_implIS3_PKfPfPKlfN6hipcub16HIPCUB_304000_NS6detail27convert_result_type_wrapperIS8_S9_N2at6native12_GLOBAL__N_19CustomSumEEEEE10hipError_tPvRmT0_T1_jT2_SQ_T4_T3_P12ihipStream_tbEUlT_E_NS1_11comp_targetILNS1_3genE3ELNS1_11target_archE908ELNS1_3gpuE7ELNS1_3repE0EEENS1_30default_config_static_selectorELNS0_4arch9wavefront6targetE0EEEvSP_.num_vgpr, 0
	.set _ZN7rocprim17ROCPRIM_400000_NS6detail17trampoline_kernelINS0_14default_configENS1_32segmented_reduce_config_selectorIfEEZNS1_21segmented_reduce_implIS3_PKfPfPKlfN6hipcub16HIPCUB_304000_NS6detail27convert_result_type_wrapperIS8_S9_N2at6native12_GLOBAL__N_19CustomSumEEEEE10hipError_tPvRmT0_T1_jT2_SQ_T4_T3_P12ihipStream_tbEUlT_E_NS1_11comp_targetILNS1_3genE3ELNS1_11target_archE908ELNS1_3gpuE7ELNS1_3repE0EEENS1_30default_config_static_selectorELNS0_4arch9wavefront6targetE0EEEvSP_.num_agpr, 0
	.set _ZN7rocprim17ROCPRIM_400000_NS6detail17trampoline_kernelINS0_14default_configENS1_32segmented_reduce_config_selectorIfEEZNS1_21segmented_reduce_implIS3_PKfPfPKlfN6hipcub16HIPCUB_304000_NS6detail27convert_result_type_wrapperIS8_S9_N2at6native12_GLOBAL__N_19CustomSumEEEEE10hipError_tPvRmT0_T1_jT2_SQ_T4_T3_P12ihipStream_tbEUlT_E_NS1_11comp_targetILNS1_3genE3ELNS1_11target_archE908ELNS1_3gpuE7ELNS1_3repE0EEENS1_30default_config_static_selectorELNS0_4arch9wavefront6targetE0EEEvSP_.numbered_sgpr, 0
	.set _ZN7rocprim17ROCPRIM_400000_NS6detail17trampoline_kernelINS0_14default_configENS1_32segmented_reduce_config_selectorIfEEZNS1_21segmented_reduce_implIS3_PKfPfPKlfN6hipcub16HIPCUB_304000_NS6detail27convert_result_type_wrapperIS8_S9_N2at6native12_GLOBAL__N_19CustomSumEEEEE10hipError_tPvRmT0_T1_jT2_SQ_T4_T3_P12ihipStream_tbEUlT_E_NS1_11comp_targetILNS1_3genE3ELNS1_11target_archE908ELNS1_3gpuE7ELNS1_3repE0EEENS1_30default_config_static_selectorELNS0_4arch9wavefront6targetE0EEEvSP_.num_named_barrier, 0
	.set _ZN7rocprim17ROCPRIM_400000_NS6detail17trampoline_kernelINS0_14default_configENS1_32segmented_reduce_config_selectorIfEEZNS1_21segmented_reduce_implIS3_PKfPfPKlfN6hipcub16HIPCUB_304000_NS6detail27convert_result_type_wrapperIS8_S9_N2at6native12_GLOBAL__N_19CustomSumEEEEE10hipError_tPvRmT0_T1_jT2_SQ_T4_T3_P12ihipStream_tbEUlT_E_NS1_11comp_targetILNS1_3genE3ELNS1_11target_archE908ELNS1_3gpuE7ELNS1_3repE0EEENS1_30default_config_static_selectorELNS0_4arch9wavefront6targetE0EEEvSP_.private_seg_size, 0
	.set _ZN7rocprim17ROCPRIM_400000_NS6detail17trampoline_kernelINS0_14default_configENS1_32segmented_reduce_config_selectorIfEEZNS1_21segmented_reduce_implIS3_PKfPfPKlfN6hipcub16HIPCUB_304000_NS6detail27convert_result_type_wrapperIS8_S9_N2at6native12_GLOBAL__N_19CustomSumEEEEE10hipError_tPvRmT0_T1_jT2_SQ_T4_T3_P12ihipStream_tbEUlT_E_NS1_11comp_targetILNS1_3genE3ELNS1_11target_archE908ELNS1_3gpuE7ELNS1_3repE0EEENS1_30default_config_static_selectorELNS0_4arch9wavefront6targetE0EEEvSP_.uses_vcc, 0
	.set _ZN7rocprim17ROCPRIM_400000_NS6detail17trampoline_kernelINS0_14default_configENS1_32segmented_reduce_config_selectorIfEEZNS1_21segmented_reduce_implIS3_PKfPfPKlfN6hipcub16HIPCUB_304000_NS6detail27convert_result_type_wrapperIS8_S9_N2at6native12_GLOBAL__N_19CustomSumEEEEE10hipError_tPvRmT0_T1_jT2_SQ_T4_T3_P12ihipStream_tbEUlT_E_NS1_11comp_targetILNS1_3genE3ELNS1_11target_archE908ELNS1_3gpuE7ELNS1_3repE0EEENS1_30default_config_static_selectorELNS0_4arch9wavefront6targetE0EEEvSP_.uses_flat_scratch, 0
	.set _ZN7rocprim17ROCPRIM_400000_NS6detail17trampoline_kernelINS0_14default_configENS1_32segmented_reduce_config_selectorIfEEZNS1_21segmented_reduce_implIS3_PKfPfPKlfN6hipcub16HIPCUB_304000_NS6detail27convert_result_type_wrapperIS8_S9_N2at6native12_GLOBAL__N_19CustomSumEEEEE10hipError_tPvRmT0_T1_jT2_SQ_T4_T3_P12ihipStream_tbEUlT_E_NS1_11comp_targetILNS1_3genE3ELNS1_11target_archE908ELNS1_3gpuE7ELNS1_3repE0EEENS1_30default_config_static_selectorELNS0_4arch9wavefront6targetE0EEEvSP_.has_dyn_sized_stack, 0
	.set _ZN7rocprim17ROCPRIM_400000_NS6detail17trampoline_kernelINS0_14default_configENS1_32segmented_reduce_config_selectorIfEEZNS1_21segmented_reduce_implIS3_PKfPfPKlfN6hipcub16HIPCUB_304000_NS6detail27convert_result_type_wrapperIS8_S9_N2at6native12_GLOBAL__N_19CustomSumEEEEE10hipError_tPvRmT0_T1_jT2_SQ_T4_T3_P12ihipStream_tbEUlT_E_NS1_11comp_targetILNS1_3genE3ELNS1_11target_archE908ELNS1_3gpuE7ELNS1_3repE0EEENS1_30default_config_static_selectorELNS0_4arch9wavefront6targetE0EEEvSP_.has_recursion, 0
	.set _ZN7rocprim17ROCPRIM_400000_NS6detail17trampoline_kernelINS0_14default_configENS1_32segmented_reduce_config_selectorIfEEZNS1_21segmented_reduce_implIS3_PKfPfPKlfN6hipcub16HIPCUB_304000_NS6detail27convert_result_type_wrapperIS8_S9_N2at6native12_GLOBAL__N_19CustomSumEEEEE10hipError_tPvRmT0_T1_jT2_SQ_T4_T3_P12ihipStream_tbEUlT_E_NS1_11comp_targetILNS1_3genE3ELNS1_11target_archE908ELNS1_3gpuE7ELNS1_3repE0EEENS1_30default_config_static_selectorELNS0_4arch9wavefront6targetE0EEEvSP_.has_indirect_call, 0
	.section	.AMDGPU.csdata,"",@progbits
; Kernel info:
; codeLenInByte = 0
; TotalNumSgprs: 0
; NumVgprs: 0
; ScratchSize: 0
; MemoryBound: 0
; FloatMode: 240
; IeeeMode: 1
; LDSByteSize: 0 bytes/workgroup (compile time only)
; SGPRBlocks: 0
; VGPRBlocks: 0
; NumSGPRsForWavesPerEU: 1
; NumVGPRsForWavesPerEU: 1
; NamedBarCnt: 0
; Occupancy: 16
; WaveLimiterHint : 0
; COMPUTE_PGM_RSRC2:SCRATCH_EN: 0
; COMPUTE_PGM_RSRC2:USER_SGPR: 2
; COMPUTE_PGM_RSRC2:TRAP_HANDLER: 0
; COMPUTE_PGM_RSRC2:TGID_X_EN: 1
; COMPUTE_PGM_RSRC2:TGID_Y_EN: 0
; COMPUTE_PGM_RSRC2:TGID_Z_EN: 0
; COMPUTE_PGM_RSRC2:TIDIG_COMP_CNT: 0
	.section	.text._ZN7rocprim17ROCPRIM_400000_NS6detail17trampoline_kernelINS0_14default_configENS1_32segmented_reduce_config_selectorIfEEZNS1_21segmented_reduce_implIS3_PKfPfPKlfN6hipcub16HIPCUB_304000_NS6detail27convert_result_type_wrapperIS8_S9_N2at6native12_GLOBAL__N_19CustomSumEEEEE10hipError_tPvRmT0_T1_jT2_SQ_T4_T3_P12ihipStream_tbEUlT_E_NS1_11comp_targetILNS1_3genE2ELNS1_11target_archE906ELNS1_3gpuE6ELNS1_3repE0EEENS1_30default_config_static_selectorELNS0_4arch9wavefront6targetE0EEEvSP_,"axG",@progbits,_ZN7rocprim17ROCPRIM_400000_NS6detail17trampoline_kernelINS0_14default_configENS1_32segmented_reduce_config_selectorIfEEZNS1_21segmented_reduce_implIS3_PKfPfPKlfN6hipcub16HIPCUB_304000_NS6detail27convert_result_type_wrapperIS8_S9_N2at6native12_GLOBAL__N_19CustomSumEEEEE10hipError_tPvRmT0_T1_jT2_SQ_T4_T3_P12ihipStream_tbEUlT_E_NS1_11comp_targetILNS1_3genE2ELNS1_11target_archE906ELNS1_3gpuE6ELNS1_3repE0EEENS1_30default_config_static_selectorELNS0_4arch9wavefront6targetE0EEEvSP_,comdat
	.globl	_ZN7rocprim17ROCPRIM_400000_NS6detail17trampoline_kernelINS0_14default_configENS1_32segmented_reduce_config_selectorIfEEZNS1_21segmented_reduce_implIS3_PKfPfPKlfN6hipcub16HIPCUB_304000_NS6detail27convert_result_type_wrapperIS8_S9_N2at6native12_GLOBAL__N_19CustomSumEEEEE10hipError_tPvRmT0_T1_jT2_SQ_T4_T3_P12ihipStream_tbEUlT_E_NS1_11comp_targetILNS1_3genE2ELNS1_11target_archE906ELNS1_3gpuE6ELNS1_3repE0EEENS1_30default_config_static_selectorELNS0_4arch9wavefront6targetE0EEEvSP_ ; -- Begin function _ZN7rocprim17ROCPRIM_400000_NS6detail17trampoline_kernelINS0_14default_configENS1_32segmented_reduce_config_selectorIfEEZNS1_21segmented_reduce_implIS3_PKfPfPKlfN6hipcub16HIPCUB_304000_NS6detail27convert_result_type_wrapperIS8_S9_N2at6native12_GLOBAL__N_19CustomSumEEEEE10hipError_tPvRmT0_T1_jT2_SQ_T4_T3_P12ihipStream_tbEUlT_E_NS1_11comp_targetILNS1_3genE2ELNS1_11target_archE906ELNS1_3gpuE6ELNS1_3repE0EEENS1_30default_config_static_selectorELNS0_4arch9wavefront6targetE0EEEvSP_
	.p2align	8
	.type	_ZN7rocprim17ROCPRIM_400000_NS6detail17trampoline_kernelINS0_14default_configENS1_32segmented_reduce_config_selectorIfEEZNS1_21segmented_reduce_implIS3_PKfPfPKlfN6hipcub16HIPCUB_304000_NS6detail27convert_result_type_wrapperIS8_S9_N2at6native12_GLOBAL__N_19CustomSumEEEEE10hipError_tPvRmT0_T1_jT2_SQ_T4_T3_P12ihipStream_tbEUlT_E_NS1_11comp_targetILNS1_3genE2ELNS1_11target_archE906ELNS1_3gpuE6ELNS1_3repE0EEENS1_30default_config_static_selectorELNS0_4arch9wavefront6targetE0EEEvSP_,@function
_ZN7rocprim17ROCPRIM_400000_NS6detail17trampoline_kernelINS0_14default_configENS1_32segmented_reduce_config_selectorIfEEZNS1_21segmented_reduce_implIS3_PKfPfPKlfN6hipcub16HIPCUB_304000_NS6detail27convert_result_type_wrapperIS8_S9_N2at6native12_GLOBAL__N_19CustomSumEEEEE10hipError_tPvRmT0_T1_jT2_SQ_T4_T3_P12ihipStream_tbEUlT_E_NS1_11comp_targetILNS1_3genE2ELNS1_11target_archE906ELNS1_3gpuE6ELNS1_3repE0EEENS1_30default_config_static_selectorELNS0_4arch9wavefront6targetE0EEEvSP_: ; @_ZN7rocprim17ROCPRIM_400000_NS6detail17trampoline_kernelINS0_14default_configENS1_32segmented_reduce_config_selectorIfEEZNS1_21segmented_reduce_implIS3_PKfPfPKlfN6hipcub16HIPCUB_304000_NS6detail27convert_result_type_wrapperIS8_S9_N2at6native12_GLOBAL__N_19CustomSumEEEEE10hipError_tPvRmT0_T1_jT2_SQ_T4_T3_P12ihipStream_tbEUlT_E_NS1_11comp_targetILNS1_3genE2ELNS1_11target_archE906ELNS1_3gpuE6ELNS1_3repE0EEENS1_30default_config_static_selectorELNS0_4arch9wavefront6targetE0EEEvSP_
; %bb.0:
	.section	.rodata,"a",@progbits
	.p2align	6, 0x0
	.amdhsa_kernel _ZN7rocprim17ROCPRIM_400000_NS6detail17trampoline_kernelINS0_14default_configENS1_32segmented_reduce_config_selectorIfEEZNS1_21segmented_reduce_implIS3_PKfPfPKlfN6hipcub16HIPCUB_304000_NS6detail27convert_result_type_wrapperIS8_S9_N2at6native12_GLOBAL__N_19CustomSumEEEEE10hipError_tPvRmT0_T1_jT2_SQ_T4_T3_P12ihipStream_tbEUlT_E_NS1_11comp_targetILNS1_3genE2ELNS1_11target_archE906ELNS1_3gpuE6ELNS1_3repE0EEENS1_30default_config_static_selectorELNS0_4arch9wavefront6targetE0EEEvSP_
		.amdhsa_group_segment_fixed_size 0
		.amdhsa_private_segment_fixed_size 0
		.amdhsa_kernarg_size 48
		.amdhsa_user_sgpr_count 2
		.amdhsa_user_sgpr_dispatch_ptr 0
		.amdhsa_user_sgpr_queue_ptr 0
		.amdhsa_user_sgpr_kernarg_segment_ptr 1
		.amdhsa_user_sgpr_dispatch_id 0
		.amdhsa_user_sgpr_kernarg_preload_length 0
		.amdhsa_user_sgpr_kernarg_preload_offset 0
		.amdhsa_user_sgpr_private_segment_size 0
		.amdhsa_wavefront_size32 1
		.amdhsa_uses_dynamic_stack 0
		.amdhsa_enable_private_segment 0
		.amdhsa_system_sgpr_workgroup_id_x 1
		.amdhsa_system_sgpr_workgroup_id_y 0
		.amdhsa_system_sgpr_workgroup_id_z 0
		.amdhsa_system_sgpr_workgroup_info 0
		.amdhsa_system_vgpr_workitem_id 0
		.amdhsa_next_free_vgpr 1
		.amdhsa_next_free_sgpr 1
		.amdhsa_named_barrier_count 0
		.amdhsa_reserve_vcc 0
		.amdhsa_float_round_mode_32 0
		.amdhsa_float_round_mode_16_64 0
		.amdhsa_float_denorm_mode_32 3
		.amdhsa_float_denorm_mode_16_64 3
		.amdhsa_fp16_overflow 0
		.amdhsa_memory_ordered 1
		.amdhsa_forward_progress 1
		.amdhsa_inst_pref_size 0
		.amdhsa_round_robin_scheduling 0
		.amdhsa_exception_fp_ieee_invalid_op 0
		.amdhsa_exception_fp_denorm_src 0
		.amdhsa_exception_fp_ieee_div_zero 0
		.amdhsa_exception_fp_ieee_overflow 0
		.amdhsa_exception_fp_ieee_underflow 0
		.amdhsa_exception_fp_ieee_inexact 0
		.amdhsa_exception_int_div_zero 0
	.end_amdhsa_kernel
	.section	.text._ZN7rocprim17ROCPRIM_400000_NS6detail17trampoline_kernelINS0_14default_configENS1_32segmented_reduce_config_selectorIfEEZNS1_21segmented_reduce_implIS3_PKfPfPKlfN6hipcub16HIPCUB_304000_NS6detail27convert_result_type_wrapperIS8_S9_N2at6native12_GLOBAL__N_19CustomSumEEEEE10hipError_tPvRmT0_T1_jT2_SQ_T4_T3_P12ihipStream_tbEUlT_E_NS1_11comp_targetILNS1_3genE2ELNS1_11target_archE906ELNS1_3gpuE6ELNS1_3repE0EEENS1_30default_config_static_selectorELNS0_4arch9wavefront6targetE0EEEvSP_,"axG",@progbits,_ZN7rocprim17ROCPRIM_400000_NS6detail17trampoline_kernelINS0_14default_configENS1_32segmented_reduce_config_selectorIfEEZNS1_21segmented_reduce_implIS3_PKfPfPKlfN6hipcub16HIPCUB_304000_NS6detail27convert_result_type_wrapperIS8_S9_N2at6native12_GLOBAL__N_19CustomSumEEEEE10hipError_tPvRmT0_T1_jT2_SQ_T4_T3_P12ihipStream_tbEUlT_E_NS1_11comp_targetILNS1_3genE2ELNS1_11target_archE906ELNS1_3gpuE6ELNS1_3repE0EEENS1_30default_config_static_selectorELNS0_4arch9wavefront6targetE0EEEvSP_,comdat
.Lfunc_end192:
	.size	_ZN7rocprim17ROCPRIM_400000_NS6detail17trampoline_kernelINS0_14default_configENS1_32segmented_reduce_config_selectorIfEEZNS1_21segmented_reduce_implIS3_PKfPfPKlfN6hipcub16HIPCUB_304000_NS6detail27convert_result_type_wrapperIS8_S9_N2at6native12_GLOBAL__N_19CustomSumEEEEE10hipError_tPvRmT0_T1_jT2_SQ_T4_T3_P12ihipStream_tbEUlT_E_NS1_11comp_targetILNS1_3genE2ELNS1_11target_archE906ELNS1_3gpuE6ELNS1_3repE0EEENS1_30default_config_static_selectorELNS0_4arch9wavefront6targetE0EEEvSP_, .Lfunc_end192-_ZN7rocprim17ROCPRIM_400000_NS6detail17trampoline_kernelINS0_14default_configENS1_32segmented_reduce_config_selectorIfEEZNS1_21segmented_reduce_implIS3_PKfPfPKlfN6hipcub16HIPCUB_304000_NS6detail27convert_result_type_wrapperIS8_S9_N2at6native12_GLOBAL__N_19CustomSumEEEEE10hipError_tPvRmT0_T1_jT2_SQ_T4_T3_P12ihipStream_tbEUlT_E_NS1_11comp_targetILNS1_3genE2ELNS1_11target_archE906ELNS1_3gpuE6ELNS1_3repE0EEENS1_30default_config_static_selectorELNS0_4arch9wavefront6targetE0EEEvSP_
                                        ; -- End function
	.set _ZN7rocprim17ROCPRIM_400000_NS6detail17trampoline_kernelINS0_14default_configENS1_32segmented_reduce_config_selectorIfEEZNS1_21segmented_reduce_implIS3_PKfPfPKlfN6hipcub16HIPCUB_304000_NS6detail27convert_result_type_wrapperIS8_S9_N2at6native12_GLOBAL__N_19CustomSumEEEEE10hipError_tPvRmT0_T1_jT2_SQ_T4_T3_P12ihipStream_tbEUlT_E_NS1_11comp_targetILNS1_3genE2ELNS1_11target_archE906ELNS1_3gpuE6ELNS1_3repE0EEENS1_30default_config_static_selectorELNS0_4arch9wavefront6targetE0EEEvSP_.num_vgpr, 0
	.set _ZN7rocprim17ROCPRIM_400000_NS6detail17trampoline_kernelINS0_14default_configENS1_32segmented_reduce_config_selectorIfEEZNS1_21segmented_reduce_implIS3_PKfPfPKlfN6hipcub16HIPCUB_304000_NS6detail27convert_result_type_wrapperIS8_S9_N2at6native12_GLOBAL__N_19CustomSumEEEEE10hipError_tPvRmT0_T1_jT2_SQ_T4_T3_P12ihipStream_tbEUlT_E_NS1_11comp_targetILNS1_3genE2ELNS1_11target_archE906ELNS1_3gpuE6ELNS1_3repE0EEENS1_30default_config_static_selectorELNS0_4arch9wavefront6targetE0EEEvSP_.num_agpr, 0
	.set _ZN7rocprim17ROCPRIM_400000_NS6detail17trampoline_kernelINS0_14default_configENS1_32segmented_reduce_config_selectorIfEEZNS1_21segmented_reduce_implIS3_PKfPfPKlfN6hipcub16HIPCUB_304000_NS6detail27convert_result_type_wrapperIS8_S9_N2at6native12_GLOBAL__N_19CustomSumEEEEE10hipError_tPvRmT0_T1_jT2_SQ_T4_T3_P12ihipStream_tbEUlT_E_NS1_11comp_targetILNS1_3genE2ELNS1_11target_archE906ELNS1_3gpuE6ELNS1_3repE0EEENS1_30default_config_static_selectorELNS0_4arch9wavefront6targetE0EEEvSP_.numbered_sgpr, 0
	.set _ZN7rocprim17ROCPRIM_400000_NS6detail17trampoline_kernelINS0_14default_configENS1_32segmented_reduce_config_selectorIfEEZNS1_21segmented_reduce_implIS3_PKfPfPKlfN6hipcub16HIPCUB_304000_NS6detail27convert_result_type_wrapperIS8_S9_N2at6native12_GLOBAL__N_19CustomSumEEEEE10hipError_tPvRmT0_T1_jT2_SQ_T4_T3_P12ihipStream_tbEUlT_E_NS1_11comp_targetILNS1_3genE2ELNS1_11target_archE906ELNS1_3gpuE6ELNS1_3repE0EEENS1_30default_config_static_selectorELNS0_4arch9wavefront6targetE0EEEvSP_.num_named_barrier, 0
	.set _ZN7rocprim17ROCPRIM_400000_NS6detail17trampoline_kernelINS0_14default_configENS1_32segmented_reduce_config_selectorIfEEZNS1_21segmented_reduce_implIS3_PKfPfPKlfN6hipcub16HIPCUB_304000_NS6detail27convert_result_type_wrapperIS8_S9_N2at6native12_GLOBAL__N_19CustomSumEEEEE10hipError_tPvRmT0_T1_jT2_SQ_T4_T3_P12ihipStream_tbEUlT_E_NS1_11comp_targetILNS1_3genE2ELNS1_11target_archE906ELNS1_3gpuE6ELNS1_3repE0EEENS1_30default_config_static_selectorELNS0_4arch9wavefront6targetE0EEEvSP_.private_seg_size, 0
	.set _ZN7rocprim17ROCPRIM_400000_NS6detail17trampoline_kernelINS0_14default_configENS1_32segmented_reduce_config_selectorIfEEZNS1_21segmented_reduce_implIS3_PKfPfPKlfN6hipcub16HIPCUB_304000_NS6detail27convert_result_type_wrapperIS8_S9_N2at6native12_GLOBAL__N_19CustomSumEEEEE10hipError_tPvRmT0_T1_jT2_SQ_T4_T3_P12ihipStream_tbEUlT_E_NS1_11comp_targetILNS1_3genE2ELNS1_11target_archE906ELNS1_3gpuE6ELNS1_3repE0EEENS1_30default_config_static_selectorELNS0_4arch9wavefront6targetE0EEEvSP_.uses_vcc, 0
	.set _ZN7rocprim17ROCPRIM_400000_NS6detail17trampoline_kernelINS0_14default_configENS1_32segmented_reduce_config_selectorIfEEZNS1_21segmented_reduce_implIS3_PKfPfPKlfN6hipcub16HIPCUB_304000_NS6detail27convert_result_type_wrapperIS8_S9_N2at6native12_GLOBAL__N_19CustomSumEEEEE10hipError_tPvRmT0_T1_jT2_SQ_T4_T3_P12ihipStream_tbEUlT_E_NS1_11comp_targetILNS1_3genE2ELNS1_11target_archE906ELNS1_3gpuE6ELNS1_3repE0EEENS1_30default_config_static_selectorELNS0_4arch9wavefront6targetE0EEEvSP_.uses_flat_scratch, 0
	.set _ZN7rocprim17ROCPRIM_400000_NS6detail17trampoline_kernelINS0_14default_configENS1_32segmented_reduce_config_selectorIfEEZNS1_21segmented_reduce_implIS3_PKfPfPKlfN6hipcub16HIPCUB_304000_NS6detail27convert_result_type_wrapperIS8_S9_N2at6native12_GLOBAL__N_19CustomSumEEEEE10hipError_tPvRmT0_T1_jT2_SQ_T4_T3_P12ihipStream_tbEUlT_E_NS1_11comp_targetILNS1_3genE2ELNS1_11target_archE906ELNS1_3gpuE6ELNS1_3repE0EEENS1_30default_config_static_selectorELNS0_4arch9wavefront6targetE0EEEvSP_.has_dyn_sized_stack, 0
	.set _ZN7rocprim17ROCPRIM_400000_NS6detail17trampoline_kernelINS0_14default_configENS1_32segmented_reduce_config_selectorIfEEZNS1_21segmented_reduce_implIS3_PKfPfPKlfN6hipcub16HIPCUB_304000_NS6detail27convert_result_type_wrapperIS8_S9_N2at6native12_GLOBAL__N_19CustomSumEEEEE10hipError_tPvRmT0_T1_jT2_SQ_T4_T3_P12ihipStream_tbEUlT_E_NS1_11comp_targetILNS1_3genE2ELNS1_11target_archE906ELNS1_3gpuE6ELNS1_3repE0EEENS1_30default_config_static_selectorELNS0_4arch9wavefront6targetE0EEEvSP_.has_recursion, 0
	.set _ZN7rocprim17ROCPRIM_400000_NS6detail17trampoline_kernelINS0_14default_configENS1_32segmented_reduce_config_selectorIfEEZNS1_21segmented_reduce_implIS3_PKfPfPKlfN6hipcub16HIPCUB_304000_NS6detail27convert_result_type_wrapperIS8_S9_N2at6native12_GLOBAL__N_19CustomSumEEEEE10hipError_tPvRmT0_T1_jT2_SQ_T4_T3_P12ihipStream_tbEUlT_E_NS1_11comp_targetILNS1_3genE2ELNS1_11target_archE906ELNS1_3gpuE6ELNS1_3repE0EEENS1_30default_config_static_selectorELNS0_4arch9wavefront6targetE0EEEvSP_.has_indirect_call, 0
	.section	.AMDGPU.csdata,"",@progbits
; Kernel info:
; codeLenInByte = 0
; TotalNumSgprs: 0
; NumVgprs: 0
; ScratchSize: 0
; MemoryBound: 0
; FloatMode: 240
; IeeeMode: 1
; LDSByteSize: 0 bytes/workgroup (compile time only)
; SGPRBlocks: 0
; VGPRBlocks: 0
; NumSGPRsForWavesPerEU: 1
; NumVGPRsForWavesPerEU: 1
; NamedBarCnt: 0
; Occupancy: 16
; WaveLimiterHint : 0
; COMPUTE_PGM_RSRC2:SCRATCH_EN: 0
; COMPUTE_PGM_RSRC2:USER_SGPR: 2
; COMPUTE_PGM_RSRC2:TRAP_HANDLER: 0
; COMPUTE_PGM_RSRC2:TGID_X_EN: 1
; COMPUTE_PGM_RSRC2:TGID_Y_EN: 0
; COMPUTE_PGM_RSRC2:TGID_Z_EN: 0
; COMPUTE_PGM_RSRC2:TIDIG_COMP_CNT: 0
	.section	.text._ZN7rocprim17ROCPRIM_400000_NS6detail17trampoline_kernelINS0_14default_configENS1_32segmented_reduce_config_selectorIfEEZNS1_21segmented_reduce_implIS3_PKfPfPKlfN6hipcub16HIPCUB_304000_NS6detail27convert_result_type_wrapperIS8_S9_N2at6native12_GLOBAL__N_19CustomSumEEEEE10hipError_tPvRmT0_T1_jT2_SQ_T4_T3_P12ihipStream_tbEUlT_E_NS1_11comp_targetILNS1_3genE9ELNS1_11target_archE1100ELNS1_3gpuE3ELNS1_3repE0EEENS1_30default_config_static_selectorELNS0_4arch9wavefront6targetE0EEEvSP_,"axG",@progbits,_ZN7rocprim17ROCPRIM_400000_NS6detail17trampoline_kernelINS0_14default_configENS1_32segmented_reduce_config_selectorIfEEZNS1_21segmented_reduce_implIS3_PKfPfPKlfN6hipcub16HIPCUB_304000_NS6detail27convert_result_type_wrapperIS8_S9_N2at6native12_GLOBAL__N_19CustomSumEEEEE10hipError_tPvRmT0_T1_jT2_SQ_T4_T3_P12ihipStream_tbEUlT_E_NS1_11comp_targetILNS1_3genE9ELNS1_11target_archE1100ELNS1_3gpuE3ELNS1_3repE0EEENS1_30default_config_static_selectorELNS0_4arch9wavefront6targetE0EEEvSP_,comdat
	.globl	_ZN7rocprim17ROCPRIM_400000_NS6detail17trampoline_kernelINS0_14default_configENS1_32segmented_reduce_config_selectorIfEEZNS1_21segmented_reduce_implIS3_PKfPfPKlfN6hipcub16HIPCUB_304000_NS6detail27convert_result_type_wrapperIS8_S9_N2at6native12_GLOBAL__N_19CustomSumEEEEE10hipError_tPvRmT0_T1_jT2_SQ_T4_T3_P12ihipStream_tbEUlT_E_NS1_11comp_targetILNS1_3genE9ELNS1_11target_archE1100ELNS1_3gpuE3ELNS1_3repE0EEENS1_30default_config_static_selectorELNS0_4arch9wavefront6targetE0EEEvSP_ ; -- Begin function _ZN7rocprim17ROCPRIM_400000_NS6detail17trampoline_kernelINS0_14default_configENS1_32segmented_reduce_config_selectorIfEEZNS1_21segmented_reduce_implIS3_PKfPfPKlfN6hipcub16HIPCUB_304000_NS6detail27convert_result_type_wrapperIS8_S9_N2at6native12_GLOBAL__N_19CustomSumEEEEE10hipError_tPvRmT0_T1_jT2_SQ_T4_T3_P12ihipStream_tbEUlT_E_NS1_11comp_targetILNS1_3genE9ELNS1_11target_archE1100ELNS1_3gpuE3ELNS1_3repE0EEENS1_30default_config_static_selectorELNS0_4arch9wavefront6targetE0EEEvSP_
	.p2align	8
	.type	_ZN7rocprim17ROCPRIM_400000_NS6detail17trampoline_kernelINS0_14default_configENS1_32segmented_reduce_config_selectorIfEEZNS1_21segmented_reduce_implIS3_PKfPfPKlfN6hipcub16HIPCUB_304000_NS6detail27convert_result_type_wrapperIS8_S9_N2at6native12_GLOBAL__N_19CustomSumEEEEE10hipError_tPvRmT0_T1_jT2_SQ_T4_T3_P12ihipStream_tbEUlT_E_NS1_11comp_targetILNS1_3genE9ELNS1_11target_archE1100ELNS1_3gpuE3ELNS1_3repE0EEENS1_30default_config_static_selectorELNS0_4arch9wavefront6targetE0EEEvSP_,@function
_ZN7rocprim17ROCPRIM_400000_NS6detail17trampoline_kernelINS0_14default_configENS1_32segmented_reduce_config_selectorIfEEZNS1_21segmented_reduce_implIS3_PKfPfPKlfN6hipcub16HIPCUB_304000_NS6detail27convert_result_type_wrapperIS8_S9_N2at6native12_GLOBAL__N_19CustomSumEEEEE10hipError_tPvRmT0_T1_jT2_SQ_T4_T3_P12ihipStream_tbEUlT_E_NS1_11comp_targetILNS1_3genE9ELNS1_11target_archE1100ELNS1_3gpuE3ELNS1_3repE0EEENS1_30default_config_static_selectorELNS0_4arch9wavefront6targetE0EEEvSP_: ; @_ZN7rocprim17ROCPRIM_400000_NS6detail17trampoline_kernelINS0_14default_configENS1_32segmented_reduce_config_selectorIfEEZNS1_21segmented_reduce_implIS3_PKfPfPKlfN6hipcub16HIPCUB_304000_NS6detail27convert_result_type_wrapperIS8_S9_N2at6native12_GLOBAL__N_19CustomSumEEEEE10hipError_tPvRmT0_T1_jT2_SQ_T4_T3_P12ihipStream_tbEUlT_E_NS1_11comp_targetILNS1_3genE9ELNS1_11target_archE1100ELNS1_3gpuE3ELNS1_3repE0EEENS1_30default_config_static_selectorELNS0_4arch9wavefront6targetE0EEEvSP_
; %bb.0:
	.section	.rodata,"a",@progbits
	.p2align	6, 0x0
	.amdhsa_kernel _ZN7rocprim17ROCPRIM_400000_NS6detail17trampoline_kernelINS0_14default_configENS1_32segmented_reduce_config_selectorIfEEZNS1_21segmented_reduce_implIS3_PKfPfPKlfN6hipcub16HIPCUB_304000_NS6detail27convert_result_type_wrapperIS8_S9_N2at6native12_GLOBAL__N_19CustomSumEEEEE10hipError_tPvRmT0_T1_jT2_SQ_T4_T3_P12ihipStream_tbEUlT_E_NS1_11comp_targetILNS1_3genE9ELNS1_11target_archE1100ELNS1_3gpuE3ELNS1_3repE0EEENS1_30default_config_static_selectorELNS0_4arch9wavefront6targetE0EEEvSP_
		.amdhsa_group_segment_fixed_size 0
		.amdhsa_private_segment_fixed_size 0
		.amdhsa_kernarg_size 48
		.amdhsa_user_sgpr_count 2
		.amdhsa_user_sgpr_dispatch_ptr 0
		.amdhsa_user_sgpr_queue_ptr 0
		.amdhsa_user_sgpr_kernarg_segment_ptr 1
		.amdhsa_user_sgpr_dispatch_id 0
		.amdhsa_user_sgpr_kernarg_preload_length 0
		.amdhsa_user_sgpr_kernarg_preload_offset 0
		.amdhsa_user_sgpr_private_segment_size 0
		.amdhsa_wavefront_size32 1
		.amdhsa_uses_dynamic_stack 0
		.amdhsa_enable_private_segment 0
		.amdhsa_system_sgpr_workgroup_id_x 1
		.amdhsa_system_sgpr_workgroup_id_y 0
		.amdhsa_system_sgpr_workgroup_id_z 0
		.amdhsa_system_sgpr_workgroup_info 0
		.amdhsa_system_vgpr_workitem_id 0
		.amdhsa_next_free_vgpr 1
		.amdhsa_next_free_sgpr 1
		.amdhsa_named_barrier_count 0
		.amdhsa_reserve_vcc 0
		.amdhsa_float_round_mode_32 0
		.amdhsa_float_round_mode_16_64 0
		.amdhsa_float_denorm_mode_32 3
		.amdhsa_float_denorm_mode_16_64 3
		.amdhsa_fp16_overflow 0
		.amdhsa_memory_ordered 1
		.amdhsa_forward_progress 1
		.amdhsa_inst_pref_size 0
		.amdhsa_round_robin_scheduling 0
		.amdhsa_exception_fp_ieee_invalid_op 0
		.amdhsa_exception_fp_denorm_src 0
		.amdhsa_exception_fp_ieee_div_zero 0
		.amdhsa_exception_fp_ieee_overflow 0
		.amdhsa_exception_fp_ieee_underflow 0
		.amdhsa_exception_fp_ieee_inexact 0
		.amdhsa_exception_int_div_zero 0
	.end_amdhsa_kernel
	.section	.text._ZN7rocprim17ROCPRIM_400000_NS6detail17trampoline_kernelINS0_14default_configENS1_32segmented_reduce_config_selectorIfEEZNS1_21segmented_reduce_implIS3_PKfPfPKlfN6hipcub16HIPCUB_304000_NS6detail27convert_result_type_wrapperIS8_S9_N2at6native12_GLOBAL__N_19CustomSumEEEEE10hipError_tPvRmT0_T1_jT2_SQ_T4_T3_P12ihipStream_tbEUlT_E_NS1_11comp_targetILNS1_3genE9ELNS1_11target_archE1100ELNS1_3gpuE3ELNS1_3repE0EEENS1_30default_config_static_selectorELNS0_4arch9wavefront6targetE0EEEvSP_,"axG",@progbits,_ZN7rocprim17ROCPRIM_400000_NS6detail17trampoline_kernelINS0_14default_configENS1_32segmented_reduce_config_selectorIfEEZNS1_21segmented_reduce_implIS3_PKfPfPKlfN6hipcub16HIPCUB_304000_NS6detail27convert_result_type_wrapperIS8_S9_N2at6native12_GLOBAL__N_19CustomSumEEEEE10hipError_tPvRmT0_T1_jT2_SQ_T4_T3_P12ihipStream_tbEUlT_E_NS1_11comp_targetILNS1_3genE9ELNS1_11target_archE1100ELNS1_3gpuE3ELNS1_3repE0EEENS1_30default_config_static_selectorELNS0_4arch9wavefront6targetE0EEEvSP_,comdat
.Lfunc_end193:
	.size	_ZN7rocprim17ROCPRIM_400000_NS6detail17trampoline_kernelINS0_14default_configENS1_32segmented_reduce_config_selectorIfEEZNS1_21segmented_reduce_implIS3_PKfPfPKlfN6hipcub16HIPCUB_304000_NS6detail27convert_result_type_wrapperIS8_S9_N2at6native12_GLOBAL__N_19CustomSumEEEEE10hipError_tPvRmT0_T1_jT2_SQ_T4_T3_P12ihipStream_tbEUlT_E_NS1_11comp_targetILNS1_3genE9ELNS1_11target_archE1100ELNS1_3gpuE3ELNS1_3repE0EEENS1_30default_config_static_selectorELNS0_4arch9wavefront6targetE0EEEvSP_, .Lfunc_end193-_ZN7rocprim17ROCPRIM_400000_NS6detail17trampoline_kernelINS0_14default_configENS1_32segmented_reduce_config_selectorIfEEZNS1_21segmented_reduce_implIS3_PKfPfPKlfN6hipcub16HIPCUB_304000_NS6detail27convert_result_type_wrapperIS8_S9_N2at6native12_GLOBAL__N_19CustomSumEEEEE10hipError_tPvRmT0_T1_jT2_SQ_T4_T3_P12ihipStream_tbEUlT_E_NS1_11comp_targetILNS1_3genE9ELNS1_11target_archE1100ELNS1_3gpuE3ELNS1_3repE0EEENS1_30default_config_static_selectorELNS0_4arch9wavefront6targetE0EEEvSP_
                                        ; -- End function
	.set _ZN7rocprim17ROCPRIM_400000_NS6detail17trampoline_kernelINS0_14default_configENS1_32segmented_reduce_config_selectorIfEEZNS1_21segmented_reduce_implIS3_PKfPfPKlfN6hipcub16HIPCUB_304000_NS6detail27convert_result_type_wrapperIS8_S9_N2at6native12_GLOBAL__N_19CustomSumEEEEE10hipError_tPvRmT0_T1_jT2_SQ_T4_T3_P12ihipStream_tbEUlT_E_NS1_11comp_targetILNS1_3genE9ELNS1_11target_archE1100ELNS1_3gpuE3ELNS1_3repE0EEENS1_30default_config_static_selectorELNS0_4arch9wavefront6targetE0EEEvSP_.num_vgpr, 0
	.set _ZN7rocprim17ROCPRIM_400000_NS6detail17trampoline_kernelINS0_14default_configENS1_32segmented_reduce_config_selectorIfEEZNS1_21segmented_reduce_implIS3_PKfPfPKlfN6hipcub16HIPCUB_304000_NS6detail27convert_result_type_wrapperIS8_S9_N2at6native12_GLOBAL__N_19CustomSumEEEEE10hipError_tPvRmT0_T1_jT2_SQ_T4_T3_P12ihipStream_tbEUlT_E_NS1_11comp_targetILNS1_3genE9ELNS1_11target_archE1100ELNS1_3gpuE3ELNS1_3repE0EEENS1_30default_config_static_selectorELNS0_4arch9wavefront6targetE0EEEvSP_.num_agpr, 0
	.set _ZN7rocprim17ROCPRIM_400000_NS6detail17trampoline_kernelINS0_14default_configENS1_32segmented_reduce_config_selectorIfEEZNS1_21segmented_reduce_implIS3_PKfPfPKlfN6hipcub16HIPCUB_304000_NS6detail27convert_result_type_wrapperIS8_S9_N2at6native12_GLOBAL__N_19CustomSumEEEEE10hipError_tPvRmT0_T1_jT2_SQ_T4_T3_P12ihipStream_tbEUlT_E_NS1_11comp_targetILNS1_3genE9ELNS1_11target_archE1100ELNS1_3gpuE3ELNS1_3repE0EEENS1_30default_config_static_selectorELNS0_4arch9wavefront6targetE0EEEvSP_.numbered_sgpr, 0
	.set _ZN7rocprim17ROCPRIM_400000_NS6detail17trampoline_kernelINS0_14default_configENS1_32segmented_reduce_config_selectorIfEEZNS1_21segmented_reduce_implIS3_PKfPfPKlfN6hipcub16HIPCUB_304000_NS6detail27convert_result_type_wrapperIS8_S9_N2at6native12_GLOBAL__N_19CustomSumEEEEE10hipError_tPvRmT0_T1_jT2_SQ_T4_T3_P12ihipStream_tbEUlT_E_NS1_11comp_targetILNS1_3genE9ELNS1_11target_archE1100ELNS1_3gpuE3ELNS1_3repE0EEENS1_30default_config_static_selectorELNS0_4arch9wavefront6targetE0EEEvSP_.num_named_barrier, 0
	.set _ZN7rocprim17ROCPRIM_400000_NS6detail17trampoline_kernelINS0_14default_configENS1_32segmented_reduce_config_selectorIfEEZNS1_21segmented_reduce_implIS3_PKfPfPKlfN6hipcub16HIPCUB_304000_NS6detail27convert_result_type_wrapperIS8_S9_N2at6native12_GLOBAL__N_19CustomSumEEEEE10hipError_tPvRmT0_T1_jT2_SQ_T4_T3_P12ihipStream_tbEUlT_E_NS1_11comp_targetILNS1_3genE9ELNS1_11target_archE1100ELNS1_3gpuE3ELNS1_3repE0EEENS1_30default_config_static_selectorELNS0_4arch9wavefront6targetE0EEEvSP_.private_seg_size, 0
	.set _ZN7rocprim17ROCPRIM_400000_NS6detail17trampoline_kernelINS0_14default_configENS1_32segmented_reduce_config_selectorIfEEZNS1_21segmented_reduce_implIS3_PKfPfPKlfN6hipcub16HIPCUB_304000_NS6detail27convert_result_type_wrapperIS8_S9_N2at6native12_GLOBAL__N_19CustomSumEEEEE10hipError_tPvRmT0_T1_jT2_SQ_T4_T3_P12ihipStream_tbEUlT_E_NS1_11comp_targetILNS1_3genE9ELNS1_11target_archE1100ELNS1_3gpuE3ELNS1_3repE0EEENS1_30default_config_static_selectorELNS0_4arch9wavefront6targetE0EEEvSP_.uses_vcc, 0
	.set _ZN7rocprim17ROCPRIM_400000_NS6detail17trampoline_kernelINS0_14default_configENS1_32segmented_reduce_config_selectorIfEEZNS1_21segmented_reduce_implIS3_PKfPfPKlfN6hipcub16HIPCUB_304000_NS6detail27convert_result_type_wrapperIS8_S9_N2at6native12_GLOBAL__N_19CustomSumEEEEE10hipError_tPvRmT0_T1_jT2_SQ_T4_T3_P12ihipStream_tbEUlT_E_NS1_11comp_targetILNS1_3genE9ELNS1_11target_archE1100ELNS1_3gpuE3ELNS1_3repE0EEENS1_30default_config_static_selectorELNS0_4arch9wavefront6targetE0EEEvSP_.uses_flat_scratch, 0
	.set _ZN7rocprim17ROCPRIM_400000_NS6detail17trampoline_kernelINS0_14default_configENS1_32segmented_reduce_config_selectorIfEEZNS1_21segmented_reduce_implIS3_PKfPfPKlfN6hipcub16HIPCUB_304000_NS6detail27convert_result_type_wrapperIS8_S9_N2at6native12_GLOBAL__N_19CustomSumEEEEE10hipError_tPvRmT0_T1_jT2_SQ_T4_T3_P12ihipStream_tbEUlT_E_NS1_11comp_targetILNS1_3genE9ELNS1_11target_archE1100ELNS1_3gpuE3ELNS1_3repE0EEENS1_30default_config_static_selectorELNS0_4arch9wavefront6targetE0EEEvSP_.has_dyn_sized_stack, 0
	.set _ZN7rocprim17ROCPRIM_400000_NS6detail17trampoline_kernelINS0_14default_configENS1_32segmented_reduce_config_selectorIfEEZNS1_21segmented_reduce_implIS3_PKfPfPKlfN6hipcub16HIPCUB_304000_NS6detail27convert_result_type_wrapperIS8_S9_N2at6native12_GLOBAL__N_19CustomSumEEEEE10hipError_tPvRmT0_T1_jT2_SQ_T4_T3_P12ihipStream_tbEUlT_E_NS1_11comp_targetILNS1_3genE9ELNS1_11target_archE1100ELNS1_3gpuE3ELNS1_3repE0EEENS1_30default_config_static_selectorELNS0_4arch9wavefront6targetE0EEEvSP_.has_recursion, 0
	.set _ZN7rocprim17ROCPRIM_400000_NS6detail17trampoline_kernelINS0_14default_configENS1_32segmented_reduce_config_selectorIfEEZNS1_21segmented_reduce_implIS3_PKfPfPKlfN6hipcub16HIPCUB_304000_NS6detail27convert_result_type_wrapperIS8_S9_N2at6native12_GLOBAL__N_19CustomSumEEEEE10hipError_tPvRmT0_T1_jT2_SQ_T4_T3_P12ihipStream_tbEUlT_E_NS1_11comp_targetILNS1_3genE9ELNS1_11target_archE1100ELNS1_3gpuE3ELNS1_3repE0EEENS1_30default_config_static_selectorELNS0_4arch9wavefront6targetE0EEEvSP_.has_indirect_call, 0
	.section	.AMDGPU.csdata,"",@progbits
; Kernel info:
; codeLenInByte = 0
; TotalNumSgprs: 0
; NumVgprs: 0
; ScratchSize: 0
; MemoryBound: 0
; FloatMode: 240
; IeeeMode: 1
; LDSByteSize: 0 bytes/workgroup (compile time only)
; SGPRBlocks: 0
; VGPRBlocks: 0
; NumSGPRsForWavesPerEU: 1
; NumVGPRsForWavesPerEU: 1
; NamedBarCnt: 0
; Occupancy: 16
; WaveLimiterHint : 0
; COMPUTE_PGM_RSRC2:SCRATCH_EN: 0
; COMPUTE_PGM_RSRC2:USER_SGPR: 2
; COMPUTE_PGM_RSRC2:TRAP_HANDLER: 0
; COMPUTE_PGM_RSRC2:TGID_X_EN: 1
; COMPUTE_PGM_RSRC2:TGID_Y_EN: 0
; COMPUTE_PGM_RSRC2:TGID_Z_EN: 0
; COMPUTE_PGM_RSRC2:TIDIG_COMP_CNT: 0
	.section	.text._ZN7rocprim17ROCPRIM_400000_NS6detail17trampoline_kernelINS0_14default_configENS1_32segmented_reduce_config_selectorIfEEZNS1_21segmented_reduce_implIS3_PKfPfPKlfN6hipcub16HIPCUB_304000_NS6detail27convert_result_type_wrapperIS8_S9_N2at6native12_GLOBAL__N_19CustomSumEEEEE10hipError_tPvRmT0_T1_jT2_SQ_T4_T3_P12ihipStream_tbEUlT_E_NS1_11comp_targetILNS1_3genE8ELNS1_11target_archE1030ELNS1_3gpuE2ELNS1_3repE0EEENS1_30default_config_static_selectorELNS0_4arch9wavefront6targetE0EEEvSP_,"axG",@progbits,_ZN7rocprim17ROCPRIM_400000_NS6detail17trampoline_kernelINS0_14default_configENS1_32segmented_reduce_config_selectorIfEEZNS1_21segmented_reduce_implIS3_PKfPfPKlfN6hipcub16HIPCUB_304000_NS6detail27convert_result_type_wrapperIS8_S9_N2at6native12_GLOBAL__N_19CustomSumEEEEE10hipError_tPvRmT0_T1_jT2_SQ_T4_T3_P12ihipStream_tbEUlT_E_NS1_11comp_targetILNS1_3genE8ELNS1_11target_archE1030ELNS1_3gpuE2ELNS1_3repE0EEENS1_30default_config_static_selectorELNS0_4arch9wavefront6targetE0EEEvSP_,comdat
	.globl	_ZN7rocprim17ROCPRIM_400000_NS6detail17trampoline_kernelINS0_14default_configENS1_32segmented_reduce_config_selectorIfEEZNS1_21segmented_reduce_implIS3_PKfPfPKlfN6hipcub16HIPCUB_304000_NS6detail27convert_result_type_wrapperIS8_S9_N2at6native12_GLOBAL__N_19CustomSumEEEEE10hipError_tPvRmT0_T1_jT2_SQ_T4_T3_P12ihipStream_tbEUlT_E_NS1_11comp_targetILNS1_3genE8ELNS1_11target_archE1030ELNS1_3gpuE2ELNS1_3repE0EEENS1_30default_config_static_selectorELNS0_4arch9wavefront6targetE0EEEvSP_ ; -- Begin function _ZN7rocprim17ROCPRIM_400000_NS6detail17trampoline_kernelINS0_14default_configENS1_32segmented_reduce_config_selectorIfEEZNS1_21segmented_reduce_implIS3_PKfPfPKlfN6hipcub16HIPCUB_304000_NS6detail27convert_result_type_wrapperIS8_S9_N2at6native12_GLOBAL__N_19CustomSumEEEEE10hipError_tPvRmT0_T1_jT2_SQ_T4_T3_P12ihipStream_tbEUlT_E_NS1_11comp_targetILNS1_3genE8ELNS1_11target_archE1030ELNS1_3gpuE2ELNS1_3repE0EEENS1_30default_config_static_selectorELNS0_4arch9wavefront6targetE0EEEvSP_
	.p2align	8
	.type	_ZN7rocprim17ROCPRIM_400000_NS6detail17trampoline_kernelINS0_14default_configENS1_32segmented_reduce_config_selectorIfEEZNS1_21segmented_reduce_implIS3_PKfPfPKlfN6hipcub16HIPCUB_304000_NS6detail27convert_result_type_wrapperIS8_S9_N2at6native12_GLOBAL__N_19CustomSumEEEEE10hipError_tPvRmT0_T1_jT2_SQ_T4_T3_P12ihipStream_tbEUlT_E_NS1_11comp_targetILNS1_3genE8ELNS1_11target_archE1030ELNS1_3gpuE2ELNS1_3repE0EEENS1_30default_config_static_selectorELNS0_4arch9wavefront6targetE0EEEvSP_,@function
_ZN7rocprim17ROCPRIM_400000_NS6detail17trampoline_kernelINS0_14default_configENS1_32segmented_reduce_config_selectorIfEEZNS1_21segmented_reduce_implIS3_PKfPfPKlfN6hipcub16HIPCUB_304000_NS6detail27convert_result_type_wrapperIS8_S9_N2at6native12_GLOBAL__N_19CustomSumEEEEE10hipError_tPvRmT0_T1_jT2_SQ_T4_T3_P12ihipStream_tbEUlT_E_NS1_11comp_targetILNS1_3genE8ELNS1_11target_archE1030ELNS1_3gpuE2ELNS1_3repE0EEENS1_30default_config_static_selectorELNS0_4arch9wavefront6targetE0EEEvSP_: ; @_ZN7rocprim17ROCPRIM_400000_NS6detail17trampoline_kernelINS0_14default_configENS1_32segmented_reduce_config_selectorIfEEZNS1_21segmented_reduce_implIS3_PKfPfPKlfN6hipcub16HIPCUB_304000_NS6detail27convert_result_type_wrapperIS8_S9_N2at6native12_GLOBAL__N_19CustomSumEEEEE10hipError_tPvRmT0_T1_jT2_SQ_T4_T3_P12ihipStream_tbEUlT_E_NS1_11comp_targetILNS1_3genE8ELNS1_11target_archE1030ELNS1_3gpuE2ELNS1_3repE0EEENS1_30default_config_static_selectorELNS0_4arch9wavefront6targetE0EEEvSP_
; %bb.0:
	.section	.rodata,"a",@progbits
	.p2align	6, 0x0
	.amdhsa_kernel _ZN7rocprim17ROCPRIM_400000_NS6detail17trampoline_kernelINS0_14default_configENS1_32segmented_reduce_config_selectorIfEEZNS1_21segmented_reduce_implIS3_PKfPfPKlfN6hipcub16HIPCUB_304000_NS6detail27convert_result_type_wrapperIS8_S9_N2at6native12_GLOBAL__N_19CustomSumEEEEE10hipError_tPvRmT0_T1_jT2_SQ_T4_T3_P12ihipStream_tbEUlT_E_NS1_11comp_targetILNS1_3genE8ELNS1_11target_archE1030ELNS1_3gpuE2ELNS1_3repE0EEENS1_30default_config_static_selectorELNS0_4arch9wavefront6targetE0EEEvSP_
		.amdhsa_group_segment_fixed_size 0
		.amdhsa_private_segment_fixed_size 0
		.amdhsa_kernarg_size 48
		.amdhsa_user_sgpr_count 2
		.amdhsa_user_sgpr_dispatch_ptr 0
		.amdhsa_user_sgpr_queue_ptr 0
		.amdhsa_user_sgpr_kernarg_segment_ptr 1
		.amdhsa_user_sgpr_dispatch_id 0
		.amdhsa_user_sgpr_kernarg_preload_length 0
		.amdhsa_user_sgpr_kernarg_preload_offset 0
		.amdhsa_user_sgpr_private_segment_size 0
		.amdhsa_wavefront_size32 1
		.amdhsa_uses_dynamic_stack 0
		.amdhsa_enable_private_segment 0
		.amdhsa_system_sgpr_workgroup_id_x 1
		.amdhsa_system_sgpr_workgroup_id_y 0
		.amdhsa_system_sgpr_workgroup_id_z 0
		.amdhsa_system_sgpr_workgroup_info 0
		.amdhsa_system_vgpr_workitem_id 0
		.amdhsa_next_free_vgpr 1
		.amdhsa_next_free_sgpr 1
		.amdhsa_named_barrier_count 0
		.amdhsa_reserve_vcc 0
		.amdhsa_float_round_mode_32 0
		.amdhsa_float_round_mode_16_64 0
		.amdhsa_float_denorm_mode_32 3
		.amdhsa_float_denorm_mode_16_64 3
		.amdhsa_fp16_overflow 0
		.amdhsa_memory_ordered 1
		.amdhsa_forward_progress 1
		.amdhsa_inst_pref_size 0
		.amdhsa_round_robin_scheduling 0
		.amdhsa_exception_fp_ieee_invalid_op 0
		.amdhsa_exception_fp_denorm_src 0
		.amdhsa_exception_fp_ieee_div_zero 0
		.amdhsa_exception_fp_ieee_overflow 0
		.amdhsa_exception_fp_ieee_underflow 0
		.amdhsa_exception_fp_ieee_inexact 0
		.amdhsa_exception_int_div_zero 0
	.end_amdhsa_kernel
	.section	.text._ZN7rocprim17ROCPRIM_400000_NS6detail17trampoline_kernelINS0_14default_configENS1_32segmented_reduce_config_selectorIfEEZNS1_21segmented_reduce_implIS3_PKfPfPKlfN6hipcub16HIPCUB_304000_NS6detail27convert_result_type_wrapperIS8_S9_N2at6native12_GLOBAL__N_19CustomSumEEEEE10hipError_tPvRmT0_T1_jT2_SQ_T4_T3_P12ihipStream_tbEUlT_E_NS1_11comp_targetILNS1_3genE8ELNS1_11target_archE1030ELNS1_3gpuE2ELNS1_3repE0EEENS1_30default_config_static_selectorELNS0_4arch9wavefront6targetE0EEEvSP_,"axG",@progbits,_ZN7rocprim17ROCPRIM_400000_NS6detail17trampoline_kernelINS0_14default_configENS1_32segmented_reduce_config_selectorIfEEZNS1_21segmented_reduce_implIS3_PKfPfPKlfN6hipcub16HIPCUB_304000_NS6detail27convert_result_type_wrapperIS8_S9_N2at6native12_GLOBAL__N_19CustomSumEEEEE10hipError_tPvRmT0_T1_jT2_SQ_T4_T3_P12ihipStream_tbEUlT_E_NS1_11comp_targetILNS1_3genE8ELNS1_11target_archE1030ELNS1_3gpuE2ELNS1_3repE0EEENS1_30default_config_static_selectorELNS0_4arch9wavefront6targetE0EEEvSP_,comdat
.Lfunc_end194:
	.size	_ZN7rocprim17ROCPRIM_400000_NS6detail17trampoline_kernelINS0_14default_configENS1_32segmented_reduce_config_selectorIfEEZNS1_21segmented_reduce_implIS3_PKfPfPKlfN6hipcub16HIPCUB_304000_NS6detail27convert_result_type_wrapperIS8_S9_N2at6native12_GLOBAL__N_19CustomSumEEEEE10hipError_tPvRmT0_T1_jT2_SQ_T4_T3_P12ihipStream_tbEUlT_E_NS1_11comp_targetILNS1_3genE8ELNS1_11target_archE1030ELNS1_3gpuE2ELNS1_3repE0EEENS1_30default_config_static_selectorELNS0_4arch9wavefront6targetE0EEEvSP_, .Lfunc_end194-_ZN7rocprim17ROCPRIM_400000_NS6detail17trampoline_kernelINS0_14default_configENS1_32segmented_reduce_config_selectorIfEEZNS1_21segmented_reduce_implIS3_PKfPfPKlfN6hipcub16HIPCUB_304000_NS6detail27convert_result_type_wrapperIS8_S9_N2at6native12_GLOBAL__N_19CustomSumEEEEE10hipError_tPvRmT0_T1_jT2_SQ_T4_T3_P12ihipStream_tbEUlT_E_NS1_11comp_targetILNS1_3genE8ELNS1_11target_archE1030ELNS1_3gpuE2ELNS1_3repE0EEENS1_30default_config_static_selectorELNS0_4arch9wavefront6targetE0EEEvSP_
                                        ; -- End function
	.set _ZN7rocprim17ROCPRIM_400000_NS6detail17trampoline_kernelINS0_14default_configENS1_32segmented_reduce_config_selectorIfEEZNS1_21segmented_reduce_implIS3_PKfPfPKlfN6hipcub16HIPCUB_304000_NS6detail27convert_result_type_wrapperIS8_S9_N2at6native12_GLOBAL__N_19CustomSumEEEEE10hipError_tPvRmT0_T1_jT2_SQ_T4_T3_P12ihipStream_tbEUlT_E_NS1_11comp_targetILNS1_3genE8ELNS1_11target_archE1030ELNS1_3gpuE2ELNS1_3repE0EEENS1_30default_config_static_selectorELNS0_4arch9wavefront6targetE0EEEvSP_.num_vgpr, 0
	.set _ZN7rocprim17ROCPRIM_400000_NS6detail17trampoline_kernelINS0_14default_configENS1_32segmented_reduce_config_selectorIfEEZNS1_21segmented_reduce_implIS3_PKfPfPKlfN6hipcub16HIPCUB_304000_NS6detail27convert_result_type_wrapperIS8_S9_N2at6native12_GLOBAL__N_19CustomSumEEEEE10hipError_tPvRmT0_T1_jT2_SQ_T4_T3_P12ihipStream_tbEUlT_E_NS1_11comp_targetILNS1_3genE8ELNS1_11target_archE1030ELNS1_3gpuE2ELNS1_3repE0EEENS1_30default_config_static_selectorELNS0_4arch9wavefront6targetE0EEEvSP_.num_agpr, 0
	.set _ZN7rocprim17ROCPRIM_400000_NS6detail17trampoline_kernelINS0_14default_configENS1_32segmented_reduce_config_selectorIfEEZNS1_21segmented_reduce_implIS3_PKfPfPKlfN6hipcub16HIPCUB_304000_NS6detail27convert_result_type_wrapperIS8_S9_N2at6native12_GLOBAL__N_19CustomSumEEEEE10hipError_tPvRmT0_T1_jT2_SQ_T4_T3_P12ihipStream_tbEUlT_E_NS1_11comp_targetILNS1_3genE8ELNS1_11target_archE1030ELNS1_3gpuE2ELNS1_3repE0EEENS1_30default_config_static_selectorELNS0_4arch9wavefront6targetE0EEEvSP_.numbered_sgpr, 0
	.set _ZN7rocprim17ROCPRIM_400000_NS6detail17trampoline_kernelINS0_14default_configENS1_32segmented_reduce_config_selectorIfEEZNS1_21segmented_reduce_implIS3_PKfPfPKlfN6hipcub16HIPCUB_304000_NS6detail27convert_result_type_wrapperIS8_S9_N2at6native12_GLOBAL__N_19CustomSumEEEEE10hipError_tPvRmT0_T1_jT2_SQ_T4_T3_P12ihipStream_tbEUlT_E_NS1_11comp_targetILNS1_3genE8ELNS1_11target_archE1030ELNS1_3gpuE2ELNS1_3repE0EEENS1_30default_config_static_selectorELNS0_4arch9wavefront6targetE0EEEvSP_.num_named_barrier, 0
	.set _ZN7rocprim17ROCPRIM_400000_NS6detail17trampoline_kernelINS0_14default_configENS1_32segmented_reduce_config_selectorIfEEZNS1_21segmented_reduce_implIS3_PKfPfPKlfN6hipcub16HIPCUB_304000_NS6detail27convert_result_type_wrapperIS8_S9_N2at6native12_GLOBAL__N_19CustomSumEEEEE10hipError_tPvRmT0_T1_jT2_SQ_T4_T3_P12ihipStream_tbEUlT_E_NS1_11comp_targetILNS1_3genE8ELNS1_11target_archE1030ELNS1_3gpuE2ELNS1_3repE0EEENS1_30default_config_static_selectorELNS0_4arch9wavefront6targetE0EEEvSP_.private_seg_size, 0
	.set _ZN7rocprim17ROCPRIM_400000_NS6detail17trampoline_kernelINS0_14default_configENS1_32segmented_reduce_config_selectorIfEEZNS1_21segmented_reduce_implIS3_PKfPfPKlfN6hipcub16HIPCUB_304000_NS6detail27convert_result_type_wrapperIS8_S9_N2at6native12_GLOBAL__N_19CustomSumEEEEE10hipError_tPvRmT0_T1_jT2_SQ_T4_T3_P12ihipStream_tbEUlT_E_NS1_11comp_targetILNS1_3genE8ELNS1_11target_archE1030ELNS1_3gpuE2ELNS1_3repE0EEENS1_30default_config_static_selectorELNS0_4arch9wavefront6targetE0EEEvSP_.uses_vcc, 0
	.set _ZN7rocprim17ROCPRIM_400000_NS6detail17trampoline_kernelINS0_14default_configENS1_32segmented_reduce_config_selectorIfEEZNS1_21segmented_reduce_implIS3_PKfPfPKlfN6hipcub16HIPCUB_304000_NS6detail27convert_result_type_wrapperIS8_S9_N2at6native12_GLOBAL__N_19CustomSumEEEEE10hipError_tPvRmT0_T1_jT2_SQ_T4_T3_P12ihipStream_tbEUlT_E_NS1_11comp_targetILNS1_3genE8ELNS1_11target_archE1030ELNS1_3gpuE2ELNS1_3repE0EEENS1_30default_config_static_selectorELNS0_4arch9wavefront6targetE0EEEvSP_.uses_flat_scratch, 0
	.set _ZN7rocprim17ROCPRIM_400000_NS6detail17trampoline_kernelINS0_14default_configENS1_32segmented_reduce_config_selectorIfEEZNS1_21segmented_reduce_implIS3_PKfPfPKlfN6hipcub16HIPCUB_304000_NS6detail27convert_result_type_wrapperIS8_S9_N2at6native12_GLOBAL__N_19CustomSumEEEEE10hipError_tPvRmT0_T1_jT2_SQ_T4_T3_P12ihipStream_tbEUlT_E_NS1_11comp_targetILNS1_3genE8ELNS1_11target_archE1030ELNS1_3gpuE2ELNS1_3repE0EEENS1_30default_config_static_selectorELNS0_4arch9wavefront6targetE0EEEvSP_.has_dyn_sized_stack, 0
	.set _ZN7rocprim17ROCPRIM_400000_NS6detail17trampoline_kernelINS0_14default_configENS1_32segmented_reduce_config_selectorIfEEZNS1_21segmented_reduce_implIS3_PKfPfPKlfN6hipcub16HIPCUB_304000_NS6detail27convert_result_type_wrapperIS8_S9_N2at6native12_GLOBAL__N_19CustomSumEEEEE10hipError_tPvRmT0_T1_jT2_SQ_T4_T3_P12ihipStream_tbEUlT_E_NS1_11comp_targetILNS1_3genE8ELNS1_11target_archE1030ELNS1_3gpuE2ELNS1_3repE0EEENS1_30default_config_static_selectorELNS0_4arch9wavefront6targetE0EEEvSP_.has_recursion, 0
	.set _ZN7rocprim17ROCPRIM_400000_NS6detail17trampoline_kernelINS0_14default_configENS1_32segmented_reduce_config_selectorIfEEZNS1_21segmented_reduce_implIS3_PKfPfPKlfN6hipcub16HIPCUB_304000_NS6detail27convert_result_type_wrapperIS8_S9_N2at6native12_GLOBAL__N_19CustomSumEEEEE10hipError_tPvRmT0_T1_jT2_SQ_T4_T3_P12ihipStream_tbEUlT_E_NS1_11comp_targetILNS1_3genE8ELNS1_11target_archE1030ELNS1_3gpuE2ELNS1_3repE0EEENS1_30default_config_static_selectorELNS0_4arch9wavefront6targetE0EEEvSP_.has_indirect_call, 0
	.section	.AMDGPU.csdata,"",@progbits
; Kernel info:
; codeLenInByte = 0
; TotalNumSgprs: 0
; NumVgprs: 0
; ScratchSize: 0
; MemoryBound: 0
; FloatMode: 240
; IeeeMode: 1
; LDSByteSize: 0 bytes/workgroup (compile time only)
; SGPRBlocks: 0
; VGPRBlocks: 0
; NumSGPRsForWavesPerEU: 1
; NumVGPRsForWavesPerEU: 1
; NamedBarCnt: 0
; Occupancy: 16
; WaveLimiterHint : 0
; COMPUTE_PGM_RSRC2:SCRATCH_EN: 0
; COMPUTE_PGM_RSRC2:USER_SGPR: 2
; COMPUTE_PGM_RSRC2:TRAP_HANDLER: 0
; COMPUTE_PGM_RSRC2:TGID_X_EN: 1
; COMPUTE_PGM_RSRC2:TGID_Y_EN: 0
; COMPUTE_PGM_RSRC2:TGID_Z_EN: 0
; COMPUTE_PGM_RSRC2:TIDIG_COMP_CNT: 0
	.section	.text._ZN2at6native12_GLOBAL__N_119post_sum_div_kernelIflEEvPT_PKT0_lbS3_,"axG",@progbits,_ZN2at6native12_GLOBAL__N_119post_sum_div_kernelIflEEvPT_PKT0_lbS3_,comdat
	.globl	_ZN2at6native12_GLOBAL__N_119post_sum_div_kernelIflEEvPT_PKT0_lbS3_ ; -- Begin function _ZN2at6native12_GLOBAL__N_119post_sum_div_kernelIflEEvPT_PKT0_lbS3_
	.p2align	8
	.type	_ZN2at6native12_GLOBAL__N_119post_sum_div_kernelIflEEvPT_PKT0_lbS3_,@function
_ZN2at6native12_GLOBAL__N_119post_sum_div_kernelIflEEvPT_PKT0_lbS3_: ; @_ZN2at6native12_GLOBAL__N_119post_sum_div_kernelIflEEvPT_PKT0_lbS3_
; %bb.0:
	s_clause 0x1
	s_load_b32 s4, s[0:1], 0x2c
	s_load_b64 s[2:3], s[0:1], 0x10
	s_bfe_u32 s5, ttmp6, 0x4000c
	s_and_b32 s6, ttmp6, 15
	s_add_co_i32 s5, s5, 1
	s_getreg_b32 s7, hwreg(HW_REG_IB_STS2, 6, 4)
	s_mul_i32 s5, ttmp9, s5
	v_mov_b32_e32 v1, 0
	s_add_co_i32 s6, s6, s5
	s_mov_b32 s9, 0
	s_wait_kmcnt 0x0
	s_and_b32 s8, s4, 0xffff
	s_cmp_eq_u32 s7, 0
	s_cselect_b32 s4, ttmp9, s6
	s_delay_alu instid0(SALU_CYCLE_1) | instskip(SKIP_1) | instid1(VALU_DEP_1)
	v_mad_nc_u64_u32 v[2:3], s8, s4, v[0:1]
	s_mov_b32 s4, exec_lo
	v_cmpx_gt_i64_e64 s[2:3], v[2:3]
	s_cbranch_execz .LBB195_12
; %bb.1:
	s_add_nc_u64 s[10:11], s[0:1], 32
	s_load_b64 s[12:13], s[0:1], 0x18
	s_load_b32 s14, s[10:11], 0x0
	s_load_b128 s[4:7], s[0:1], 0x0
	v_dual_mov_b32 v0, v1 :: v_dual_mov_b32 v1, v2
	s_wait_xcnt 0x0
	s_mov_b32 s0, s9
	s_mov_b32 s11, s9
	s_wait_kmcnt 0x0
	s_bitcmp1_b32 s12, 0
	s_mul_i32 s8, s14, s8
	s_cselect_b32 s10, s13, 0x7fc00000
	s_mov_b32 s1, s8
                                        ; implicit-def: $sgpr12
                                        ; implicit-def: $sgpr14
                                        ; implicit-def: $sgpr13
.LBB195_2:                              ; =>This Inner Loop Header: Depth=1
	v_ashrrev_i64 v[4:5], 29, v[0:1]
	s_or_b32 s13, s13, exec_lo
	s_or_b32 s14, s14, exec_lo
	s_mov_b32 s15, exec_lo
	s_delay_alu instid0(VALU_DEP_1)
	v_add_nc_u64_e32 v[4:5], s[6:7], v[4:5]
	global_load_b64 v[6:7], v[4:5], off
	s_wait_loadcnt 0x0
	s_wait_xcnt 0x0
	v_cmpx_lt_i64_e32 -1, v[6:7]
	s_cbranch_execz .LBB195_10
; %bb.3:                                ;   in Loop: Header=BB195_2 Depth=1
	v_dual_mov_b32 v4, v1 :: v_dual_ashrrev_i32 v5, 31, v1
	v_mov_b32_e32 v8, s10
	s_mov_b32 s17, -1
	s_mov_b32 s16, exec_lo
	s_delay_alu instid0(VALU_DEP_2)
	v_lshl_add_u64 v[4:5], v[4:5], 2, s[4:5]
	v_cmpx_ne_u64_e32 0, v[6:7]
	s_cbranch_execz .LBB195_7
; %bb.4:                                ;   in Loop: Header=BB195_2 Depth=1
	global_load_b32 v9, v[4:5], off
	s_mov_b32 s17, 0
	s_mov_b32 s18, exec_lo
                                        ; implicit-def: $vgpr8
	s_wait_loadcnt 0x0
	s_wait_xcnt 0x0
	v_cmpx_o_f32_e32 v9, v9
	s_cbranch_execz .LBB195_6
; %bb.5:                                ;   in Loop: Header=BB195_2 Depth=1
	v_clz_i32_u32_e32 v8, v7
	s_mov_b32 s17, exec_lo
	s_delay_alu instid0(VALU_DEP_1) | instskip(NEXT) | instid1(VALU_DEP_1)
	v_min_u32_e32 v8, 32, v8
	v_lshlrev_b64_e32 v[6:7], v8, v[6:7]
	s_delay_alu instid0(VALU_DEP_1) | instskip(NEXT) | instid1(VALU_DEP_1)
	v_min_u32_e32 v6, 1, v6
	v_dual_sub_nc_u32 v7, 32, v8 :: v_dual_bitop2_b32 v6, v7, v6 bitop3:0x54
	s_delay_alu instid0(VALU_DEP_1) | instskip(NEXT) | instid1(VALU_DEP_1)
	v_cvt_f32_u32_e32 v6, v6
	v_ldexp_f32 v6, v6, v7
	s_delay_alu instid0(VALU_DEP_1) | instskip(NEXT) | instid1(VALU_DEP_1)
	v_div_scale_f32 v7, null, v6, v6, v9
	v_rcp_f32_e32 v8, v7
	v_nop
	s_delay_alu instid0(TRANS32_DEP_1) | instskip(NEXT) | instid1(VALU_DEP_1)
	v_fma_f32 v10, -v7, v8, 1.0
	v_fmac_f32_e32 v8, v10, v8
	v_div_scale_f32 v10, vcc_lo, v9, v6, v9
	s_delay_alu instid0(VALU_DEP_1) | instskip(NEXT) | instid1(VALU_DEP_1)
	v_mul_f32_e32 v11, v10, v8
	v_fma_f32 v12, -v7, v11, v10
	s_delay_alu instid0(VALU_DEP_1) | instskip(NEXT) | instid1(VALU_DEP_1)
	v_fmac_f32_e32 v11, v12, v8
	v_fma_f32 v7, -v7, v11, v10
	s_delay_alu instid0(VALU_DEP_1) | instskip(NEXT) | instid1(VALU_DEP_1)
	v_div_fmas_f32 v7, v7, v8, v11
	v_div_fixup_f32 v8, v7, v6, v9
.LBB195_6:                              ;   in Loop: Header=BB195_2 Depth=1
	s_or_b32 exec_lo, exec_lo, s18
	s_delay_alu instid0(SALU_CYCLE_1)
	s_or_not1_b32 s17, s17, exec_lo
.LBB195_7:                              ;   in Loop: Header=BB195_2 Depth=1
	s_or_b32 exec_lo, exec_lo, s16
	s_and_saveexec_b32 s16, s17
	s_cbranch_execz .LBB195_9
; %bb.8:                                ;   in Loop: Header=BB195_2 Depth=1
	global_store_b32 v[4:5], v8, off
.LBB195_9:                              ;   in Loop: Header=BB195_2 Depth=1
	s_wait_xcnt 0x0
	s_or_b32 exec_lo, exec_lo, s16
	v_add_nc_u64_e32 v[2:3], s[8:9], v[2:3]
	v_add_nc_u64_e32 v[0:1], s[0:1], v[0:1]
	s_and_not1_b32 s14, s14, exec_lo
	s_and_not1_b32 s13, s13, exec_lo
	s_delay_alu instid0(VALU_DEP_2) | instskip(SKIP_1) | instid1(SALU_CYCLE_1)
	v_cmp_le_i64_e32 vcc_lo, s[2:3], v[2:3]
	s_and_b32 s16, vcc_lo, exec_lo
	s_or_b32 s14, s14, s16
.LBB195_10:                             ;   in Loop: Header=BB195_2 Depth=1
	s_or_b32 exec_lo, exec_lo, s15
	s_delay_alu instid0(SALU_CYCLE_1) | instskip(NEXT) | instid1(SALU_CYCLE_1)
	s_and_b32 s15, exec_lo, s14
	s_or_b32 s11, s15, s11
	s_and_not1_b32 s12, s12, exec_lo
	s_and_b32 s15, s13, exec_lo
	s_delay_alu instid0(SALU_CYCLE_1)
	s_or_b32 s12, s12, s15
	s_and_not1_b32 exec_lo, exec_lo, s11
	s_cbranch_execnz .LBB195_2
; %bb.11:
	s_or_b32 exec_lo, exec_lo, s11
	s_and_saveexec_b32 s0, s12
	s_delay_alu instid0(SALU_CYCLE_1)
	s_xor_b32 s0, exec_lo, s0
	s_cbranch_execnz .LBB195_13
.LBB195_12:
	s_endpgm
.LBB195_13:
	s_trap 2
	; divergent unreachable
	s_endpgm
	.section	.rodata,"a",@progbits
	.p2align	6, 0x0
	.amdhsa_kernel _ZN2at6native12_GLOBAL__N_119post_sum_div_kernelIflEEvPT_PKT0_lbS3_
		.amdhsa_group_segment_fixed_size 0
		.amdhsa_private_segment_fixed_size 0
		.amdhsa_kernarg_size 288
		.amdhsa_user_sgpr_count 2
		.amdhsa_user_sgpr_dispatch_ptr 0
		.amdhsa_user_sgpr_queue_ptr 0
		.amdhsa_user_sgpr_kernarg_segment_ptr 1
		.amdhsa_user_sgpr_dispatch_id 0
		.amdhsa_user_sgpr_kernarg_preload_length 0
		.amdhsa_user_sgpr_kernarg_preload_offset 0
		.amdhsa_user_sgpr_private_segment_size 0
		.amdhsa_wavefront_size32 1
		.amdhsa_uses_dynamic_stack 0
		.amdhsa_enable_private_segment 0
		.amdhsa_system_sgpr_workgroup_id_x 1
		.amdhsa_system_sgpr_workgroup_id_y 0
		.amdhsa_system_sgpr_workgroup_id_z 0
		.amdhsa_system_sgpr_workgroup_info 0
		.amdhsa_system_vgpr_workitem_id 0
		.amdhsa_next_free_vgpr 13
		.amdhsa_next_free_sgpr 19
		.amdhsa_named_barrier_count 0
		.amdhsa_reserve_vcc 1
		.amdhsa_float_round_mode_32 0
		.amdhsa_float_round_mode_16_64 0
		.amdhsa_float_denorm_mode_32 3
		.amdhsa_float_denorm_mode_16_64 3
		.amdhsa_fp16_overflow 0
		.amdhsa_memory_ordered 1
		.amdhsa_forward_progress 1
		.amdhsa_inst_pref_size 5
		.amdhsa_round_robin_scheduling 0
		.amdhsa_exception_fp_ieee_invalid_op 0
		.amdhsa_exception_fp_denorm_src 0
		.amdhsa_exception_fp_ieee_div_zero 0
		.amdhsa_exception_fp_ieee_overflow 0
		.amdhsa_exception_fp_ieee_underflow 0
		.amdhsa_exception_fp_ieee_inexact 0
		.amdhsa_exception_int_div_zero 0
	.end_amdhsa_kernel
	.section	.text._ZN2at6native12_GLOBAL__N_119post_sum_div_kernelIflEEvPT_PKT0_lbS3_,"axG",@progbits,_ZN2at6native12_GLOBAL__N_119post_sum_div_kernelIflEEvPT_PKT0_lbS3_,comdat
.Lfunc_end195:
	.size	_ZN2at6native12_GLOBAL__N_119post_sum_div_kernelIflEEvPT_PKT0_lbS3_, .Lfunc_end195-_ZN2at6native12_GLOBAL__N_119post_sum_div_kernelIflEEvPT_PKT0_lbS3_
                                        ; -- End function
	.set _ZN2at6native12_GLOBAL__N_119post_sum_div_kernelIflEEvPT_PKT0_lbS3_.num_vgpr, 13
	.set _ZN2at6native12_GLOBAL__N_119post_sum_div_kernelIflEEvPT_PKT0_lbS3_.num_agpr, 0
	.set _ZN2at6native12_GLOBAL__N_119post_sum_div_kernelIflEEvPT_PKT0_lbS3_.numbered_sgpr, 19
	.set _ZN2at6native12_GLOBAL__N_119post_sum_div_kernelIflEEvPT_PKT0_lbS3_.num_named_barrier, 0
	.set _ZN2at6native12_GLOBAL__N_119post_sum_div_kernelIflEEvPT_PKT0_lbS3_.private_seg_size, 0
	.set _ZN2at6native12_GLOBAL__N_119post_sum_div_kernelIflEEvPT_PKT0_lbS3_.uses_vcc, 1
	.set _ZN2at6native12_GLOBAL__N_119post_sum_div_kernelIflEEvPT_PKT0_lbS3_.uses_flat_scratch, 0
	.set _ZN2at6native12_GLOBAL__N_119post_sum_div_kernelIflEEvPT_PKT0_lbS3_.has_dyn_sized_stack, 0
	.set _ZN2at6native12_GLOBAL__N_119post_sum_div_kernelIflEEvPT_PKT0_lbS3_.has_recursion, 0
	.set _ZN2at6native12_GLOBAL__N_119post_sum_div_kernelIflEEvPT_PKT0_lbS3_.has_indirect_call, 0
	.section	.AMDGPU.csdata,"",@progbits
; Kernel info:
; codeLenInByte = 608
; TotalNumSgprs: 21
; NumVgprs: 13
; ScratchSize: 0
; MemoryBound: 0
; FloatMode: 240
; IeeeMode: 1
; LDSByteSize: 0 bytes/workgroup (compile time only)
; SGPRBlocks: 0
; VGPRBlocks: 0
; NumSGPRsForWavesPerEU: 21
; NumVGPRsForWavesPerEU: 13
; NamedBarCnt: 0
; Occupancy: 16
; WaveLimiterHint : 0
; COMPUTE_PGM_RSRC2:SCRATCH_EN: 0
; COMPUTE_PGM_RSRC2:USER_SGPR: 2
; COMPUTE_PGM_RSRC2:TRAP_HANDLER: 0
; COMPUTE_PGM_RSRC2:TGID_X_EN: 1
; COMPUTE_PGM_RSRC2:TGID_Y_EN: 0
; COMPUTE_PGM_RSRC2:TGID_Z_EN: 0
; COMPUTE_PGM_RSRC2:TIDIG_COMP_CNT: 0
	.section	.text._ZN7rocprim17ROCPRIM_400000_NS6detail17trampoline_kernelINS0_14default_configENS1_32segmented_reduce_config_selectorIfEEZNS1_21segmented_reduce_implIS3_PKfPfPKlfN6hipcub16HIPCUB_304000_NS6detail27convert_result_type_wrapperIS8_S9_N2at6native12_GLOBAL__N_19CustomMinEEEEE10hipError_tPvRmT0_T1_jT2_SQ_T4_T3_P12ihipStream_tbEUlT_E_NS1_11comp_targetILNS1_3genE0ELNS1_11target_archE4294967295ELNS1_3gpuE0ELNS1_3repE0EEENS1_30default_config_static_selectorELNS0_4arch9wavefront6targetE0EEEvSP_,"axG",@progbits,_ZN7rocprim17ROCPRIM_400000_NS6detail17trampoline_kernelINS0_14default_configENS1_32segmented_reduce_config_selectorIfEEZNS1_21segmented_reduce_implIS3_PKfPfPKlfN6hipcub16HIPCUB_304000_NS6detail27convert_result_type_wrapperIS8_S9_N2at6native12_GLOBAL__N_19CustomMinEEEEE10hipError_tPvRmT0_T1_jT2_SQ_T4_T3_P12ihipStream_tbEUlT_E_NS1_11comp_targetILNS1_3genE0ELNS1_11target_archE4294967295ELNS1_3gpuE0ELNS1_3repE0EEENS1_30default_config_static_selectorELNS0_4arch9wavefront6targetE0EEEvSP_,comdat
	.globl	_ZN7rocprim17ROCPRIM_400000_NS6detail17trampoline_kernelINS0_14default_configENS1_32segmented_reduce_config_selectorIfEEZNS1_21segmented_reduce_implIS3_PKfPfPKlfN6hipcub16HIPCUB_304000_NS6detail27convert_result_type_wrapperIS8_S9_N2at6native12_GLOBAL__N_19CustomMinEEEEE10hipError_tPvRmT0_T1_jT2_SQ_T4_T3_P12ihipStream_tbEUlT_E_NS1_11comp_targetILNS1_3genE0ELNS1_11target_archE4294967295ELNS1_3gpuE0ELNS1_3repE0EEENS1_30default_config_static_selectorELNS0_4arch9wavefront6targetE0EEEvSP_ ; -- Begin function _ZN7rocprim17ROCPRIM_400000_NS6detail17trampoline_kernelINS0_14default_configENS1_32segmented_reduce_config_selectorIfEEZNS1_21segmented_reduce_implIS3_PKfPfPKlfN6hipcub16HIPCUB_304000_NS6detail27convert_result_type_wrapperIS8_S9_N2at6native12_GLOBAL__N_19CustomMinEEEEE10hipError_tPvRmT0_T1_jT2_SQ_T4_T3_P12ihipStream_tbEUlT_E_NS1_11comp_targetILNS1_3genE0ELNS1_11target_archE4294967295ELNS1_3gpuE0ELNS1_3repE0EEENS1_30default_config_static_selectorELNS0_4arch9wavefront6targetE0EEEvSP_
	.p2align	8
	.type	_ZN7rocprim17ROCPRIM_400000_NS6detail17trampoline_kernelINS0_14default_configENS1_32segmented_reduce_config_selectorIfEEZNS1_21segmented_reduce_implIS3_PKfPfPKlfN6hipcub16HIPCUB_304000_NS6detail27convert_result_type_wrapperIS8_S9_N2at6native12_GLOBAL__N_19CustomMinEEEEE10hipError_tPvRmT0_T1_jT2_SQ_T4_T3_P12ihipStream_tbEUlT_E_NS1_11comp_targetILNS1_3genE0ELNS1_11target_archE4294967295ELNS1_3gpuE0ELNS1_3repE0EEENS1_30default_config_static_selectorELNS0_4arch9wavefront6targetE0EEEvSP_,@function
_ZN7rocprim17ROCPRIM_400000_NS6detail17trampoline_kernelINS0_14default_configENS1_32segmented_reduce_config_selectorIfEEZNS1_21segmented_reduce_implIS3_PKfPfPKlfN6hipcub16HIPCUB_304000_NS6detail27convert_result_type_wrapperIS8_S9_N2at6native12_GLOBAL__N_19CustomMinEEEEE10hipError_tPvRmT0_T1_jT2_SQ_T4_T3_P12ihipStream_tbEUlT_E_NS1_11comp_targetILNS1_3genE0ELNS1_11target_archE4294967295ELNS1_3gpuE0ELNS1_3repE0EEENS1_30default_config_static_selectorELNS0_4arch9wavefront6targetE0EEEvSP_: ; @_ZN7rocprim17ROCPRIM_400000_NS6detail17trampoline_kernelINS0_14default_configENS1_32segmented_reduce_config_selectorIfEEZNS1_21segmented_reduce_implIS3_PKfPfPKlfN6hipcub16HIPCUB_304000_NS6detail27convert_result_type_wrapperIS8_S9_N2at6native12_GLOBAL__N_19CustomMinEEEEE10hipError_tPvRmT0_T1_jT2_SQ_T4_T3_P12ihipStream_tbEUlT_E_NS1_11comp_targetILNS1_3genE0ELNS1_11target_archE4294967295ELNS1_3gpuE0ELNS1_3repE0EEENS1_30default_config_static_selectorELNS0_4arch9wavefront6targetE0EEEvSP_
; %bb.0:
	s_clause 0x1
	s_load_b256 s[4:11], s[0:1], 0x0
	s_load_b64 s[12:13], s[0:1], 0x20
	s_bfe_u32 s2, ttmp6, 0x4000c
	s_and_b32 s3, ttmp6, 15
	s_add_co_i32 s2, s2, 1
	s_getreg_b32 s14, hwreg(HW_REG_IB_STS2, 6, 4)
	s_mul_i32 s2, ttmp9, s2
	s_load_b32 s17, s[0:1], 0x2c
	s_add_co_i32 s3, s3, s2
	s_mov_b32 s16, 0
	s_wait_kmcnt 0x0
	s_lshl_b64 s[0:1], s[8:9], 3
	s_cmp_eq_u32 s14, 0
	s_add_nc_u64 s[14:15], s[10:11], s[0:1]
	s_cselect_b32 s2, ttmp9, s3
	s_add_nc_u64 s[0:1], s[12:13], s[0:1]
	s_load_b64 s[12:13], s[14:15], s2 offset:0x0 scale_offset
	s_load_b64 s[10:11], s[0:1], s2 offset:0x0 scale_offset
	s_mov_b32 s3, 0
	s_wait_xcnt 0x0
	s_mov_b32 s1, -1
	s_wait_kmcnt 0x0
	v_cmp_gt_i64_e64 s0, s[10:11], s[12:13]
	s_and_b32 vcc_lo, exec_lo, s0
	v_cmp_eq_u32_e64 s0, 0, v0
	s_cbranch_vccnz .LBB196_2
; %bb.1:
	s_mov_b32 s1, 0
	s_and_b32 s16, s0, exec_lo
.LBB196_2:
	s_and_not1_b32 vcc_lo, exec_lo, s1
	s_cbranch_vccnz .LBB196_131
; %bb.3:
	s_add_nc_u64 s[0:1], s[12:13], 0x1000
	s_delay_alu instid0(SALU_CYCLE_1)
	v_cmp_le_i64_e64 s14, s[0:1], s[10:11]
	s_and_b32 vcc_lo, exec_lo, s14
	s_cbranch_vccz .LBB196_132
; %bb.4:
	s_lshl_b64 s[14:15], s[12:13], 2
	s_mov_b32 s18, exec_lo
	s_add_nc_u64 s[14:15], s[4:5], s[14:15]
	s_clause 0xf
	global_load_b32 v16, v0, s[14:15] scale_offset
	global_load_b32 v1, v0, s[14:15] offset:1024 scale_offset
	global_load_b32 v2, v0, s[14:15] offset:2048 scale_offset
	;; [unrolled: 1-line block ×15, first 2 shown]
	s_wait_loadcnt 0xf
	v_mov_b32_e32 v17, v16
	s_wait_xcnt 0x0
	v_cmpx_o_f32_e32 v16, v16
	s_cbranch_execz .LBB196_8
; %bb.5:
	s_wait_loadcnt 0xe
	v_mov_b32_e32 v17, v1
	s_mov_b32 s19, exec_lo
	v_cmpx_o_f32_e32 v1, v1
; %bb.6:
	v_cmp_lt_f32_e32 vcc_lo, v1, v16
	v_cndmask_b32_e32 v17, v16, v1, vcc_lo
; %bb.7:
	s_or_b32 exec_lo, exec_lo, s19
.LBB196_8:
	s_delay_alu instid0(SALU_CYCLE_1) | instskip(NEXT) | instid1(SALU_CYCLE_1)
	s_or_b32 exec_lo, exec_lo, s18
	s_mov_b32 s18, exec_lo
	s_delay_alu instid0(VALU_DEP_1)
	v_cmpx_o_f32_e32 v17, v17
	s_cbranch_execz .LBB196_12
; %bb.9:
	s_wait_loadcnt 0xd
	v_mov_b32_e32 v18, v2
	s_mov_b32 s19, exec_lo
	v_cmpx_o_f32_e32 v2, v2
; %bb.10:
	v_cmp_lt_f32_e32 vcc_lo, v2, v17
	v_cndmask_b32_e32 v18, v17, v2, vcc_lo
; %bb.11:
	s_or_b32 exec_lo, exec_lo, s19
	s_delay_alu instid0(VALU_DEP_1)
	v_mov_b32_e32 v17, v18
.LBB196_12:
	s_or_b32 exec_lo, exec_lo, s18
	s_delay_alu instid0(SALU_CYCLE_1) | instskip(NEXT) | instid1(VALU_DEP_1)
	s_mov_b32 s18, exec_lo
	v_cmpx_o_f32_e32 v17, v17
	s_cbranch_execz .LBB196_16
; %bb.13:
	s_wait_loadcnt 0xc
	v_mov_b32_e32 v18, v3
	s_mov_b32 s19, exec_lo
	v_cmpx_o_f32_e32 v3, v3
; %bb.14:
	v_cmp_lt_f32_e32 vcc_lo, v3, v17
	v_cndmask_b32_e32 v18, v17, v3, vcc_lo
; %bb.15:
	s_or_b32 exec_lo, exec_lo, s19
	s_delay_alu instid0(VALU_DEP_1)
	v_mov_b32_e32 v17, v18
.LBB196_16:
	s_or_b32 exec_lo, exec_lo, s18
	s_delay_alu instid0(SALU_CYCLE_1) | instskip(NEXT) | instid1(VALU_DEP_1)
	s_mov_b32 s18, exec_lo
	;; [unrolled: 18-line block ×13, first 2 shown]
	v_cmpx_o_f32_e32 v17, v17
	s_cbranch_execz .LBB196_64
; %bb.61:
	s_wait_loadcnt 0x0
	v_mov_b32_e32 v18, v15
	s_mov_b32 s19, exec_lo
	v_cmpx_o_f32_e32 v15, v15
; %bb.62:
	v_cmp_lt_f32_e32 vcc_lo, v15, v17
	v_cndmask_b32_e32 v18, v17, v15, vcc_lo
; %bb.63:
	s_or_b32 exec_lo, exec_lo, s19
	s_delay_alu instid0(VALU_DEP_1)
	v_mov_b32_e32 v17, v18
.LBB196_64:
	s_or_b32 exec_lo, exec_lo, s18
	s_add_nc_u64 s[18:19], s[12:13], 0x2000
	s_delay_alu instid0(SALU_CYCLE_1)
	v_cmp_ge_i64_e64 s18, s[18:19], s[10:11]
	s_and_b32 vcc_lo, exec_lo, s18
	s_cbranch_vccnz .LBB196_133
; %bb.65:
	s_wait_loadcnt 0xc
	v_dual_mov_b32 v3, 0 :: v_dual_lshlrev_b32 v2, 2, v0
	s_delay_alu instid0(VALU_DEP_1) | instskip(NEXT) | instid1(VALU_DEP_1)
	v_add_nc_u64_e32 v[2:3], s[14:15], v[2:3]
	v_add_nc_u64_e32 v[18:19], 0x4000, v[2:3]
	s_branch .LBB196_68
.LBB196_66:                             ;   in Loop: Header=BB196_68 Depth=1
	s_or_b32 exec_lo, exec_lo, s15
	s_delay_alu instid0(VALU_DEP_1)
	v_mov_b32_e32 v17, v20
.LBB196_67:                             ;   in Loop: Header=BB196_68 Depth=1
	s_or_b32 exec_lo, exec_lo, s14
	s_add_nc_u64 s[14:15], s[0:1], 0x2000
	v_add_nc_u64_e32 v[18:19], 0x4000, v[18:19]
	v_cmp_lt_i64_e64 s14, s[14:15], s[10:11]
	s_add_nc_u64 s[0:1], s[0:1], 0x1000
	s_and_b32 vcc_lo, exec_lo, s14
	s_cbranch_vccz .LBB196_133
.LBB196_68:                             ; =>This Inner Loop Header: Depth=1
	s_wait_loadcnt 0xf
	global_load_b32 v16, v[18:19], off
	s_wait_loadcnt 0xf
	global_load_b32 v1, v[18:19], off offset:1024
	s_wait_loadcnt 0xf
	global_load_b32 v2, v[18:19], off offset:2048
	;; [unrolled: 2-line block ×15, first 2 shown]
	s_mov_b32 s14, exec_lo
	s_wait_xcnt 0x0
	v_cmpx_o_f32_e32 v17, v17
	s_cbranch_execz .LBB196_72
; %bb.69:                               ;   in Loop: Header=BB196_68 Depth=1
	s_wait_loadcnt 0xf
	v_mov_b32_e32 v20, v16
	s_mov_b32 s15, exec_lo
	v_cmpx_o_f32_e32 v16, v16
; %bb.70:                               ;   in Loop: Header=BB196_68 Depth=1
	v_cmp_lt_f32_e32 vcc_lo, v16, v17
	v_cndmask_b32_e32 v20, v17, v16, vcc_lo
; %bb.71:                               ;   in Loop: Header=BB196_68 Depth=1
	s_or_b32 exec_lo, exec_lo, s15
	s_delay_alu instid0(VALU_DEP_1)
	v_mov_b32_e32 v17, v20
.LBB196_72:                             ;   in Loop: Header=BB196_68 Depth=1
	s_or_b32 exec_lo, exec_lo, s14
	s_delay_alu instid0(SALU_CYCLE_1) | instskip(NEXT) | instid1(VALU_DEP_1)
	s_mov_b32 s14, exec_lo
	v_cmpx_o_f32_e32 v17, v17
	s_cbranch_execz .LBB196_76
; %bb.73:                               ;   in Loop: Header=BB196_68 Depth=1
	s_wait_loadcnt 0xe
	v_mov_b32_e32 v20, v1
	s_mov_b32 s15, exec_lo
	v_cmpx_o_f32_e32 v1, v1
; %bb.74:                               ;   in Loop: Header=BB196_68 Depth=1
	v_cmp_lt_f32_e32 vcc_lo, v1, v17
	v_cndmask_b32_e32 v20, v17, v1, vcc_lo
; %bb.75:                               ;   in Loop: Header=BB196_68 Depth=1
	s_or_b32 exec_lo, exec_lo, s15
	s_delay_alu instid0(VALU_DEP_1)
	v_mov_b32_e32 v17, v20
.LBB196_76:                             ;   in Loop: Header=BB196_68 Depth=1
	s_or_b32 exec_lo, exec_lo, s14
	s_delay_alu instid0(SALU_CYCLE_1) | instskip(NEXT) | instid1(VALU_DEP_1)
	s_mov_b32 s14, exec_lo
	;; [unrolled: 18-line block ×7, first 2 shown]
	v_cmpx_o_f32_e32 v17, v17
	s_cbranch_execz .LBB196_100
; %bb.97:                               ;   in Loop: Header=BB196_68 Depth=1
	s_wait_loadcnt 0x8
	v_mov_b32_e32 v20, v7
	s_mov_b32 s15, exec_lo
	v_cmpx_o_f32_e32 v7, v7
; %bb.98:                               ;   in Loop: Header=BB196_68 Depth=1
	v_cmp_lt_f32_e32 vcc_lo, v7, v17
	v_cndmask_b32_e32 v20, v17, v7, vcc_lo
; %bb.99:                               ;   in Loop: Header=BB196_68 Depth=1
	s_or_b32 exec_lo, exec_lo, s15
	s_delay_alu instid0(VALU_DEP_1)
	v_mov_b32_e32 v17, v20
.LBB196_100:                            ;   in Loop: Header=BB196_68 Depth=1
	s_or_b32 exec_lo, exec_lo, s14
	s_delay_alu instid0(SALU_CYCLE_1) | instskip(NEXT) | instid1(VALU_DEP_1)
	s_mov_b32 s14, exec_lo
	v_cmpx_o_f32_e32 v17, v17
	s_cbranch_execz .LBB196_104
; %bb.101:                              ;   in Loop: Header=BB196_68 Depth=1
	s_wait_loadcnt 0x7
	v_mov_b32_e32 v20, v8
	s_mov_b32 s15, exec_lo
	v_cmpx_o_f32_e32 v8, v8
; %bb.102:                              ;   in Loop: Header=BB196_68 Depth=1
	v_cmp_lt_f32_e32 vcc_lo, v8, v17
	v_cndmask_b32_e32 v20, v17, v8, vcc_lo
; %bb.103:                              ;   in Loop: Header=BB196_68 Depth=1
	s_or_b32 exec_lo, exec_lo, s15
	s_delay_alu instid0(VALU_DEP_1)
	v_mov_b32_e32 v17, v20
.LBB196_104:                            ;   in Loop: Header=BB196_68 Depth=1
	s_or_b32 exec_lo, exec_lo, s14
	s_delay_alu instid0(SALU_CYCLE_1) | instskip(NEXT) | instid1(VALU_DEP_1)
	s_mov_b32 s14, exec_lo
	v_cmpx_o_f32_e32 v17, v17
	s_cbranch_execz .LBB196_108
; %bb.105:                              ;   in Loop: Header=BB196_68 Depth=1
	s_wait_loadcnt 0x6
	v_mov_b32_e32 v20, v9
	s_mov_b32 s15, exec_lo
	v_cmpx_o_f32_e32 v9, v9
; %bb.106:                              ;   in Loop: Header=BB196_68 Depth=1
	v_cmp_lt_f32_e32 vcc_lo, v9, v17
	v_cndmask_b32_e32 v20, v17, v9, vcc_lo
; %bb.107:                              ;   in Loop: Header=BB196_68 Depth=1
	s_or_b32 exec_lo, exec_lo, s15
	s_delay_alu instid0(VALU_DEP_1)
	v_mov_b32_e32 v17, v20
.LBB196_108:                            ;   in Loop: Header=BB196_68 Depth=1
	;; [unrolled: 18-line block ×7, first 2 shown]
	s_or_b32 exec_lo, exec_lo, s14
	s_delay_alu instid0(SALU_CYCLE_1) | instskip(NEXT) | instid1(VALU_DEP_1)
	s_mov_b32 s14, exec_lo
	v_cmpx_o_f32_e32 v17, v17
	s_cbranch_execz .LBB196_67
; %bb.129:                              ;   in Loop: Header=BB196_68 Depth=1
	s_wait_loadcnt 0x0
	v_mov_b32_e32 v20, v15
	s_mov_b32 s15, exec_lo
	v_cmpx_o_f32_e32 v15, v15
	s_cbranch_execz .LBB196_66
; %bb.130:                              ;   in Loop: Header=BB196_68 Depth=1
	v_cmp_lt_f32_e32 vcc_lo, v15, v17
	v_cndmask_b32_e32 v20, v17, v15, vcc_lo
	s_branch .LBB196_66
.LBB196_131:
	v_mov_b32_e32 v2, s17
	s_and_saveexec_b32 s0, s16
	s_cbranch_execnz .LBB196_371
	s_branch .LBB196_372
.LBB196_132:
                                        ; implicit-def: $vgpr1
	s_cbranch_execnz .LBB196_266
	s_branch .LBB196_364
.LBB196_133:
	s_sub_co_i32 s14, s10, s0
	s_lshl_b64 s[0:1], s[0:1], 2
	s_mov_b32 s15, exec_lo
	s_add_nc_u64 s[0:1], s[4:5], s[0:1]
	v_cmpx_gt_u32_e64 s14, v0
	s_cbranch_execz .LBB196_135
; %bb.134:
	s_wait_loadcnt 0xf
	global_load_b32 v16, v0, s[0:1] scale_offset
.LBB196_135:
	s_wait_xcnt 0x0
	s_or_b32 exec_lo, exec_lo, s15
	v_or_b32_e32 v32, 0x100, v0
	s_mov_b32 s15, exec_lo
	s_delay_alu instid0(VALU_DEP_1)
	v_cmpx_gt_u32_e64 s14, v32
	s_cbranch_execz .LBB196_137
; %bb.136:
	s_wait_loadcnt 0xe
	global_load_b32 v1, v0, s[0:1] offset:1024 scale_offset
.LBB196_137:
	s_wait_xcnt 0x0
	s_or_b32 exec_lo, exec_lo, s15
	v_or_b32_e32 v31, 0x200, v0
	s_mov_b32 s15, exec_lo
	s_delay_alu instid0(VALU_DEP_1)
	v_cmpx_gt_u32_e64 s14, v31
	s_cbranch_execz .LBB196_139
; %bb.138:
	s_wait_loadcnt 0xd
	global_load_b32 v2, v0, s[0:1] offset:2048 scale_offset
.LBB196_139:
	;; [unrolled: 11-line block ×15, first 2 shown]
	s_wait_xcnt 0x0
	s_or_b32 exec_lo, exec_lo, s15
	v_cmp_gt_u32_e32 vcc_lo, s14, v0
	v_cmp_o_f32_e64 s0, v17, v17
	s_and_b32 s1, vcc_lo, s0
	s_delay_alu instid0(SALU_CYCLE_1)
	s_and_saveexec_b32 s0, s1
	s_cbranch_execz .LBB196_169
; %bb.166:
	s_mov_b32 s1, exec_lo
	s_wait_loadcnt 0x0
	v_cmpx_o_f32_e32 v16, v16
; %bb.167:
	v_cmp_lt_f32_e32 vcc_lo, v16, v17
	v_cndmask_b32_e32 v16, v17, v16, vcc_lo
; %bb.168:
	s_or_b32 exec_lo, exec_lo, s1
	s_delay_alu instid0(VALU_DEP_1)
	v_mov_b32_e32 v17, v16
.LBB196_169:
	s_or_b32 exec_lo, exec_lo, s0
	v_cmp_gt_u32_e32 vcc_lo, s14, v32
	s_delay_alu instid0(VALU_DEP_2) | instskip(SKIP_1) | instid1(SALU_CYCLE_1)
	v_cmp_o_f32_e64 s0, v17, v17
	s_and_b32 s1, vcc_lo, s0
	s_and_saveexec_b32 s0, s1
	s_cbranch_execz .LBB196_173
; %bb.170:
	s_mov_b32 s1, exec_lo
	s_wait_loadcnt 0x0
	v_cmpx_o_f32_e32 v1, v1
; %bb.171:
	v_cmp_lt_f32_e32 vcc_lo, v1, v17
	v_cndmask_b32_e32 v1, v17, v1, vcc_lo
; %bb.172:
	s_or_b32 exec_lo, exec_lo, s1
	s_delay_alu instid0(VALU_DEP_1)
	v_mov_b32_e32 v17, v1
.LBB196_173:
	s_or_b32 exec_lo, exec_lo, s0
	v_cmp_gt_u32_e32 vcc_lo, s14, v31
	s_delay_alu instid0(VALU_DEP_2) | instskip(SKIP_1) | instid1(SALU_CYCLE_1)
	v_cmp_o_f32_e64 s0, v17, v17
	s_and_b32 s1, vcc_lo, s0
	;; [unrolled: 19-line block ×15, first 2 shown]
	s_and_saveexec_b32 s0, s1
	s_cbranch_execz .LBB196_229
; %bb.226:
	s_mov_b32 s1, exec_lo
	s_wait_loadcnt 0x0
	v_cmpx_o_f32_e32 v15, v15
; %bb.227:
	v_cmp_lt_f32_e32 vcc_lo, v15, v17
	v_cndmask_b32_e32 v15, v17, v15, vcc_lo
; %bb.228:
	s_or_b32 exec_lo, exec_lo, s1
	s_delay_alu instid0(VALU_DEP_1)
	v_mov_b32_e32 v17, v15
.LBB196_229:
	s_or_b32 exec_lo, exec_lo, s0
	s_wait_loadcnt 0x0
	s_delay_alu instid0(VALU_DEP_1) | instskip(SKIP_1) | instid1(VALU_DEP_1)
	v_mov_b32_dpp v1, v17 quad_perm:[1,0,3,2] row_mask:0xf bank_mask:0xf
	s_mov_b32 s0, exec_lo
	v_cmpx_o_f32_e32 v1, v1
	s_xor_b32 s0, exec_lo, s0
	s_cbranch_execz .LBB196_233
; %bb.230:
	s_mov_b32 s1, exec_lo
	v_cmpx_o_f32_e32 v17, v17
; %bb.231:
	v_cmp_lt_f32_e32 vcc_lo, v17, v1
	v_cndmask_b32_e32 v17, v1, v17, vcc_lo
; %bb.232:
	s_or_b32 exec_lo, exec_lo, s1
	s_delay_alu instid0(VALU_DEP_1)
	v_mov_b32_e32 v1, v17
.LBB196_233:
	s_or_b32 exec_lo, exec_lo, s0
	s_delay_alu instid0(VALU_DEP_1) | instskip(SKIP_1) | instid1(VALU_DEP_1)
	v_mov_b32_dpp v2, v1 quad_perm:[2,3,0,1] row_mask:0xf bank_mask:0xf
	s_mov_b32 s0, exec_lo
	v_cmpx_o_f32_e32 v2, v2
	s_cbranch_execz .LBB196_237
; %bb.234:
	s_mov_b32 s1, exec_lo
	v_cmpx_o_f32_e32 v1, v1
; %bb.235:
	v_cmp_lt_f32_e32 vcc_lo, v1, v2
	v_cndmask_b32_e32 v1, v2, v1, vcc_lo
; %bb.236:
	s_or_b32 exec_lo, exec_lo, s1
	s_delay_alu instid0(VALU_DEP_1)
	v_mov_b32_e32 v2, v1
.LBB196_237:
	s_or_b32 exec_lo, exec_lo, s0
	s_delay_alu instid0(VALU_DEP_1) | instskip(SKIP_1) | instid1(VALU_DEP_1)
	v_mov_b32_dpp v1, v2 row_ror:4 row_mask:0xf bank_mask:0xf
	s_mov_b32 s0, exec_lo
	v_cmpx_o_f32_e32 v1, v1
	s_cbranch_execz .LBB196_241
; %bb.238:
	s_mov_b32 s1, exec_lo
	v_cmpx_o_f32_e32 v2, v2
; %bb.239:
	v_cmp_lt_f32_e32 vcc_lo, v2, v1
	v_cndmask_b32_e32 v2, v1, v2, vcc_lo
; %bb.240:
	s_or_b32 exec_lo, exec_lo, s1
	s_delay_alu instid0(VALU_DEP_1)
	v_mov_b32_e32 v1, v2
.LBB196_241:
	s_or_b32 exec_lo, exec_lo, s0
	s_delay_alu instid0(VALU_DEP_1) | instskip(SKIP_1) | instid1(VALU_DEP_1)
	v_mov_b32_dpp v2, v1 row_ror:8 row_mask:0xf bank_mask:0xf
	s_mov_b32 s0, exec_lo
	v_cmpx_o_f32_e32 v2, v2
	s_cbranch_execz .LBB196_245
; %bb.242:
	s_mov_b32 s1, exec_lo
	v_cmpx_o_f32_e32 v1, v1
; %bb.243:
	v_cmp_lt_f32_e32 vcc_lo, v1, v2
	v_cndmask_b32_e32 v1, v2, v1, vcc_lo
; %bb.244:
	s_or_b32 exec_lo, exec_lo, s1
	s_delay_alu instid0(VALU_DEP_1)
	v_mov_b32_e32 v2, v1
.LBB196_245:
	s_or_b32 exec_lo, exec_lo, s0
	ds_swizzle_b32 v1, v2 offset:swizzle(BROADCAST,32,15)
	s_mov_b32 s0, exec_lo
	s_wait_dscnt 0x0
	v_cmpx_o_f32_e32 v1, v1
	s_cbranch_execz .LBB196_249
; %bb.246:
	s_mov_b32 s1, exec_lo
	v_cmpx_o_f32_e32 v2, v2
; %bb.247:
	v_cmp_lt_f32_e32 vcc_lo, v2, v1
	v_cndmask_b32_e32 v2, v1, v2, vcc_lo
; %bb.248:
	s_or_b32 exec_lo, exec_lo, s1
	s_delay_alu instid0(VALU_DEP_1)
	v_mov_b32_e32 v1, v2
.LBB196_249:
	s_or_b32 exec_lo, exec_lo, s0
	v_mov_b32_e32 v2, 0
	s_mov_b32 s0, exec_lo
	ds_bpermute_b32 v1, v2, v1 offset:124
	v_mbcnt_lo_u32_b32 v2, -1, 0
	s_delay_alu instid0(VALU_DEP_1)
	v_cmpx_eq_u32_e32 0, v2
	s_cbranch_execz .LBB196_251
; %bb.250:
	v_lshrrev_b32_e32 v3, 3, v0
	s_delay_alu instid0(VALU_DEP_1)
	v_and_b32_e32 v3, 28, v3
	s_wait_dscnt 0x0
	ds_store_b32 v3, v1
.LBB196_251:
	s_or_b32 exec_lo, exec_lo, s0
	s_delay_alu instid0(SALU_CYCLE_1)
	s_mov_b32 s0, exec_lo
	s_wait_dscnt 0x0
	s_barrier_signal -1
	s_barrier_wait -1
	v_cmpx_gt_u32_e32 32, v0
	s_cbranch_execz .LBB196_265
; %bb.252:
	v_and_b32_e32 v3, 7, v2
	s_mov_b32 s1, exec_lo
	s_delay_alu instid0(VALU_DEP_1) | instskip(SKIP_1) | instid1(VALU_DEP_1)
	v_cmp_ne_u32_e32 vcc_lo, 7, v3
	v_add_co_ci_u32_e64 v4, null, 0, v2, vcc_lo
	v_dual_lshlrev_b32 v4, 2, v4 :: v_dual_lshlrev_b32 v1, 2, v3
	ds_load_b32 v1, v1
	s_wait_dscnt 0x0
	ds_bpermute_b32 v4, v4, v1
	v_cmpx_o_f32_e32 v1, v1
	s_cbranch_execz .LBB196_256
; %bb.253:
	s_mov_b32 s14, exec_lo
	s_wait_dscnt 0x0
	v_cmpx_o_f32_e32 v4, v4
; %bb.254:
	v_cmp_gt_f32_e32 vcc_lo, v1, v4
	v_cndmask_b32_e32 v4, v1, v4, vcc_lo
; %bb.255:
	s_or_b32 exec_lo, exec_lo, s14
	s_delay_alu instid0(VALU_DEP_1)
	v_mov_b32_e32 v1, v4
.LBB196_256:
	s_or_b32 exec_lo, exec_lo, s1
	v_cmp_gt_u32_e32 vcc_lo, 6, v3
	s_mov_b32 s1, exec_lo
	v_cndmask_b32_e64 v3, 0, 2, vcc_lo
	s_delay_alu instid0(VALU_DEP_1)
	v_add_lshl_u32 v3, v3, v2, 2
	v_lshlrev_b32_e32 v2, 2, v2
	ds_bpermute_b32 v3, v3, v1
	v_cmpx_o_f32_e32 v1, v1
	s_cbranch_execz .LBB196_260
; %bb.257:
	s_mov_b32 s14, exec_lo
	s_wait_dscnt 0x0
	v_cmpx_o_f32_e32 v3, v3
; %bb.258:
	v_cmp_gt_f32_e32 vcc_lo, v1, v3
	v_cndmask_b32_e32 v3, v1, v3, vcc_lo
; %bb.259:
	s_or_b32 exec_lo, exec_lo, s14
	s_delay_alu instid0(VALU_DEP_1)
	v_mov_b32_e32 v1, v3
.LBB196_260:
	s_or_b32 exec_lo, exec_lo, s1
	v_or_b32_e32 v2, 16, v2
	s_mov_b32 s1, exec_lo
	ds_bpermute_b32 v2, v2, v1
	v_cmpx_o_f32_e32 v1, v1
	s_cbranch_execz .LBB196_264
; %bb.261:
	s_mov_b32 s14, exec_lo
	s_wait_dscnt 0x0
	v_cmpx_o_f32_e32 v2, v2
; %bb.262:
	v_cmp_gt_f32_e32 vcc_lo, v1, v2
	v_cndmask_b32_e32 v2, v1, v2, vcc_lo
; %bb.263:
	s_or_b32 exec_lo, exec_lo, s14
	s_delay_alu instid0(VALU_DEP_1)
	v_mov_b32_e32 v1, v2
.LBB196_264:
	s_or_b32 exec_lo, exec_lo, s1
.LBB196_265:
	s_delay_alu instid0(SALU_CYCLE_1)
	s_or_b32 exec_lo, exec_lo, s0
	s_branch .LBB196_364
.LBB196_266:
	s_sub_co_i32 s1, s10, s12
	s_mov_b32 s0, exec_lo
                                        ; implicit-def: $vgpr6
	v_cmpx_gt_u32_e64 s1, v0
	s_cbranch_execz .LBB196_276
; %bb.267:
	v_mov_b32_e32 v1, 0
	s_wait_dscnt 0x0
	s_delay_alu instid0(VALU_DEP_1) | instskip(NEXT) | instid1(VALU_DEP_1)
	v_add_nc_u64_e32 v[2:3], s[12:13], v[0:1]
	v_lshl_add_u64 v[4:5], v[2:3], 2, s[4:5]
	v_add_nc_u64_e32 v[2:3], 0x100, v[2:3]
	s_mov_b32 s4, exec_lo
	global_load_b32 v6, v[4:5], off
	s_wait_xcnt 0x0
	v_cmpx_gt_i64_e64 s[10:11], v[2:3]
	s_cbranch_execz .LBB196_275
; %bb.268:
	v_add_nc_u64_e32 v[4:5], 0x400, v[4:5]
	s_mov_b32 s5, 0
	s_branch .LBB196_271
.LBB196_269:                            ;   in Loop: Header=BB196_271 Depth=1
	s_or_b32 exec_lo, exec_lo, s13
	s_delay_alu instid0(VALU_DEP_1)
	v_mov_b32_e32 v6, v1
.LBB196_270:                            ;   in Loop: Header=BB196_271 Depth=1
	s_or_b32 exec_lo, exec_lo, s12
	v_add_nc_u64_e32 v[2:3], 0x100, v[2:3]
	v_add_nc_u64_e32 v[4:5], 0x400, v[4:5]
	s_delay_alu instid0(VALU_DEP_2) | instskip(SKIP_1) | instid1(SALU_CYCLE_1)
	v_cmp_le_i64_e32 vcc_lo, s[10:11], v[2:3]
	s_or_b32 s5, vcc_lo, s5
	s_and_not1_b32 exec_lo, exec_lo, s5
	s_cbranch_execz .LBB196_274
.LBB196_271:                            ; =>This Inner Loop Header: Depth=1
	s_mov_b32 s12, exec_lo
	s_wait_loadcnt 0x0
	v_cmpx_o_f32_e32 v6, v6
	s_cbranch_execz .LBB196_270
; %bb.272:                              ;   in Loop: Header=BB196_271 Depth=1
	global_load_b32 v1, v[4:5], off
	s_mov_b32 s13, exec_lo
	s_wait_loadcnt 0x0
	v_cmpx_o_f32_e32 v1, v1
	s_cbranch_execz .LBB196_269
; %bb.273:                              ;   in Loop: Header=BB196_271 Depth=1
	v_cmp_lt_f32_e32 vcc_lo, v1, v6
	v_cndmask_b32_e32 v1, v6, v1, vcc_lo
	s_branch .LBB196_269
.LBB196_274:
	s_or_b32 exec_lo, exec_lo, s5
.LBB196_275:
	s_delay_alu instid0(SALU_CYCLE_1)
	s_or_b32 exec_lo, exec_lo, s4
.LBB196_276:
	s_delay_alu instid0(SALU_CYCLE_1)
	s_or_b32 exec_lo, exec_lo, s0
	s_wait_dscnt 0x1
	v_lshrrev_b32_e32 v3, 5, v0
	s_wait_dscnt 0x0
	v_mbcnt_lo_u32_b32 v2, -1, 0
	s_cmp_lt_u32 s1, 0x100
	s_mov_b32 s0, -1
                                        ; implicit-def: $vgpr1
	s_cbranch_scc0 .LBB196_326
; %bb.277:
	s_delay_alu instid0(VALU_DEP_1) | instskip(SKIP_1) | instid1(VALU_DEP_1)
	v_cmp_ne_u32_e32 vcc_lo, 31, v2
	v_add_co_ci_u32_e64 v1, null, 0, v2, vcc_lo
	v_lshlrev_b32_e32 v1, 2, v1
	s_wait_loadcnt 0x0
	ds_bpermute_b32 v5, v1, v6
	v_and_b32_e32 v1, 0xe0, v0
	s_delay_alu instid0(VALU_DEP_1) | instskip(SKIP_1) | instid1(VALU_DEP_1)
	v_sub_nc_u32_e64 v4, s1, v1 clamp
	v_add_nc_u32_e32 v1, 1, v2
	v_cmp_lt_u32_e32 vcc_lo, v1, v4
	v_mov_b32_e32 v1, v6
	s_and_saveexec_b32 s0, vcc_lo
	s_cbranch_execz .LBB196_283
; %bb.278:
	v_mov_b32_e32 v1, v6
	s_mov_b32 s4, exec_lo
	v_cmpx_o_f32_e32 v6, v6
	s_cbranch_execz .LBB196_282
; %bb.279:
	s_mov_b32 s5, exec_lo
	s_wait_dscnt 0x0
	v_cmpx_o_f32_e32 v5, v5
; %bb.280:
	v_cmp_gt_f32_e32 vcc_lo, v6, v5
	v_cndmask_b32_e32 v5, v6, v5, vcc_lo
; %bb.281:
	s_or_b32 exec_lo, exec_lo, s5
	s_delay_alu instid0(VALU_DEP_1)
	v_mov_b32_e32 v1, v5
.LBB196_282:
	s_or_b32 exec_lo, exec_lo, s4
.LBB196_283:
	s_delay_alu instid0(SALU_CYCLE_1)
	s_or_b32 exec_lo, exec_lo, s0
	v_cmp_gt_u32_e32 vcc_lo, 30, v2
	v_add_nc_u32_e32 v7, 2, v2
	s_mov_b32 s0, exec_lo
	s_wait_dscnt 0x0
	v_cndmask_b32_e64 v5, 0, 2, vcc_lo
	s_delay_alu instid0(VALU_DEP_1)
	v_add_lshl_u32 v5, v5, v2, 2
	ds_bpermute_b32 v5, v5, v1
	v_cmpx_lt_u32_e64 v7, v4
	s_cbranch_execz .LBB196_289
; %bb.284:
	s_mov_b32 s4, exec_lo
	v_cmpx_o_f32_e32 v1, v1
	s_cbranch_execz .LBB196_288
; %bb.285:
	s_mov_b32 s5, exec_lo
	s_wait_dscnt 0x0
	v_cmpx_o_f32_e32 v5, v5
; %bb.286:
	v_cmp_gt_f32_e32 vcc_lo, v1, v5
	v_cndmask_b32_e32 v5, v1, v5, vcc_lo
; %bb.287:
	s_or_b32 exec_lo, exec_lo, s5
	s_delay_alu instid0(VALU_DEP_1)
	v_mov_b32_e32 v1, v5
.LBB196_288:
	s_or_b32 exec_lo, exec_lo, s4
.LBB196_289:
	s_delay_alu instid0(SALU_CYCLE_1)
	s_or_b32 exec_lo, exec_lo, s0
	v_cmp_gt_u32_e32 vcc_lo, 28, v2
	v_add_nc_u32_e32 v7, 4, v2
	s_mov_b32 s0, exec_lo
	s_wait_dscnt 0x0
	v_cndmask_b32_e64 v5, 0, 4, vcc_lo
	s_delay_alu instid0(VALU_DEP_1)
	v_add_lshl_u32 v5, v5, v2, 2
	ds_bpermute_b32 v5, v5, v1
	v_cmpx_lt_u32_e64 v7, v4
	s_cbranch_execz .LBB196_295
; %bb.290:
	s_mov_b32 s4, exec_lo
	v_cmpx_o_f32_e32 v1, v1
	s_cbranch_execz .LBB196_294
; %bb.291:
	s_mov_b32 s5, exec_lo
	s_wait_dscnt 0x0
	v_cmpx_o_f32_e32 v5, v5
; %bb.292:
	v_cmp_gt_f32_e32 vcc_lo, v1, v5
	v_cndmask_b32_e32 v5, v1, v5, vcc_lo
; %bb.293:
	s_or_b32 exec_lo, exec_lo, s5
	s_delay_alu instid0(VALU_DEP_1)
	v_mov_b32_e32 v1, v5
.LBB196_294:
	s_or_b32 exec_lo, exec_lo, s4
.LBB196_295:
	;; [unrolled: 30-line block ×3, first 2 shown]
	s_delay_alu instid0(SALU_CYCLE_1) | instskip(SKIP_3) | instid1(VALU_DEP_2)
	s_or_b32 exec_lo, exec_lo, s0
	s_wait_dscnt 0x0
	v_dual_lshlrev_b32 v5, 2, v2 :: v_dual_add_nc_u32 v8, 16, v2
	v_cmp_o_f32_e64 s0, v1, v1
	v_or_b32_e32 v7, 64, v5
	s_delay_alu instid0(VALU_DEP_3) | instskip(SKIP_2) | instid1(SALU_CYCLE_1)
	v_cmp_lt_u32_e32 vcc_lo, v8, v4
	ds_bpermute_b32 v7, v7, v1
	s_and_b32 s4, vcc_lo, s0
	s_and_saveexec_b32 s0, s4
	s_cbranch_execz .LBB196_305
; %bb.302:
	s_mov_b32 s4, exec_lo
	s_wait_dscnt 0x0
	v_cmpx_o_f32_e32 v7, v7
; %bb.303:
	v_cmp_gt_f32_e32 vcc_lo, v1, v7
	v_cndmask_b32_e32 v7, v1, v7, vcc_lo
; %bb.304:
	s_or_b32 exec_lo, exec_lo, s4
	s_delay_alu instid0(VALU_DEP_1)
	v_mov_b32_e32 v1, v7
.LBB196_305:
	s_or_b32 exec_lo, exec_lo, s0
	s_delay_alu instid0(SALU_CYCLE_1)
	s_mov_b32 s0, exec_lo
	v_cmpx_eq_u32_e32 0, v2
; %bb.306:
	v_lshlrev_b32_e32 v4, 2, v3
	ds_store_b32 v4, v1
; %bb.307:
	s_or_b32 exec_lo, exec_lo, s0
	s_delay_alu instid0(SALU_CYCLE_1)
	s_mov_b32 s4, exec_lo
	s_wait_dscnt 0x0
	s_barrier_signal -1
	s_barrier_wait -1
	v_cmpx_gt_u32_e32 8, v0
	s_cbranch_execz .LBB196_325
; %bb.308:
	ds_load_b32 v1, v5
	v_and_b32_e32 v4, 7, v2
	s_add_co_i32 s1, s1, 31
	s_delay_alu instid0(SALU_CYCLE_1) | instskip(SKIP_1) | instid1(VALU_DEP_1)
	s_lshr_b32 s0, s1, 5
	s_mov_b32 s1, exec_lo
	v_cmp_ne_u32_e32 vcc_lo, 7, v4
	v_add_co_ci_u32_e64 v7, null, 0, v2, vcc_lo
	s_delay_alu instid0(VALU_DEP_1)
	v_dual_lshlrev_b32 v7, 2, v7 :: v_dual_add_nc_u32 v8, 1, v4
	s_wait_dscnt 0x0
	ds_bpermute_b32 v7, v7, v1
	v_cmpx_gt_u32_e64 s0, v8
	s_cbranch_execz .LBB196_314
; %bb.309:
	s_mov_b32 s5, exec_lo
	v_cmpx_o_f32_e32 v1, v1
	s_cbranch_execz .LBB196_313
; %bb.310:
	s_mov_b32 s10, exec_lo
	s_wait_dscnt 0x0
	v_cmpx_o_f32_e32 v7, v7
; %bb.311:
	v_cmp_gt_f32_e32 vcc_lo, v1, v7
	v_cndmask_b32_e32 v7, v1, v7, vcc_lo
; %bb.312:
	s_or_b32 exec_lo, exec_lo, s10
	s_delay_alu instid0(VALU_DEP_1)
	v_mov_b32_e32 v1, v7
.LBB196_313:
	s_or_b32 exec_lo, exec_lo, s5
.LBB196_314:
	s_delay_alu instid0(SALU_CYCLE_1)
	s_or_b32 exec_lo, exec_lo, s1
	v_cmp_gt_u32_e32 vcc_lo, 6, v4
	v_add_nc_u32_e32 v8, 2, v4
	s_mov_b32 s1, exec_lo
	s_wait_dscnt 0x0
	v_cndmask_b32_e64 v7, 0, 2, vcc_lo
	s_delay_alu instid0(VALU_DEP_1)
	v_add_lshl_u32 v7, v7, v2, 2
	ds_bpermute_b32 v7, v7, v1
	v_cmpx_gt_u32_e64 s0, v8
	s_cbranch_execz .LBB196_320
; %bb.315:
	s_mov_b32 s5, exec_lo
	v_cmpx_o_f32_e32 v1, v1
	s_cbranch_execz .LBB196_319
; %bb.316:
	s_mov_b32 s10, exec_lo
	s_wait_dscnt 0x0
	v_cmpx_o_f32_e32 v7, v7
; %bb.317:
	v_cmp_gt_f32_e32 vcc_lo, v1, v7
	v_cndmask_b32_e32 v7, v1, v7, vcc_lo
; %bb.318:
	s_or_b32 exec_lo, exec_lo, s10
	s_delay_alu instid0(VALU_DEP_1)
	v_mov_b32_e32 v1, v7
.LBB196_319:
	s_or_b32 exec_lo, exec_lo, s5
.LBB196_320:
	s_delay_alu instid0(SALU_CYCLE_1)
	s_or_b32 exec_lo, exec_lo, s1
	v_dual_add_nc_u32 v4, 4, v4 :: v_dual_bitop2_b32 v5, 16, v5 bitop3:0x54
	ds_bpermute_b32 v5, v5, v1
	v_cmp_gt_u32_e32 vcc_lo, s0, v4
	v_cmp_o_f32_e64 s0, v1, v1
	s_and_b32 s1, vcc_lo, s0
	s_delay_alu instid0(SALU_CYCLE_1)
	s_and_saveexec_b32 s0, s1
	s_cbranch_execz .LBB196_324
; %bb.321:
	s_mov_b32 s1, exec_lo
	s_wait_dscnt 0x0
	v_cmpx_o_f32_e32 v5, v5
; %bb.322:
	v_cmp_gt_f32_e32 vcc_lo, v1, v5
	v_cndmask_b32_e32 v5, v1, v5, vcc_lo
; %bb.323:
	s_or_b32 exec_lo, exec_lo, s1
	s_delay_alu instid0(VALU_DEP_1)
	v_mov_b32_e32 v1, v5
.LBB196_324:
	s_or_b32 exec_lo, exec_lo, s0
.LBB196_325:
	s_delay_alu instid0(SALU_CYCLE_1)
	s_or_b32 exec_lo, exec_lo, s4
	s_mov_b32 s0, 0
.LBB196_326:
	s_delay_alu instid0(SALU_CYCLE_1)
	s_and_b32 vcc_lo, exec_lo, s0
	s_cbranch_vccz .LBB196_364
; %bb.327:
	s_wait_loadcnt 0x0
	v_mov_b32_dpp v1, v6 quad_perm:[1,0,3,2] row_mask:0xf bank_mask:0xf
	s_mov_b32 s0, exec_lo
	s_delay_alu instid0(VALU_DEP_1)
	v_cmpx_o_f32_e32 v1, v1
	s_cbranch_execz .LBB196_331
; %bb.328:
	s_mov_b32 s1, exec_lo
	v_cmpx_o_f32_e32 v6, v6
; %bb.329:
	v_cmp_lt_f32_e32 vcc_lo, v6, v1
	v_cndmask_b32_e32 v6, v1, v6, vcc_lo
; %bb.330:
	s_or_b32 exec_lo, exec_lo, s1
	s_delay_alu instid0(VALU_DEP_1)
	v_mov_b32_e32 v1, v6
.LBB196_331:
	s_or_b32 exec_lo, exec_lo, s0
	s_delay_alu instid0(VALU_DEP_1) | instskip(SKIP_1) | instid1(VALU_DEP_1)
	v_mov_b32_dpp v4, v1 quad_perm:[2,3,0,1] row_mask:0xf bank_mask:0xf
	s_mov_b32 s0, exec_lo
	v_cmpx_o_f32_e32 v4, v4
	s_cbranch_execz .LBB196_335
; %bb.332:
	s_mov_b32 s1, exec_lo
	v_cmpx_o_f32_e32 v1, v1
; %bb.333:
	v_cmp_lt_f32_e32 vcc_lo, v1, v4
	v_cndmask_b32_e32 v1, v4, v1, vcc_lo
; %bb.334:
	s_or_b32 exec_lo, exec_lo, s1
	s_delay_alu instid0(VALU_DEP_1)
	v_mov_b32_e32 v4, v1
.LBB196_335:
	s_or_b32 exec_lo, exec_lo, s0
	s_delay_alu instid0(VALU_DEP_1) | instskip(SKIP_1) | instid1(VALU_DEP_1)
	v_mov_b32_dpp v1, v4 row_ror:4 row_mask:0xf bank_mask:0xf
	s_mov_b32 s0, exec_lo
	v_cmpx_o_f32_e32 v1, v1
	s_cbranch_execz .LBB196_339
; %bb.336:
	s_mov_b32 s1, exec_lo
	v_cmpx_o_f32_e32 v4, v4
; %bb.337:
	v_cmp_lt_f32_e32 vcc_lo, v4, v1
	v_cndmask_b32_e32 v4, v1, v4, vcc_lo
; %bb.338:
	s_or_b32 exec_lo, exec_lo, s1
	s_delay_alu instid0(VALU_DEP_1)
	v_mov_b32_e32 v1, v4
.LBB196_339:
	s_or_b32 exec_lo, exec_lo, s0
	s_delay_alu instid0(VALU_DEP_1) | instskip(SKIP_1) | instid1(VALU_DEP_1)
	v_mov_b32_dpp v4, v1 row_ror:8 row_mask:0xf bank_mask:0xf
	s_mov_b32 s0, exec_lo
	v_cmpx_o_f32_e32 v4, v4
	s_cbranch_execz .LBB196_343
; %bb.340:
	s_mov_b32 s1, exec_lo
	v_cmpx_o_f32_e32 v1, v1
; %bb.341:
	v_cmp_lt_f32_e32 vcc_lo, v1, v4
	v_cndmask_b32_e32 v1, v4, v1, vcc_lo
; %bb.342:
	s_or_b32 exec_lo, exec_lo, s1
	s_delay_alu instid0(VALU_DEP_1)
	v_mov_b32_e32 v4, v1
.LBB196_343:
	s_or_b32 exec_lo, exec_lo, s0
	ds_swizzle_b32 v1, v4 offset:swizzle(BROADCAST,32,15)
	s_mov_b32 s0, exec_lo
	s_wait_dscnt 0x0
	v_cmpx_o_f32_e32 v1, v1
	s_cbranch_execz .LBB196_347
; %bb.344:
	s_mov_b32 s1, exec_lo
	v_cmpx_o_f32_e32 v4, v4
; %bb.345:
	v_cmp_lt_f32_e32 vcc_lo, v4, v1
	v_cndmask_b32_e32 v4, v1, v4, vcc_lo
; %bb.346:
	s_or_b32 exec_lo, exec_lo, s1
	s_delay_alu instid0(VALU_DEP_1)
	v_mov_b32_e32 v1, v4
.LBB196_347:
	s_or_b32 exec_lo, exec_lo, s0
	v_mov_b32_e32 v4, 0
	s_mov_b32 s0, exec_lo
	ds_bpermute_b32 v1, v4, v1 offset:124
	v_cmpx_eq_u32_e32 0, v2
	s_cbranch_execz .LBB196_349
; %bb.348:
	v_lshlrev_b32_e32 v3, 2, v3
	s_wait_dscnt 0x0
	ds_store_b32 v3, v1
.LBB196_349:
	s_or_b32 exec_lo, exec_lo, s0
	s_delay_alu instid0(SALU_CYCLE_1)
	s_mov_b32 s0, exec_lo
	s_wait_dscnt 0x0
	s_barrier_signal -1
	s_barrier_wait -1
	v_cmpx_gt_u32_e32 32, v0
	s_cbranch_execz .LBB196_363
; %bb.350:
	v_and_b32_e32 v3, 7, v2
	s_mov_b32 s1, exec_lo
	s_delay_alu instid0(VALU_DEP_1) | instskip(SKIP_1) | instid1(VALU_DEP_1)
	v_cmp_ne_u32_e32 vcc_lo, 7, v3
	v_add_co_ci_u32_e64 v4, null, 0, v2, vcc_lo
	v_dual_lshlrev_b32 v4, 2, v4 :: v_dual_lshlrev_b32 v1, 2, v3
	ds_load_b32 v1, v1
	s_wait_dscnt 0x0
	ds_bpermute_b32 v4, v4, v1
	v_cmpx_o_f32_e32 v1, v1
	s_cbranch_execz .LBB196_354
; %bb.351:
	s_mov_b32 s4, exec_lo
	s_wait_dscnt 0x0
	v_cmpx_o_f32_e32 v4, v4
; %bb.352:
	v_cmp_gt_f32_e32 vcc_lo, v1, v4
	v_cndmask_b32_e32 v4, v1, v4, vcc_lo
; %bb.353:
	s_or_b32 exec_lo, exec_lo, s4
	s_delay_alu instid0(VALU_DEP_1)
	v_mov_b32_e32 v1, v4
.LBB196_354:
	s_or_b32 exec_lo, exec_lo, s1
	v_cmp_gt_u32_e32 vcc_lo, 6, v3
	s_mov_b32 s1, exec_lo
	v_cndmask_b32_e64 v3, 0, 2, vcc_lo
	s_delay_alu instid0(VALU_DEP_1)
	v_add_lshl_u32 v3, v3, v2, 2
	v_lshlrev_b32_e32 v2, 2, v2
	ds_bpermute_b32 v3, v3, v1
	v_cmpx_o_f32_e32 v1, v1
	s_cbranch_execz .LBB196_358
; %bb.355:
	s_mov_b32 s4, exec_lo
	s_wait_dscnt 0x0
	v_cmpx_o_f32_e32 v3, v3
; %bb.356:
	v_cmp_gt_f32_e32 vcc_lo, v1, v3
	v_cndmask_b32_e32 v3, v1, v3, vcc_lo
; %bb.357:
	s_or_b32 exec_lo, exec_lo, s4
	s_delay_alu instid0(VALU_DEP_1)
	v_mov_b32_e32 v1, v3
.LBB196_358:
	s_or_b32 exec_lo, exec_lo, s1
	v_or_b32_e32 v2, 16, v2
	s_mov_b32 s1, exec_lo
	ds_bpermute_b32 v2, v2, v1
	v_cmpx_o_f32_e32 v1, v1
	s_cbranch_execz .LBB196_362
; %bb.359:
	s_mov_b32 s4, exec_lo
	s_wait_dscnt 0x0
	v_cmpx_o_f32_e32 v2, v2
; %bb.360:
	v_cmp_gt_f32_e32 vcc_lo, v1, v2
	v_cndmask_b32_e32 v2, v1, v2, vcc_lo
; %bb.361:
	s_or_b32 exec_lo, exec_lo, s4
	s_delay_alu instid0(VALU_DEP_1)
	v_mov_b32_e32 v1, v2
.LBB196_362:
	s_or_b32 exec_lo, exec_lo, s1
.LBB196_363:
	s_delay_alu instid0(SALU_CYCLE_1)
	s_or_b32 exec_lo, exec_lo, s0
.LBB196_364:
	s_delay_alu instid0(SALU_CYCLE_1)
	s_mov_b32 s0, exec_lo
                                        ; implicit-def: $vgpr2
	v_cmpx_eq_u32_e32 0, v0
	s_cbranch_execz .LBB196_370
; %bb.365:
	s_wait_dscnt 0x0
	v_mov_b32_e32 v2, s17
	s_cmp_u_f32 s17, s17
	s_cbranch_scc1 .LBB196_369
; %bb.366:
	s_mov_b32 s1, exec_lo
	v_cmpx_o_f32_e32 v1, v1
; %bb.367:
	v_cmp_gt_f32_e32 vcc_lo, s17, v1
	v_cndmask_b32_e32 v1, s17, v1, vcc_lo
; %bb.368:
	s_or_b32 exec_lo, exec_lo, s1
	s_delay_alu instid0(VALU_DEP_1)
	v_mov_b32_e32 v2, v1
.LBB196_369:
	s_or_b32 s16, s16, exec_lo
.LBB196_370:
	s_or_b32 exec_lo, exec_lo, s0
	s_and_saveexec_b32 s0, s16
	s_cbranch_execz .LBB196_372
.LBB196_371:
	s_lshl_b64 s[0:1], s[8:9], 2
	v_mov_b32_e32 v0, 0
	s_add_nc_u64 s[0:1], s[6:7], s[0:1]
	s_lshl_b64 s[2:3], s[2:3], 2
	s_delay_alu instid0(SALU_CYCLE_1)
	s_add_nc_u64 s[0:1], s[0:1], s[2:3]
	s_wait_dscnt 0x0
	global_store_b32 v0, v2, s[0:1]
.LBB196_372:
	s_endpgm
	.section	.rodata,"a",@progbits
	.p2align	6, 0x0
	.amdhsa_kernel _ZN7rocprim17ROCPRIM_400000_NS6detail17trampoline_kernelINS0_14default_configENS1_32segmented_reduce_config_selectorIfEEZNS1_21segmented_reduce_implIS3_PKfPfPKlfN6hipcub16HIPCUB_304000_NS6detail27convert_result_type_wrapperIS8_S9_N2at6native12_GLOBAL__N_19CustomMinEEEEE10hipError_tPvRmT0_T1_jT2_SQ_T4_T3_P12ihipStream_tbEUlT_E_NS1_11comp_targetILNS1_3genE0ELNS1_11target_archE4294967295ELNS1_3gpuE0ELNS1_3repE0EEENS1_30default_config_static_selectorELNS0_4arch9wavefront6targetE0EEEvSP_
		.amdhsa_group_segment_fixed_size 32
		.amdhsa_private_segment_fixed_size 0
		.amdhsa_kernarg_size 48
		.amdhsa_user_sgpr_count 2
		.amdhsa_user_sgpr_dispatch_ptr 0
		.amdhsa_user_sgpr_queue_ptr 0
		.amdhsa_user_sgpr_kernarg_segment_ptr 1
		.amdhsa_user_sgpr_dispatch_id 0
		.amdhsa_user_sgpr_kernarg_preload_length 0
		.amdhsa_user_sgpr_kernarg_preload_offset 0
		.amdhsa_user_sgpr_private_segment_size 0
		.amdhsa_wavefront_size32 1
		.amdhsa_uses_dynamic_stack 0
		.amdhsa_enable_private_segment 0
		.amdhsa_system_sgpr_workgroup_id_x 1
		.amdhsa_system_sgpr_workgroup_id_y 0
		.amdhsa_system_sgpr_workgroup_id_z 0
		.amdhsa_system_sgpr_workgroup_info 0
		.amdhsa_system_vgpr_workitem_id 0
		.amdhsa_next_free_vgpr 33
		.amdhsa_next_free_sgpr 20
		.amdhsa_named_barrier_count 0
		.amdhsa_reserve_vcc 1
		.amdhsa_float_round_mode_32 0
		.amdhsa_float_round_mode_16_64 0
		.amdhsa_float_denorm_mode_32 3
		.amdhsa_float_denorm_mode_16_64 3
		.amdhsa_fp16_overflow 0
		.amdhsa_memory_ordered 1
		.amdhsa_forward_progress 1
		.amdhsa_inst_pref_size 55
		.amdhsa_round_robin_scheduling 0
		.amdhsa_exception_fp_ieee_invalid_op 0
		.amdhsa_exception_fp_denorm_src 0
		.amdhsa_exception_fp_ieee_div_zero 0
		.amdhsa_exception_fp_ieee_overflow 0
		.amdhsa_exception_fp_ieee_underflow 0
		.amdhsa_exception_fp_ieee_inexact 0
		.amdhsa_exception_int_div_zero 0
	.end_amdhsa_kernel
	.section	.text._ZN7rocprim17ROCPRIM_400000_NS6detail17trampoline_kernelINS0_14default_configENS1_32segmented_reduce_config_selectorIfEEZNS1_21segmented_reduce_implIS3_PKfPfPKlfN6hipcub16HIPCUB_304000_NS6detail27convert_result_type_wrapperIS8_S9_N2at6native12_GLOBAL__N_19CustomMinEEEEE10hipError_tPvRmT0_T1_jT2_SQ_T4_T3_P12ihipStream_tbEUlT_E_NS1_11comp_targetILNS1_3genE0ELNS1_11target_archE4294967295ELNS1_3gpuE0ELNS1_3repE0EEENS1_30default_config_static_selectorELNS0_4arch9wavefront6targetE0EEEvSP_,"axG",@progbits,_ZN7rocprim17ROCPRIM_400000_NS6detail17trampoline_kernelINS0_14default_configENS1_32segmented_reduce_config_selectorIfEEZNS1_21segmented_reduce_implIS3_PKfPfPKlfN6hipcub16HIPCUB_304000_NS6detail27convert_result_type_wrapperIS8_S9_N2at6native12_GLOBAL__N_19CustomMinEEEEE10hipError_tPvRmT0_T1_jT2_SQ_T4_T3_P12ihipStream_tbEUlT_E_NS1_11comp_targetILNS1_3genE0ELNS1_11target_archE4294967295ELNS1_3gpuE0ELNS1_3repE0EEENS1_30default_config_static_selectorELNS0_4arch9wavefront6targetE0EEEvSP_,comdat
.Lfunc_end196:
	.size	_ZN7rocprim17ROCPRIM_400000_NS6detail17trampoline_kernelINS0_14default_configENS1_32segmented_reduce_config_selectorIfEEZNS1_21segmented_reduce_implIS3_PKfPfPKlfN6hipcub16HIPCUB_304000_NS6detail27convert_result_type_wrapperIS8_S9_N2at6native12_GLOBAL__N_19CustomMinEEEEE10hipError_tPvRmT0_T1_jT2_SQ_T4_T3_P12ihipStream_tbEUlT_E_NS1_11comp_targetILNS1_3genE0ELNS1_11target_archE4294967295ELNS1_3gpuE0ELNS1_3repE0EEENS1_30default_config_static_selectorELNS0_4arch9wavefront6targetE0EEEvSP_, .Lfunc_end196-_ZN7rocprim17ROCPRIM_400000_NS6detail17trampoline_kernelINS0_14default_configENS1_32segmented_reduce_config_selectorIfEEZNS1_21segmented_reduce_implIS3_PKfPfPKlfN6hipcub16HIPCUB_304000_NS6detail27convert_result_type_wrapperIS8_S9_N2at6native12_GLOBAL__N_19CustomMinEEEEE10hipError_tPvRmT0_T1_jT2_SQ_T4_T3_P12ihipStream_tbEUlT_E_NS1_11comp_targetILNS1_3genE0ELNS1_11target_archE4294967295ELNS1_3gpuE0ELNS1_3repE0EEENS1_30default_config_static_selectorELNS0_4arch9wavefront6targetE0EEEvSP_
                                        ; -- End function
	.set _ZN7rocprim17ROCPRIM_400000_NS6detail17trampoline_kernelINS0_14default_configENS1_32segmented_reduce_config_selectorIfEEZNS1_21segmented_reduce_implIS3_PKfPfPKlfN6hipcub16HIPCUB_304000_NS6detail27convert_result_type_wrapperIS8_S9_N2at6native12_GLOBAL__N_19CustomMinEEEEE10hipError_tPvRmT0_T1_jT2_SQ_T4_T3_P12ihipStream_tbEUlT_E_NS1_11comp_targetILNS1_3genE0ELNS1_11target_archE4294967295ELNS1_3gpuE0ELNS1_3repE0EEENS1_30default_config_static_selectorELNS0_4arch9wavefront6targetE0EEEvSP_.num_vgpr, 33
	.set _ZN7rocprim17ROCPRIM_400000_NS6detail17trampoline_kernelINS0_14default_configENS1_32segmented_reduce_config_selectorIfEEZNS1_21segmented_reduce_implIS3_PKfPfPKlfN6hipcub16HIPCUB_304000_NS6detail27convert_result_type_wrapperIS8_S9_N2at6native12_GLOBAL__N_19CustomMinEEEEE10hipError_tPvRmT0_T1_jT2_SQ_T4_T3_P12ihipStream_tbEUlT_E_NS1_11comp_targetILNS1_3genE0ELNS1_11target_archE4294967295ELNS1_3gpuE0ELNS1_3repE0EEENS1_30default_config_static_selectorELNS0_4arch9wavefront6targetE0EEEvSP_.num_agpr, 0
	.set _ZN7rocprim17ROCPRIM_400000_NS6detail17trampoline_kernelINS0_14default_configENS1_32segmented_reduce_config_selectorIfEEZNS1_21segmented_reduce_implIS3_PKfPfPKlfN6hipcub16HIPCUB_304000_NS6detail27convert_result_type_wrapperIS8_S9_N2at6native12_GLOBAL__N_19CustomMinEEEEE10hipError_tPvRmT0_T1_jT2_SQ_T4_T3_P12ihipStream_tbEUlT_E_NS1_11comp_targetILNS1_3genE0ELNS1_11target_archE4294967295ELNS1_3gpuE0ELNS1_3repE0EEENS1_30default_config_static_selectorELNS0_4arch9wavefront6targetE0EEEvSP_.numbered_sgpr, 20
	.set _ZN7rocprim17ROCPRIM_400000_NS6detail17trampoline_kernelINS0_14default_configENS1_32segmented_reduce_config_selectorIfEEZNS1_21segmented_reduce_implIS3_PKfPfPKlfN6hipcub16HIPCUB_304000_NS6detail27convert_result_type_wrapperIS8_S9_N2at6native12_GLOBAL__N_19CustomMinEEEEE10hipError_tPvRmT0_T1_jT2_SQ_T4_T3_P12ihipStream_tbEUlT_E_NS1_11comp_targetILNS1_3genE0ELNS1_11target_archE4294967295ELNS1_3gpuE0ELNS1_3repE0EEENS1_30default_config_static_selectorELNS0_4arch9wavefront6targetE0EEEvSP_.num_named_barrier, 0
	.set _ZN7rocprim17ROCPRIM_400000_NS6detail17trampoline_kernelINS0_14default_configENS1_32segmented_reduce_config_selectorIfEEZNS1_21segmented_reduce_implIS3_PKfPfPKlfN6hipcub16HIPCUB_304000_NS6detail27convert_result_type_wrapperIS8_S9_N2at6native12_GLOBAL__N_19CustomMinEEEEE10hipError_tPvRmT0_T1_jT2_SQ_T4_T3_P12ihipStream_tbEUlT_E_NS1_11comp_targetILNS1_3genE0ELNS1_11target_archE4294967295ELNS1_3gpuE0ELNS1_3repE0EEENS1_30default_config_static_selectorELNS0_4arch9wavefront6targetE0EEEvSP_.private_seg_size, 0
	.set _ZN7rocprim17ROCPRIM_400000_NS6detail17trampoline_kernelINS0_14default_configENS1_32segmented_reduce_config_selectorIfEEZNS1_21segmented_reduce_implIS3_PKfPfPKlfN6hipcub16HIPCUB_304000_NS6detail27convert_result_type_wrapperIS8_S9_N2at6native12_GLOBAL__N_19CustomMinEEEEE10hipError_tPvRmT0_T1_jT2_SQ_T4_T3_P12ihipStream_tbEUlT_E_NS1_11comp_targetILNS1_3genE0ELNS1_11target_archE4294967295ELNS1_3gpuE0ELNS1_3repE0EEENS1_30default_config_static_selectorELNS0_4arch9wavefront6targetE0EEEvSP_.uses_vcc, 1
	.set _ZN7rocprim17ROCPRIM_400000_NS6detail17trampoline_kernelINS0_14default_configENS1_32segmented_reduce_config_selectorIfEEZNS1_21segmented_reduce_implIS3_PKfPfPKlfN6hipcub16HIPCUB_304000_NS6detail27convert_result_type_wrapperIS8_S9_N2at6native12_GLOBAL__N_19CustomMinEEEEE10hipError_tPvRmT0_T1_jT2_SQ_T4_T3_P12ihipStream_tbEUlT_E_NS1_11comp_targetILNS1_3genE0ELNS1_11target_archE4294967295ELNS1_3gpuE0ELNS1_3repE0EEENS1_30default_config_static_selectorELNS0_4arch9wavefront6targetE0EEEvSP_.uses_flat_scratch, 0
	.set _ZN7rocprim17ROCPRIM_400000_NS6detail17trampoline_kernelINS0_14default_configENS1_32segmented_reduce_config_selectorIfEEZNS1_21segmented_reduce_implIS3_PKfPfPKlfN6hipcub16HIPCUB_304000_NS6detail27convert_result_type_wrapperIS8_S9_N2at6native12_GLOBAL__N_19CustomMinEEEEE10hipError_tPvRmT0_T1_jT2_SQ_T4_T3_P12ihipStream_tbEUlT_E_NS1_11comp_targetILNS1_3genE0ELNS1_11target_archE4294967295ELNS1_3gpuE0ELNS1_3repE0EEENS1_30default_config_static_selectorELNS0_4arch9wavefront6targetE0EEEvSP_.has_dyn_sized_stack, 0
	.set _ZN7rocprim17ROCPRIM_400000_NS6detail17trampoline_kernelINS0_14default_configENS1_32segmented_reduce_config_selectorIfEEZNS1_21segmented_reduce_implIS3_PKfPfPKlfN6hipcub16HIPCUB_304000_NS6detail27convert_result_type_wrapperIS8_S9_N2at6native12_GLOBAL__N_19CustomMinEEEEE10hipError_tPvRmT0_T1_jT2_SQ_T4_T3_P12ihipStream_tbEUlT_E_NS1_11comp_targetILNS1_3genE0ELNS1_11target_archE4294967295ELNS1_3gpuE0ELNS1_3repE0EEENS1_30default_config_static_selectorELNS0_4arch9wavefront6targetE0EEEvSP_.has_recursion, 0
	.set _ZN7rocprim17ROCPRIM_400000_NS6detail17trampoline_kernelINS0_14default_configENS1_32segmented_reduce_config_selectorIfEEZNS1_21segmented_reduce_implIS3_PKfPfPKlfN6hipcub16HIPCUB_304000_NS6detail27convert_result_type_wrapperIS8_S9_N2at6native12_GLOBAL__N_19CustomMinEEEEE10hipError_tPvRmT0_T1_jT2_SQ_T4_T3_P12ihipStream_tbEUlT_E_NS1_11comp_targetILNS1_3genE0ELNS1_11target_archE4294967295ELNS1_3gpuE0ELNS1_3repE0EEENS1_30default_config_static_selectorELNS0_4arch9wavefront6targetE0EEEvSP_.has_indirect_call, 0
	.section	.AMDGPU.csdata,"",@progbits
; Kernel info:
; codeLenInByte = 6972
; TotalNumSgprs: 22
; NumVgprs: 33
; ScratchSize: 0
; MemoryBound: 0
; FloatMode: 240
; IeeeMode: 1
; LDSByteSize: 32 bytes/workgroup (compile time only)
; SGPRBlocks: 0
; VGPRBlocks: 2
; NumSGPRsForWavesPerEU: 22
; NumVGPRsForWavesPerEU: 33
; NamedBarCnt: 0
; Occupancy: 16
; WaveLimiterHint : 1
; COMPUTE_PGM_RSRC2:SCRATCH_EN: 0
; COMPUTE_PGM_RSRC2:USER_SGPR: 2
; COMPUTE_PGM_RSRC2:TRAP_HANDLER: 0
; COMPUTE_PGM_RSRC2:TGID_X_EN: 1
; COMPUTE_PGM_RSRC2:TGID_Y_EN: 0
; COMPUTE_PGM_RSRC2:TGID_Z_EN: 0
; COMPUTE_PGM_RSRC2:TIDIG_COMP_CNT: 0
	.section	.text._ZN7rocprim17ROCPRIM_400000_NS6detail17trampoline_kernelINS0_14default_configENS1_32segmented_reduce_config_selectorIfEEZNS1_21segmented_reduce_implIS3_PKfPfPKlfN6hipcub16HIPCUB_304000_NS6detail27convert_result_type_wrapperIS8_S9_N2at6native12_GLOBAL__N_19CustomMinEEEEE10hipError_tPvRmT0_T1_jT2_SQ_T4_T3_P12ihipStream_tbEUlT_E_NS1_11comp_targetILNS1_3genE5ELNS1_11target_archE942ELNS1_3gpuE9ELNS1_3repE0EEENS1_30default_config_static_selectorELNS0_4arch9wavefront6targetE0EEEvSP_,"axG",@progbits,_ZN7rocprim17ROCPRIM_400000_NS6detail17trampoline_kernelINS0_14default_configENS1_32segmented_reduce_config_selectorIfEEZNS1_21segmented_reduce_implIS3_PKfPfPKlfN6hipcub16HIPCUB_304000_NS6detail27convert_result_type_wrapperIS8_S9_N2at6native12_GLOBAL__N_19CustomMinEEEEE10hipError_tPvRmT0_T1_jT2_SQ_T4_T3_P12ihipStream_tbEUlT_E_NS1_11comp_targetILNS1_3genE5ELNS1_11target_archE942ELNS1_3gpuE9ELNS1_3repE0EEENS1_30default_config_static_selectorELNS0_4arch9wavefront6targetE0EEEvSP_,comdat
	.globl	_ZN7rocprim17ROCPRIM_400000_NS6detail17trampoline_kernelINS0_14default_configENS1_32segmented_reduce_config_selectorIfEEZNS1_21segmented_reduce_implIS3_PKfPfPKlfN6hipcub16HIPCUB_304000_NS6detail27convert_result_type_wrapperIS8_S9_N2at6native12_GLOBAL__N_19CustomMinEEEEE10hipError_tPvRmT0_T1_jT2_SQ_T4_T3_P12ihipStream_tbEUlT_E_NS1_11comp_targetILNS1_3genE5ELNS1_11target_archE942ELNS1_3gpuE9ELNS1_3repE0EEENS1_30default_config_static_selectorELNS0_4arch9wavefront6targetE0EEEvSP_ ; -- Begin function _ZN7rocprim17ROCPRIM_400000_NS6detail17trampoline_kernelINS0_14default_configENS1_32segmented_reduce_config_selectorIfEEZNS1_21segmented_reduce_implIS3_PKfPfPKlfN6hipcub16HIPCUB_304000_NS6detail27convert_result_type_wrapperIS8_S9_N2at6native12_GLOBAL__N_19CustomMinEEEEE10hipError_tPvRmT0_T1_jT2_SQ_T4_T3_P12ihipStream_tbEUlT_E_NS1_11comp_targetILNS1_3genE5ELNS1_11target_archE942ELNS1_3gpuE9ELNS1_3repE0EEENS1_30default_config_static_selectorELNS0_4arch9wavefront6targetE0EEEvSP_
	.p2align	8
	.type	_ZN7rocprim17ROCPRIM_400000_NS6detail17trampoline_kernelINS0_14default_configENS1_32segmented_reduce_config_selectorIfEEZNS1_21segmented_reduce_implIS3_PKfPfPKlfN6hipcub16HIPCUB_304000_NS6detail27convert_result_type_wrapperIS8_S9_N2at6native12_GLOBAL__N_19CustomMinEEEEE10hipError_tPvRmT0_T1_jT2_SQ_T4_T3_P12ihipStream_tbEUlT_E_NS1_11comp_targetILNS1_3genE5ELNS1_11target_archE942ELNS1_3gpuE9ELNS1_3repE0EEENS1_30default_config_static_selectorELNS0_4arch9wavefront6targetE0EEEvSP_,@function
_ZN7rocprim17ROCPRIM_400000_NS6detail17trampoline_kernelINS0_14default_configENS1_32segmented_reduce_config_selectorIfEEZNS1_21segmented_reduce_implIS3_PKfPfPKlfN6hipcub16HIPCUB_304000_NS6detail27convert_result_type_wrapperIS8_S9_N2at6native12_GLOBAL__N_19CustomMinEEEEE10hipError_tPvRmT0_T1_jT2_SQ_T4_T3_P12ihipStream_tbEUlT_E_NS1_11comp_targetILNS1_3genE5ELNS1_11target_archE942ELNS1_3gpuE9ELNS1_3repE0EEENS1_30default_config_static_selectorELNS0_4arch9wavefront6targetE0EEEvSP_: ; @_ZN7rocprim17ROCPRIM_400000_NS6detail17trampoline_kernelINS0_14default_configENS1_32segmented_reduce_config_selectorIfEEZNS1_21segmented_reduce_implIS3_PKfPfPKlfN6hipcub16HIPCUB_304000_NS6detail27convert_result_type_wrapperIS8_S9_N2at6native12_GLOBAL__N_19CustomMinEEEEE10hipError_tPvRmT0_T1_jT2_SQ_T4_T3_P12ihipStream_tbEUlT_E_NS1_11comp_targetILNS1_3genE5ELNS1_11target_archE942ELNS1_3gpuE9ELNS1_3repE0EEENS1_30default_config_static_selectorELNS0_4arch9wavefront6targetE0EEEvSP_
; %bb.0:
	.section	.rodata,"a",@progbits
	.p2align	6, 0x0
	.amdhsa_kernel _ZN7rocprim17ROCPRIM_400000_NS6detail17trampoline_kernelINS0_14default_configENS1_32segmented_reduce_config_selectorIfEEZNS1_21segmented_reduce_implIS3_PKfPfPKlfN6hipcub16HIPCUB_304000_NS6detail27convert_result_type_wrapperIS8_S9_N2at6native12_GLOBAL__N_19CustomMinEEEEE10hipError_tPvRmT0_T1_jT2_SQ_T4_T3_P12ihipStream_tbEUlT_E_NS1_11comp_targetILNS1_3genE5ELNS1_11target_archE942ELNS1_3gpuE9ELNS1_3repE0EEENS1_30default_config_static_selectorELNS0_4arch9wavefront6targetE0EEEvSP_
		.amdhsa_group_segment_fixed_size 0
		.amdhsa_private_segment_fixed_size 0
		.amdhsa_kernarg_size 48
		.amdhsa_user_sgpr_count 2
		.amdhsa_user_sgpr_dispatch_ptr 0
		.amdhsa_user_sgpr_queue_ptr 0
		.amdhsa_user_sgpr_kernarg_segment_ptr 1
		.amdhsa_user_sgpr_dispatch_id 0
		.amdhsa_user_sgpr_kernarg_preload_length 0
		.amdhsa_user_sgpr_kernarg_preload_offset 0
		.amdhsa_user_sgpr_private_segment_size 0
		.amdhsa_wavefront_size32 1
		.amdhsa_uses_dynamic_stack 0
		.amdhsa_enable_private_segment 0
		.amdhsa_system_sgpr_workgroup_id_x 1
		.amdhsa_system_sgpr_workgroup_id_y 0
		.amdhsa_system_sgpr_workgroup_id_z 0
		.amdhsa_system_sgpr_workgroup_info 0
		.amdhsa_system_vgpr_workitem_id 0
		.amdhsa_next_free_vgpr 1
		.amdhsa_next_free_sgpr 1
		.amdhsa_named_barrier_count 0
		.amdhsa_reserve_vcc 0
		.amdhsa_float_round_mode_32 0
		.amdhsa_float_round_mode_16_64 0
		.amdhsa_float_denorm_mode_32 3
		.amdhsa_float_denorm_mode_16_64 3
		.amdhsa_fp16_overflow 0
		.amdhsa_memory_ordered 1
		.amdhsa_forward_progress 1
		.amdhsa_inst_pref_size 0
		.amdhsa_round_robin_scheduling 0
		.amdhsa_exception_fp_ieee_invalid_op 0
		.amdhsa_exception_fp_denorm_src 0
		.amdhsa_exception_fp_ieee_div_zero 0
		.amdhsa_exception_fp_ieee_overflow 0
		.amdhsa_exception_fp_ieee_underflow 0
		.amdhsa_exception_fp_ieee_inexact 0
		.amdhsa_exception_int_div_zero 0
	.end_amdhsa_kernel
	.section	.text._ZN7rocprim17ROCPRIM_400000_NS6detail17trampoline_kernelINS0_14default_configENS1_32segmented_reduce_config_selectorIfEEZNS1_21segmented_reduce_implIS3_PKfPfPKlfN6hipcub16HIPCUB_304000_NS6detail27convert_result_type_wrapperIS8_S9_N2at6native12_GLOBAL__N_19CustomMinEEEEE10hipError_tPvRmT0_T1_jT2_SQ_T4_T3_P12ihipStream_tbEUlT_E_NS1_11comp_targetILNS1_3genE5ELNS1_11target_archE942ELNS1_3gpuE9ELNS1_3repE0EEENS1_30default_config_static_selectorELNS0_4arch9wavefront6targetE0EEEvSP_,"axG",@progbits,_ZN7rocprim17ROCPRIM_400000_NS6detail17trampoline_kernelINS0_14default_configENS1_32segmented_reduce_config_selectorIfEEZNS1_21segmented_reduce_implIS3_PKfPfPKlfN6hipcub16HIPCUB_304000_NS6detail27convert_result_type_wrapperIS8_S9_N2at6native12_GLOBAL__N_19CustomMinEEEEE10hipError_tPvRmT0_T1_jT2_SQ_T4_T3_P12ihipStream_tbEUlT_E_NS1_11comp_targetILNS1_3genE5ELNS1_11target_archE942ELNS1_3gpuE9ELNS1_3repE0EEENS1_30default_config_static_selectorELNS0_4arch9wavefront6targetE0EEEvSP_,comdat
.Lfunc_end197:
	.size	_ZN7rocprim17ROCPRIM_400000_NS6detail17trampoline_kernelINS0_14default_configENS1_32segmented_reduce_config_selectorIfEEZNS1_21segmented_reduce_implIS3_PKfPfPKlfN6hipcub16HIPCUB_304000_NS6detail27convert_result_type_wrapperIS8_S9_N2at6native12_GLOBAL__N_19CustomMinEEEEE10hipError_tPvRmT0_T1_jT2_SQ_T4_T3_P12ihipStream_tbEUlT_E_NS1_11comp_targetILNS1_3genE5ELNS1_11target_archE942ELNS1_3gpuE9ELNS1_3repE0EEENS1_30default_config_static_selectorELNS0_4arch9wavefront6targetE0EEEvSP_, .Lfunc_end197-_ZN7rocprim17ROCPRIM_400000_NS6detail17trampoline_kernelINS0_14default_configENS1_32segmented_reduce_config_selectorIfEEZNS1_21segmented_reduce_implIS3_PKfPfPKlfN6hipcub16HIPCUB_304000_NS6detail27convert_result_type_wrapperIS8_S9_N2at6native12_GLOBAL__N_19CustomMinEEEEE10hipError_tPvRmT0_T1_jT2_SQ_T4_T3_P12ihipStream_tbEUlT_E_NS1_11comp_targetILNS1_3genE5ELNS1_11target_archE942ELNS1_3gpuE9ELNS1_3repE0EEENS1_30default_config_static_selectorELNS0_4arch9wavefront6targetE0EEEvSP_
                                        ; -- End function
	.set _ZN7rocprim17ROCPRIM_400000_NS6detail17trampoline_kernelINS0_14default_configENS1_32segmented_reduce_config_selectorIfEEZNS1_21segmented_reduce_implIS3_PKfPfPKlfN6hipcub16HIPCUB_304000_NS6detail27convert_result_type_wrapperIS8_S9_N2at6native12_GLOBAL__N_19CustomMinEEEEE10hipError_tPvRmT0_T1_jT2_SQ_T4_T3_P12ihipStream_tbEUlT_E_NS1_11comp_targetILNS1_3genE5ELNS1_11target_archE942ELNS1_3gpuE9ELNS1_3repE0EEENS1_30default_config_static_selectorELNS0_4arch9wavefront6targetE0EEEvSP_.num_vgpr, 0
	.set _ZN7rocprim17ROCPRIM_400000_NS6detail17trampoline_kernelINS0_14default_configENS1_32segmented_reduce_config_selectorIfEEZNS1_21segmented_reduce_implIS3_PKfPfPKlfN6hipcub16HIPCUB_304000_NS6detail27convert_result_type_wrapperIS8_S9_N2at6native12_GLOBAL__N_19CustomMinEEEEE10hipError_tPvRmT0_T1_jT2_SQ_T4_T3_P12ihipStream_tbEUlT_E_NS1_11comp_targetILNS1_3genE5ELNS1_11target_archE942ELNS1_3gpuE9ELNS1_3repE0EEENS1_30default_config_static_selectorELNS0_4arch9wavefront6targetE0EEEvSP_.num_agpr, 0
	.set _ZN7rocprim17ROCPRIM_400000_NS6detail17trampoline_kernelINS0_14default_configENS1_32segmented_reduce_config_selectorIfEEZNS1_21segmented_reduce_implIS3_PKfPfPKlfN6hipcub16HIPCUB_304000_NS6detail27convert_result_type_wrapperIS8_S9_N2at6native12_GLOBAL__N_19CustomMinEEEEE10hipError_tPvRmT0_T1_jT2_SQ_T4_T3_P12ihipStream_tbEUlT_E_NS1_11comp_targetILNS1_3genE5ELNS1_11target_archE942ELNS1_3gpuE9ELNS1_3repE0EEENS1_30default_config_static_selectorELNS0_4arch9wavefront6targetE0EEEvSP_.numbered_sgpr, 0
	.set _ZN7rocprim17ROCPRIM_400000_NS6detail17trampoline_kernelINS0_14default_configENS1_32segmented_reduce_config_selectorIfEEZNS1_21segmented_reduce_implIS3_PKfPfPKlfN6hipcub16HIPCUB_304000_NS6detail27convert_result_type_wrapperIS8_S9_N2at6native12_GLOBAL__N_19CustomMinEEEEE10hipError_tPvRmT0_T1_jT2_SQ_T4_T3_P12ihipStream_tbEUlT_E_NS1_11comp_targetILNS1_3genE5ELNS1_11target_archE942ELNS1_3gpuE9ELNS1_3repE0EEENS1_30default_config_static_selectorELNS0_4arch9wavefront6targetE0EEEvSP_.num_named_barrier, 0
	.set _ZN7rocprim17ROCPRIM_400000_NS6detail17trampoline_kernelINS0_14default_configENS1_32segmented_reduce_config_selectorIfEEZNS1_21segmented_reduce_implIS3_PKfPfPKlfN6hipcub16HIPCUB_304000_NS6detail27convert_result_type_wrapperIS8_S9_N2at6native12_GLOBAL__N_19CustomMinEEEEE10hipError_tPvRmT0_T1_jT2_SQ_T4_T3_P12ihipStream_tbEUlT_E_NS1_11comp_targetILNS1_3genE5ELNS1_11target_archE942ELNS1_3gpuE9ELNS1_3repE0EEENS1_30default_config_static_selectorELNS0_4arch9wavefront6targetE0EEEvSP_.private_seg_size, 0
	.set _ZN7rocprim17ROCPRIM_400000_NS6detail17trampoline_kernelINS0_14default_configENS1_32segmented_reduce_config_selectorIfEEZNS1_21segmented_reduce_implIS3_PKfPfPKlfN6hipcub16HIPCUB_304000_NS6detail27convert_result_type_wrapperIS8_S9_N2at6native12_GLOBAL__N_19CustomMinEEEEE10hipError_tPvRmT0_T1_jT2_SQ_T4_T3_P12ihipStream_tbEUlT_E_NS1_11comp_targetILNS1_3genE5ELNS1_11target_archE942ELNS1_3gpuE9ELNS1_3repE0EEENS1_30default_config_static_selectorELNS0_4arch9wavefront6targetE0EEEvSP_.uses_vcc, 0
	.set _ZN7rocprim17ROCPRIM_400000_NS6detail17trampoline_kernelINS0_14default_configENS1_32segmented_reduce_config_selectorIfEEZNS1_21segmented_reduce_implIS3_PKfPfPKlfN6hipcub16HIPCUB_304000_NS6detail27convert_result_type_wrapperIS8_S9_N2at6native12_GLOBAL__N_19CustomMinEEEEE10hipError_tPvRmT0_T1_jT2_SQ_T4_T3_P12ihipStream_tbEUlT_E_NS1_11comp_targetILNS1_3genE5ELNS1_11target_archE942ELNS1_3gpuE9ELNS1_3repE0EEENS1_30default_config_static_selectorELNS0_4arch9wavefront6targetE0EEEvSP_.uses_flat_scratch, 0
	.set _ZN7rocprim17ROCPRIM_400000_NS6detail17trampoline_kernelINS0_14default_configENS1_32segmented_reduce_config_selectorIfEEZNS1_21segmented_reduce_implIS3_PKfPfPKlfN6hipcub16HIPCUB_304000_NS6detail27convert_result_type_wrapperIS8_S9_N2at6native12_GLOBAL__N_19CustomMinEEEEE10hipError_tPvRmT0_T1_jT2_SQ_T4_T3_P12ihipStream_tbEUlT_E_NS1_11comp_targetILNS1_3genE5ELNS1_11target_archE942ELNS1_3gpuE9ELNS1_3repE0EEENS1_30default_config_static_selectorELNS0_4arch9wavefront6targetE0EEEvSP_.has_dyn_sized_stack, 0
	.set _ZN7rocprim17ROCPRIM_400000_NS6detail17trampoline_kernelINS0_14default_configENS1_32segmented_reduce_config_selectorIfEEZNS1_21segmented_reduce_implIS3_PKfPfPKlfN6hipcub16HIPCUB_304000_NS6detail27convert_result_type_wrapperIS8_S9_N2at6native12_GLOBAL__N_19CustomMinEEEEE10hipError_tPvRmT0_T1_jT2_SQ_T4_T3_P12ihipStream_tbEUlT_E_NS1_11comp_targetILNS1_3genE5ELNS1_11target_archE942ELNS1_3gpuE9ELNS1_3repE0EEENS1_30default_config_static_selectorELNS0_4arch9wavefront6targetE0EEEvSP_.has_recursion, 0
	.set _ZN7rocprim17ROCPRIM_400000_NS6detail17trampoline_kernelINS0_14default_configENS1_32segmented_reduce_config_selectorIfEEZNS1_21segmented_reduce_implIS3_PKfPfPKlfN6hipcub16HIPCUB_304000_NS6detail27convert_result_type_wrapperIS8_S9_N2at6native12_GLOBAL__N_19CustomMinEEEEE10hipError_tPvRmT0_T1_jT2_SQ_T4_T3_P12ihipStream_tbEUlT_E_NS1_11comp_targetILNS1_3genE5ELNS1_11target_archE942ELNS1_3gpuE9ELNS1_3repE0EEENS1_30default_config_static_selectorELNS0_4arch9wavefront6targetE0EEEvSP_.has_indirect_call, 0
	.section	.AMDGPU.csdata,"",@progbits
; Kernel info:
; codeLenInByte = 0
; TotalNumSgprs: 0
; NumVgprs: 0
; ScratchSize: 0
; MemoryBound: 0
; FloatMode: 240
; IeeeMode: 1
; LDSByteSize: 0 bytes/workgroup (compile time only)
; SGPRBlocks: 0
; VGPRBlocks: 0
; NumSGPRsForWavesPerEU: 1
; NumVGPRsForWavesPerEU: 1
; NamedBarCnt: 0
; Occupancy: 16
; WaveLimiterHint : 0
; COMPUTE_PGM_RSRC2:SCRATCH_EN: 0
; COMPUTE_PGM_RSRC2:USER_SGPR: 2
; COMPUTE_PGM_RSRC2:TRAP_HANDLER: 0
; COMPUTE_PGM_RSRC2:TGID_X_EN: 1
; COMPUTE_PGM_RSRC2:TGID_Y_EN: 0
; COMPUTE_PGM_RSRC2:TGID_Z_EN: 0
; COMPUTE_PGM_RSRC2:TIDIG_COMP_CNT: 0
	.section	.text._ZN7rocprim17ROCPRIM_400000_NS6detail17trampoline_kernelINS0_14default_configENS1_32segmented_reduce_config_selectorIfEEZNS1_21segmented_reduce_implIS3_PKfPfPKlfN6hipcub16HIPCUB_304000_NS6detail27convert_result_type_wrapperIS8_S9_N2at6native12_GLOBAL__N_19CustomMinEEEEE10hipError_tPvRmT0_T1_jT2_SQ_T4_T3_P12ihipStream_tbEUlT_E_NS1_11comp_targetILNS1_3genE10ELNS1_11target_archE1201ELNS1_3gpuE5ELNS1_3repE0EEENS1_30default_config_static_selectorELNS0_4arch9wavefront6targetE0EEEvSP_,"axG",@progbits,_ZN7rocprim17ROCPRIM_400000_NS6detail17trampoline_kernelINS0_14default_configENS1_32segmented_reduce_config_selectorIfEEZNS1_21segmented_reduce_implIS3_PKfPfPKlfN6hipcub16HIPCUB_304000_NS6detail27convert_result_type_wrapperIS8_S9_N2at6native12_GLOBAL__N_19CustomMinEEEEE10hipError_tPvRmT0_T1_jT2_SQ_T4_T3_P12ihipStream_tbEUlT_E_NS1_11comp_targetILNS1_3genE10ELNS1_11target_archE1201ELNS1_3gpuE5ELNS1_3repE0EEENS1_30default_config_static_selectorELNS0_4arch9wavefront6targetE0EEEvSP_,comdat
	.globl	_ZN7rocprim17ROCPRIM_400000_NS6detail17trampoline_kernelINS0_14default_configENS1_32segmented_reduce_config_selectorIfEEZNS1_21segmented_reduce_implIS3_PKfPfPKlfN6hipcub16HIPCUB_304000_NS6detail27convert_result_type_wrapperIS8_S9_N2at6native12_GLOBAL__N_19CustomMinEEEEE10hipError_tPvRmT0_T1_jT2_SQ_T4_T3_P12ihipStream_tbEUlT_E_NS1_11comp_targetILNS1_3genE10ELNS1_11target_archE1201ELNS1_3gpuE5ELNS1_3repE0EEENS1_30default_config_static_selectorELNS0_4arch9wavefront6targetE0EEEvSP_ ; -- Begin function _ZN7rocprim17ROCPRIM_400000_NS6detail17trampoline_kernelINS0_14default_configENS1_32segmented_reduce_config_selectorIfEEZNS1_21segmented_reduce_implIS3_PKfPfPKlfN6hipcub16HIPCUB_304000_NS6detail27convert_result_type_wrapperIS8_S9_N2at6native12_GLOBAL__N_19CustomMinEEEEE10hipError_tPvRmT0_T1_jT2_SQ_T4_T3_P12ihipStream_tbEUlT_E_NS1_11comp_targetILNS1_3genE10ELNS1_11target_archE1201ELNS1_3gpuE5ELNS1_3repE0EEENS1_30default_config_static_selectorELNS0_4arch9wavefront6targetE0EEEvSP_
	.p2align	8
	.type	_ZN7rocprim17ROCPRIM_400000_NS6detail17trampoline_kernelINS0_14default_configENS1_32segmented_reduce_config_selectorIfEEZNS1_21segmented_reduce_implIS3_PKfPfPKlfN6hipcub16HIPCUB_304000_NS6detail27convert_result_type_wrapperIS8_S9_N2at6native12_GLOBAL__N_19CustomMinEEEEE10hipError_tPvRmT0_T1_jT2_SQ_T4_T3_P12ihipStream_tbEUlT_E_NS1_11comp_targetILNS1_3genE10ELNS1_11target_archE1201ELNS1_3gpuE5ELNS1_3repE0EEENS1_30default_config_static_selectorELNS0_4arch9wavefront6targetE0EEEvSP_,@function
_ZN7rocprim17ROCPRIM_400000_NS6detail17trampoline_kernelINS0_14default_configENS1_32segmented_reduce_config_selectorIfEEZNS1_21segmented_reduce_implIS3_PKfPfPKlfN6hipcub16HIPCUB_304000_NS6detail27convert_result_type_wrapperIS8_S9_N2at6native12_GLOBAL__N_19CustomMinEEEEE10hipError_tPvRmT0_T1_jT2_SQ_T4_T3_P12ihipStream_tbEUlT_E_NS1_11comp_targetILNS1_3genE10ELNS1_11target_archE1201ELNS1_3gpuE5ELNS1_3repE0EEENS1_30default_config_static_selectorELNS0_4arch9wavefront6targetE0EEEvSP_: ; @_ZN7rocprim17ROCPRIM_400000_NS6detail17trampoline_kernelINS0_14default_configENS1_32segmented_reduce_config_selectorIfEEZNS1_21segmented_reduce_implIS3_PKfPfPKlfN6hipcub16HIPCUB_304000_NS6detail27convert_result_type_wrapperIS8_S9_N2at6native12_GLOBAL__N_19CustomMinEEEEE10hipError_tPvRmT0_T1_jT2_SQ_T4_T3_P12ihipStream_tbEUlT_E_NS1_11comp_targetILNS1_3genE10ELNS1_11target_archE1201ELNS1_3gpuE5ELNS1_3repE0EEENS1_30default_config_static_selectorELNS0_4arch9wavefront6targetE0EEEvSP_
; %bb.0:
	.section	.rodata,"a",@progbits
	.p2align	6, 0x0
	.amdhsa_kernel _ZN7rocprim17ROCPRIM_400000_NS6detail17trampoline_kernelINS0_14default_configENS1_32segmented_reduce_config_selectorIfEEZNS1_21segmented_reduce_implIS3_PKfPfPKlfN6hipcub16HIPCUB_304000_NS6detail27convert_result_type_wrapperIS8_S9_N2at6native12_GLOBAL__N_19CustomMinEEEEE10hipError_tPvRmT0_T1_jT2_SQ_T4_T3_P12ihipStream_tbEUlT_E_NS1_11comp_targetILNS1_3genE10ELNS1_11target_archE1201ELNS1_3gpuE5ELNS1_3repE0EEENS1_30default_config_static_selectorELNS0_4arch9wavefront6targetE0EEEvSP_
		.amdhsa_group_segment_fixed_size 0
		.amdhsa_private_segment_fixed_size 0
		.amdhsa_kernarg_size 48
		.amdhsa_user_sgpr_count 2
		.amdhsa_user_sgpr_dispatch_ptr 0
		.amdhsa_user_sgpr_queue_ptr 0
		.amdhsa_user_sgpr_kernarg_segment_ptr 1
		.amdhsa_user_sgpr_dispatch_id 0
		.amdhsa_user_sgpr_kernarg_preload_length 0
		.amdhsa_user_sgpr_kernarg_preload_offset 0
		.amdhsa_user_sgpr_private_segment_size 0
		.amdhsa_wavefront_size32 1
		.amdhsa_uses_dynamic_stack 0
		.amdhsa_enable_private_segment 0
		.amdhsa_system_sgpr_workgroup_id_x 1
		.amdhsa_system_sgpr_workgroup_id_y 0
		.amdhsa_system_sgpr_workgroup_id_z 0
		.amdhsa_system_sgpr_workgroup_info 0
		.amdhsa_system_vgpr_workitem_id 0
		.amdhsa_next_free_vgpr 1
		.amdhsa_next_free_sgpr 1
		.amdhsa_named_barrier_count 0
		.amdhsa_reserve_vcc 0
		.amdhsa_float_round_mode_32 0
		.amdhsa_float_round_mode_16_64 0
		.amdhsa_float_denorm_mode_32 3
		.amdhsa_float_denorm_mode_16_64 3
		.amdhsa_fp16_overflow 0
		.amdhsa_memory_ordered 1
		.amdhsa_forward_progress 1
		.amdhsa_inst_pref_size 0
		.amdhsa_round_robin_scheduling 0
		.amdhsa_exception_fp_ieee_invalid_op 0
		.amdhsa_exception_fp_denorm_src 0
		.amdhsa_exception_fp_ieee_div_zero 0
		.amdhsa_exception_fp_ieee_overflow 0
		.amdhsa_exception_fp_ieee_underflow 0
		.amdhsa_exception_fp_ieee_inexact 0
		.amdhsa_exception_int_div_zero 0
	.end_amdhsa_kernel
	.section	.text._ZN7rocprim17ROCPRIM_400000_NS6detail17trampoline_kernelINS0_14default_configENS1_32segmented_reduce_config_selectorIfEEZNS1_21segmented_reduce_implIS3_PKfPfPKlfN6hipcub16HIPCUB_304000_NS6detail27convert_result_type_wrapperIS8_S9_N2at6native12_GLOBAL__N_19CustomMinEEEEE10hipError_tPvRmT0_T1_jT2_SQ_T4_T3_P12ihipStream_tbEUlT_E_NS1_11comp_targetILNS1_3genE10ELNS1_11target_archE1201ELNS1_3gpuE5ELNS1_3repE0EEENS1_30default_config_static_selectorELNS0_4arch9wavefront6targetE0EEEvSP_,"axG",@progbits,_ZN7rocprim17ROCPRIM_400000_NS6detail17trampoline_kernelINS0_14default_configENS1_32segmented_reduce_config_selectorIfEEZNS1_21segmented_reduce_implIS3_PKfPfPKlfN6hipcub16HIPCUB_304000_NS6detail27convert_result_type_wrapperIS8_S9_N2at6native12_GLOBAL__N_19CustomMinEEEEE10hipError_tPvRmT0_T1_jT2_SQ_T4_T3_P12ihipStream_tbEUlT_E_NS1_11comp_targetILNS1_3genE10ELNS1_11target_archE1201ELNS1_3gpuE5ELNS1_3repE0EEENS1_30default_config_static_selectorELNS0_4arch9wavefront6targetE0EEEvSP_,comdat
.Lfunc_end198:
	.size	_ZN7rocprim17ROCPRIM_400000_NS6detail17trampoline_kernelINS0_14default_configENS1_32segmented_reduce_config_selectorIfEEZNS1_21segmented_reduce_implIS3_PKfPfPKlfN6hipcub16HIPCUB_304000_NS6detail27convert_result_type_wrapperIS8_S9_N2at6native12_GLOBAL__N_19CustomMinEEEEE10hipError_tPvRmT0_T1_jT2_SQ_T4_T3_P12ihipStream_tbEUlT_E_NS1_11comp_targetILNS1_3genE10ELNS1_11target_archE1201ELNS1_3gpuE5ELNS1_3repE0EEENS1_30default_config_static_selectorELNS0_4arch9wavefront6targetE0EEEvSP_, .Lfunc_end198-_ZN7rocprim17ROCPRIM_400000_NS6detail17trampoline_kernelINS0_14default_configENS1_32segmented_reduce_config_selectorIfEEZNS1_21segmented_reduce_implIS3_PKfPfPKlfN6hipcub16HIPCUB_304000_NS6detail27convert_result_type_wrapperIS8_S9_N2at6native12_GLOBAL__N_19CustomMinEEEEE10hipError_tPvRmT0_T1_jT2_SQ_T4_T3_P12ihipStream_tbEUlT_E_NS1_11comp_targetILNS1_3genE10ELNS1_11target_archE1201ELNS1_3gpuE5ELNS1_3repE0EEENS1_30default_config_static_selectorELNS0_4arch9wavefront6targetE0EEEvSP_
                                        ; -- End function
	.set _ZN7rocprim17ROCPRIM_400000_NS6detail17trampoline_kernelINS0_14default_configENS1_32segmented_reduce_config_selectorIfEEZNS1_21segmented_reduce_implIS3_PKfPfPKlfN6hipcub16HIPCUB_304000_NS6detail27convert_result_type_wrapperIS8_S9_N2at6native12_GLOBAL__N_19CustomMinEEEEE10hipError_tPvRmT0_T1_jT2_SQ_T4_T3_P12ihipStream_tbEUlT_E_NS1_11comp_targetILNS1_3genE10ELNS1_11target_archE1201ELNS1_3gpuE5ELNS1_3repE0EEENS1_30default_config_static_selectorELNS0_4arch9wavefront6targetE0EEEvSP_.num_vgpr, 0
	.set _ZN7rocprim17ROCPRIM_400000_NS6detail17trampoline_kernelINS0_14default_configENS1_32segmented_reduce_config_selectorIfEEZNS1_21segmented_reduce_implIS3_PKfPfPKlfN6hipcub16HIPCUB_304000_NS6detail27convert_result_type_wrapperIS8_S9_N2at6native12_GLOBAL__N_19CustomMinEEEEE10hipError_tPvRmT0_T1_jT2_SQ_T4_T3_P12ihipStream_tbEUlT_E_NS1_11comp_targetILNS1_3genE10ELNS1_11target_archE1201ELNS1_3gpuE5ELNS1_3repE0EEENS1_30default_config_static_selectorELNS0_4arch9wavefront6targetE0EEEvSP_.num_agpr, 0
	.set _ZN7rocprim17ROCPRIM_400000_NS6detail17trampoline_kernelINS0_14default_configENS1_32segmented_reduce_config_selectorIfEEZNS1_21segmented_reduce_implIS3_PKfPfPKlfN6hipcub16HIPCUB_304000_NS6detail27convert_result_type_wrapperIS8_S9_N2at6native12_GLOBAL__N_19CustomMinEEEEE10hipError_tPvRmT0_T1_jT2_SQ_T4_T3_P12ihipStream_tbEUlT_E_NS1_11comp_targetILNS1_3genE10ELNS1_11target_archE1201ELNS1_3gpuE5ELNS1_3repE0EEENS1_30default_config_static_selectorELNS0_4arch9wavefront6targetE0EEEvSP_.numbered_sgpr, 0
	.set _ZN7rocprim17ROCPRIM_400000_NS6detail17trampoline_kernelINS0_14default_configENS1_32segmented_reduce_config_selectorIfEEZNS1_21segmented_reduce_implIS3_PKfPfPKlfN6hipcub16HIPCUB_304000_NS6detail27convert_result_type_wrapperIS8_S9_N2at6native12_GLOBAL__N_19CustomMinEEEEE10hipError_tPvRmT0_T1_jT2_SQ_T4_T3_P12ihipStream_tbEUlT_E_NS1_11comp_targetILNS1_3genE10ELNS1_11target_archE1201ELNS1_3gpuE5ELNS1_3repE0EEENS1_30default_config_static_selectorELNS0_4arch9wavefront6targetE0EEEvSP_.num_named_barrier, 0
	.set _ZN7rocprim17ROCPRIM_400000_NS6detail17trampoline_kernelINS0_14default_configENS1_32segmented_reduce_config_selectorIfEEZNS1_21segmented_reduce_implIS3_PKfPfPKlfN6hipcub16HIPCUB_304000_NS6detail27convert_result_type_wrapperIS8_S9_N2at6native12_GLOBAL__N_19CustomMinEEEEE10hipError_tPvRmT0_T1_jT2_SQ_T4_T3_P12ihipStream_tbEUlT_E_NS1_11comp_targetILNS1_3genE10ELNS1_11target_archE1201ELNS1_3gpuE5ELNS1_3repE0EEENS1_30default_config_static_selectorELNS0_4arch9wavefront6targetE0EEEvSP_.private_seg_size, 0
	.set _ZN7rocprim17ROCPRIM_400000_NS6detail17trampoline_kernelINS0_14default_configENS1_32segmented_reduce_config_selectorIfEEZNS1_21segmented_reduce_implIS3_PKfPfPKlfN6hipcub16HIPCUB_304000_NS6detail27convert_result_type_wrapperIS8_S9_N2at6native12_GLOBAL__N_19CustomMinEEEEE10hipError_tPvRmT0_T1_jT2_SQ_T4_T3_P12ihipStream_tbEUlT_E_NS1_11comp_targetILNS1_3genE10ELNS1_11target_archE1201ELNS1_3gpuE5ELNS1_3repE0EEENS1_30default_config_static_selectorELNS0_4arch9wavefront6targetE0EEEvSP_.uses_vcc, 0
	.set _ZN7rocprim17ROCPRIM_400000_NS6detail17trampoline_kernelINS0_14default_configENS1_32segmented_reduce_config_selectorIfEEZNS1_21segmented_reduce_implIS3_PKfPfPKlfN6hipcub16HIPCUB_304000_NS6detail27convert_result_type_wrapperIS8_S9_N2at6native12_GLOBAL__N_19CustomMinEEEEE10hipError_tPvRmT0_T1_jT2_SQ_T4_T3_P12ihipStream_tbEUlT_E_NS1_11comp_targetILNS1_3genE10ELNS1_11target_archE1201ELNS1_3gpuE5ELNS1_3repE0EEENS1_30default_config_static_selectorELNS0_4arch9wavefront6targetE0EEEvSP_.uses_flat_scratch, 0
	.set _ZN7rocprim17ROCPRIM_400000_NS6detail17trampoline_kernelINS0_14default_configENS1_32segmented_reduce_config_selectorIfEEZNS1_21segmented_reduce_implIS3_PKfPfPKlfN6hipcub16HIPCUB_304000_NS6detail27convert_result_type_wrapperIS8_S9_N2at6native12_GLOBAL__N_19CustomMinEEEEE10hipError_tPvRmT0_T1_jT2_SQ_T4_T3_P12ihipStream_tbEUlT_E_NS1_11comp_targetILNS1_3genE10ELNS1_11target_archE1201ELNS1_3gpuE5ELNS1_3repE0EEENS1_30default_config_static_selectorELNS0_4arch9wavefront6targetE0EEEvSP_.has_dyn_sized_stack, 0
	.set _ZN7rocprim17ROCPRIM_400000_NS6detail17trampoline_kernelINS0_14default_configENS1_32segmented_reduce_config_selectorIfEEZNS1_21segmented_reduce_implIS3_PKfPfPKlfN6hipcub16HIPCUB_304000_NS6detail27convert_result_type_wrapperIS8_S9_N2at6native12_GLOBAL__N_19CustomMinEEEEE10hipError_tPvRmT0_T1_jT2_SQ_T4_T3_P12ihipStream_tbEUlT_E_NS1_11comp_targetILNS1_3genE10ELNS1_11target_archE1201ELNS1_3gpuE5ELNS1_3repE0EEENS1_30default_config_static_selectorELNS0_4arch9wavefront6targetE0EEEvSP_.has_recursion, 0
	.set _ZN7rocprim17ROCPRIM_400000_NS6detail17trampoline_kernelINS0_14default_configENS1_32segmented_reduce_config_selectorIfEEZNS1_21segmented_reduce_implIS3_PKfPfPKlfN6hipcub16HIPCUB_304000_NS6detail27convert_result_type_wrapperIS8_S9_N2at6native12_GLOBAL__N_19CustomMinEEEEE10hipError_tPvRmT0_T1_jT2_SQ_T4_T3_P12ihipStream_tbEUlT_E_NS1_11comp_targetILNS1_3genE10ELNS1_11target_archE1201ELNS1_3gpuE5ELNS1_3repE0EEENS1_30default_config_static_selectorELNS0_4arch9wavefront6targetE0EEEvSP_.has_indirect_call, 0
	.section	.AMDGPU.csdata,"",@progbits
; Kernel info:
; codeLenInByte = 0
; TotalNumSgprs: 0
; NumVgprs: 0
; ScratchSize: 0
; MemoryBound: 0
; FloatMode: 240
; IeeeMode: 1
; LDSByteSize: 0 bytes/workgroup (compile time only)
; SGPRBlocks: 0
; VGPRBlocks: 0
; NumSGPRsForWavesPerEU: 1
; NumVGPRsForWavesPerEU: 1
; NamedBarCnt: 0
; Occupancy: 16
; WaveLimiterHint : 0
; COMPUTE_PGM_RSRC2:SCRATCH_EN: 0
; COMPUTE_PGM_RSRC2:USER_SGPR: 2
; COMPUTE_PGM_RSRC2:TRAP_HANDLER: 0
; COMPUTE_PGM_RSRC2:TGID_X_EN: 1
; COMPUTE_PGM_RSRC2:TGID_Y_EN: 0
; COMPUTE_PGM_RSRC2:TGID_Z_EN: 0
; COMPUTE_PGM_RSRC2:TIDIG_COMP_CNT: 0
	.section	.text._ZN7rocprim17ROCPRIM_400000_NS6detail17trampoline_kernelINS0_14default_configENS1_32segmented_reduce_config_selectorIfEEZNS1_21segmented_reduce_implIS3_PKfPfPKlfN6hipcub16HIPCUB_304000_NS6detail27convert_result_type_wrapperIS8_S9_N2at6native12_GLOBAL__N_19CustomMinEEEEE10hipError_tPvRmT0_T1_jT2_SQ_T4_T3_P12ihipStream_tbEUlT_E_NS1_11comp_targetILNS1_3genE4ELNS1_11target_archE910ELNS1_3gpuE8ELNS1_3repE0EEENS1_30default_config_static_selectorELNS0_4arch9wavefront6targetE0EEEvSP_,"axG",@progbits,_ZN7rocprim17ROCPRIM_400000_NS6detail17trampoline_kernelINS0_14default_configENS1_32segmented_reduce_config_selectorIfEEZNS1_21segmented_reduce_implIS3_PKfPfPKlfN6hipcub16HIPCUB_304000_NS6detail27convert_result_type_wrapperIS8_S9_N2at6native12_GLOBAL__N_19CustomMinEEEEE10hipError_tPvRmT0_T1_jT2_SQ_T4_T3_P12ihipStream_tbEUlT_E_NS1_11comp_targetILNS1_3genE4ELNS1_11target_archE910ELNS1_3gpuE8ELNS1_3repE0EEENS1_30default_config_static_selectorELNS0_4arch9wavefront6targetE0EEEvSP_,comdat
	.globl	_ZN7rocprim17ROCPRIM_400000_NS6detail17trampoline_kernelINS0_14default_configENS1_32segmented_reduce_config_selectorIfEEZNS1_21segmented_reduce_implIS3_PKfPfPKlfN6hipcub16HIPCUB_304000_NS6detail27convert_result_type_wrapperIS8_S9_N2at6native12_GLOBAL__N_19CustomMinEEEEE10hipError_tPvRmT0_T1_jT2_SQ_T4_T3_P12ihipStream_tbEUlT_E_NS1_11comp_targetILNS1_3genE4ELNS1_11target_archE910ELNS1_3gpuE8ELNS1_3repE0EEENS1_30default_config_static_selectorELNS0_4arch9wavefront6targetE0EEEvSP_ ; -- Begin function _ZN7rocprim17ROCPRIM_400000_NS6detail17trampoline_kernelINS0_14default_configENS1_32segmented_reduce_config_selectorIfEEZNS1_21segmented_reduce_implIS3_PKfPfPKlfN6hipcub16HIPCUB_304000_NS6detail27convert_result_type_wrapperIS8_S9_N2at6native12_GLOBAL__N_19CustomMinEEEEE10hipError_tPvRmT0_T1_jT2_SQ_T4_T3_P12ihipStream_tbEUlT_E_NS1_11comp_targetILNS1_3genE4ELNS1_11target_archE910ELNS1_3gpuE8ELNS1_3repE0EEENS1_30default_config_static_selectorELNS0_4arch9wavefront6targetE0EEEvSP_
	.p2align	8
	.type	_ZN7rocprim17ROCPRIM_400000_NS6detail17trampoline_kernelINS0_14default_configENS1_32segmented_reduce_config_selectorIfEEZNS1_21segmented_reduce_implIS3_PKfPfPKlfN6hipcub16HIPCUB_304000_NS6detail27convert_result_type_wrapperIS8_S9_N2at6native12_GLOBAL__N_19CustomMinEEEEE10hipError_tPvRmT0_T1_jT2_SQ_T4_T3_P12ihipStream_tbEUlT_E_NS1_11comp_targetILNS1_3genE4ELNS1_11target_archE910ELNS1_3gpuE8ELNS1_3repE0EEENS1_30default_config_static_selectorELNS0_4arch9wavefront6targetE0EEEvSP_,@function
_ZN7rocprim17ROCPRIM_400000_NS6detail17trampoline_kernelINS0_14default_configENS1_32segmented_reduce_config_selectorIfEEZNS1_21segmented_reduce_implIS3_PKfPfPKlfN6hipcub16HIPCUB_304000_NS6detail27convert_result_type_wrapperIS8_S9_N2at6native12_GLOBAL__N_19CustomMinEEEEE10hipError_tPvRmT0_T1_jT2_SQ_T4_T3_P12ihipStream_tbEUlT_E_NS1_11comp_targetILNS1_3genE4ELNS1_11target_archE910ELNS1_3gpuE8ELNS1_3repE0EEENS1_30default_config_static_selectorELNS0_4arch9wavefront6targetE0EEEvSP_: ; @_ZN7rocprim17ROCPRIM_400000_NS6detail17trampoline_kernelINS0_14default_configENS1_32segmented_reduce_config_selectorIfEEZNS1_21segmented_reduce_implIS3_PKfPfPKlfN6hipcub16HIPCUB_304000_NS6detail27convert_result_type_wrapperIS8_S9_N2at6native12_GLOBAL__N_19CustomMinEEEEE10hipError_tPvRmT0_T1_jT2_SQ_T4_T3_P12ihipStream_tbEUlT_E_NS1_11comp_targetILNS1_3genE4ELNS1_11target_archE910ELNS1_3gpuE8ELNS1_3repE0EEENS1_30default_config_static_selectorELNS0_4arch9wavefront6targetE0EEEvSP_
; %bb.0:
	.section	.rodata,"a",@progbits
	.p2align	6, 0x0
	.amdhsa_kernel _ZN7rocprim17ROCPRIM_400000_NS6detail17trampoline_kernelINS0_14default_configENS1_32segmented_reduce_config_selectorIfEEZNS1_21segmented_reduce_implIS3_PKfPfPKlfN6hipcub16HIPCUB_304000_NS6detail27convert_result_type_wrapperIS8_S9_N2at6native12_GLOBAL__N_19CustomMinEEEEE10hipError_tPvRmT0_T1_jT2_SQ_T4_T3_P12ihipStream_tbEUlT_E_NS1_11comp_targetILNS1_3genE4ELNS1_11target_archE910ELNS1_3gpuE8ELNS1_3repE0EEENS1_30default_config_static_selectorELNS0_4arch9wavefront6targetE0EEEvSP_
		.amdhsa_group_segment_fixed_size 0
		.amdhsa_private_segment_fixed_size 0
		.amdhsa_kernarg_size 48
		.amdhsa_user_sgpr_count 2
		.amdhsa_user_sgpr_dispatch_ptr 0
		.amdhsa_user_sgpr_queue_ptr 0
		.amdhsa_user_sgpr_kernarg_segment_ptr 1
		.amdhsa_user_sgpr_dispatch_id 0
		.amdhsa_user_sgpr_kernarg_preload_length 0
		.amdhsa_user_sgpr_kernarg_preload_offset 0
		.amdhsa_user_sgpr_private_segment_size 0
		.amdhsa_wavefront_size32 1
		.amdhsa_uses_dynamic_stack 0
		.amdhsa_enable_private_segment 0
		.amdhsa_system_sgpr_workgroup_id_x 1
		.amdhsa_system_sgpr_workgroup_id_y 0
		.amdhsa_system_sgpr_workgroup_id_z 0
		.amdhsa_system_sgpr_workgroup_info 0
		.amdhsa_system_vgpr_workitem_id 0
		.amdhsa_next_free_vgpr 1
		.amdhsa_next_free_sgpr 1
		.amdhsa_named_barrier_count 0
		.amdhsa_reserve_vcc 0
		.amdhsa_float_round_mode_32 0
		.amdhsa_float_round_mode_16_64 0
		.amdhsa_float_denorm_mode_32 3
		.amdhsa_float_denorm_mode_16_64 3
		.amdhsa_fp16_overflow 0
		.amdhsa_memory_ordered 1
		.amdhsa_forward_progress 1
		.amdhsa_inst_pref_size 0
		.amdhsa_round_robin_scheduling 0
		.amdhsa_exception_fp_ieee_invalid_op 0
		.amdhsa_exception_fp_denorm_src 0
		.amdhsa_exception_fp_ieee_div_zero 0
		.amdhsa_exception_fp_ieee_overflow 0
		.amdhsa_exception_fp_ieee_underflow 0
		.amdhsa_exception_fp_ieee_inexact 0
		.amdhsa_exception_int_div_zero 0
	.end_amdhsa_kernel
	.section	.text._ZN7rocprim17ROCPRIM_400000_NS6detail17trampoline_kernelINS0_14default_configENS1_32segmented_reduce_config_selectorIfEEZNS1_21segmented_reduce_implIS3_PKfPfPKlfN6hipcub16HIPCUB_304000_NS6detail27convert_result_type_wrapperIS8_S9_N2at6native12_GLOBAL__N_19CustomMinEEEEE10hipError_tPvRmT0_T1_jT2_SQ_T4_T3_P12ihipStream_tbEUlT_E_NS1_11comp_targetILNS1_3genE4ELNS1_11target_archE910ELNS1_3gpuE8ELNS1_3repE0EEENS1_30default_config_static_selectorELNS0_4arch9wavefront6targetE0EEEvSP_,"axG",@progbits,_ZN7rocprim17ROCPRIM_400000_NS6detail17trampoline_kernelINS0_14default_configENS1_32segmented_reduce_config_selectorIfEEZNS1_21segmented_reduce_implIS3_PKfPfPKlfN6hipcub16HIPCUB_304000_NS6detail27convert_result_type_wrapperIS8_S9_N2at6native12_GLOBAL__N_19CustomMinEEEEE10hipError_tPvRmT0_T1_jT2_SQ_T4_T3_P12ihipStream_tbEUlT_E_NS1_11comp_targetILNS1_3genE4ELNS1_11target_archE910ELNS1_3gpuE8ELNS1_3repE0EEENS1_30default_config_static_selectorELNS0_4arch9wavefront6targetE0EEEvSP_,comdat
.Lfunc_end199:
	.size	_ZN7rocprim17ROCPRIM_400000_NS6detail17trampoline_kernelINS0_14default_configENS1_32segmented_reduce_config_selectorIfEEZNS1_21segmented_reduce_implIS3_PKfPfPKlfN6hipcub16HIPCUB_304000_NS6detail27convert_result_type_wrapperIS8_S9_N2at6native12_GLOBAL__N_19CustomMinEEEEE10hipError_tPvRmT0_T1_jT2_SQ_T4_T3_P12ihipStream_tbEUlT_E_NS1_11comp_targetILNS1_3genE4ELNS1_11target_archE910ELNS1_3gpuE8ELNS1_3repE0EEENS1_30default_config_static_selectorELNS0_4arch9wavefront6targetE0EEEvSP_, .Lfunc_end199-_ZN7rocprim17ROCPRIM_400000_NS6detail17trampoline_kernelINS0_14default_configENS1_32segmented_reduce_config_selectorIfEEZNS1_21segmented_reduce_implIS3_PKfPfPKlfN6hipcub16HIPCUB_304000_NS6detail27convert_result_type_wrapperIS8_S9_N2at6native12_GLOBAL__N_19CustomMinEEEEE10hipError_tPvRmT0_T1_jT2_SQ_T4_T3_P12ihipStream_tbEUlT_E_NS1_11comp_targetILNS1_3genE4ELNS1_11target_archE910ELNS1_3gpuE8ELNS1_3repE0EEENS1_30default_config_static_selectorELNS0_4arch9wavefront6targetE0EEEvSP_
                                        ; -- End function
	.set _ZN7rocprim17ROCPRIM_400000_NS6detail17trampoline_kernelINS0_14default_configENS1_32segmented_reduce_config_selectorIfEEZNS1_21segmented_reduce_implIS3_PKfPfPKlfN6hipcub16HIPCUB_304000_NS6detail27convert_result_type_wrapperIS8_S9_N2at6native12_GLOBAL__N_19CustomMinEEEEE10hipError_tPvRmT0_T1_jT2_SQ_T4_T3_P12ihipStream_tbEUlT_E_NS1_11comp_targetILNS1_3genE4ELNS1_11target_archE910ELNS1_3gpuE8ELNS1_3repE0EEENS1_30default_config_static_selectorELNS0_4arch9wavefront6targetE0EEEvSP_.num_vgpr, 0
	.set _ZN7rocprim17ROCPRIM_400000_NS6detail17trampoline_kernelINS0_14default_configENS1_32segmented_reduce_config_selectorIfEEZNS1_21segmented_reduce_implIS3_PKfPfPKlfN6hipcub16HIPCUB_304000_NS6detail27convert_result_type_wrapperIS8_S9_N2at6native12_GLOBAL__N_19CustomMinEEEEE10hipError_tPvRmT0_T1_jT2_SQ_T4_T3_P12ihipStream_tbEUlT_E_NS1_11comp_targetILNS1_3genE4ELNS1_11target_archE910ELNS1_3gpuE8ELNS1_3repE0EEENS1_30default_config_static_selectorELNS0_4arch9wavefront6targetE0EEEvSP_.num_agpr, 0
	.set _ZN7rocprim17ROCPRIM_400000_NS6detail17trampoline_kernelINS0_14default_configENS1_32segmented_reduce_config_selectorIfEEZNS1_21segmented_reduce_implIS3_PKfPfPKlfN6hipcub16HIPCUB_304000_NS6detail27convert_result_type_wrapperIS8_S9_N2at6native12_GLOBAL__N_19CustomMinEEEEE10hipError_tPvRmT0_T1_jT2_SQ_T4_T3_P12ihipStream_tbEUlT_E_NS1_11comp_targetILNS1_3genE4ELNS1_11target_archE910ELNS1_3gpuE8ELNS1_3repE0EEENS1_30default_config_static_selectorELNS0_4arch9wavefront6targetE0EEEvSP_.numbered_sgpr, 0
	.set _ZN7rocprim17ROCPRIM_400000_NS6detail17trampoline_kernelINS0_14default_configENS1_32segmented_reduce_config_selectorIfEEZNS1_21segmented_reduce_implIS3_PKfPfPKlfN6hipcub16HIPCUB_304000_NS6detail27convert_result_type_wrapperIS8_S9_N2at6native12_GLOBAL__N_19CustomMinEEEEE10hipError_tPvRmT0_T1_jT2_SQ_T4_T3_P12ihipStream_tbEUlT_E_NS1_11comp_targetILNS1_3genE4ELNS1_11target_archE910ELNS1_3gpuE8ELNS1_3repE0EEENS1_30default_config_static_selectorELNS0_4arch9wavefront6targetE0EEEvSP_.num_named_barrier, 0
	.set _ZN7rocprim17ROCPRIM_400000_NS6detail17trampoline_kernelINS0_14default_configENS1_32segmented_reduce_config_selectorIfEEZNS1_21segmented_reduce_implIS3_PKfPfPKlfN6hipcub16HIPCUB_304000_NS6detail27convert_result_type_wrapperIS8_S9_N2at6native12_GLOBAL__N_19CustomMinEEEEE10hipError_tPvRmT0_T1_jT2_SQ_T4_T3_P12ihipStream_tbEUlT_E_NS1_11comp_targetILNS1_3genE4ELNS1_11target_archE910ELNS1_3gpuE8ELNS1_3repE0EEENS1_30default_config_static_selectorELNS0_4arch9wavefront6targetE0EEEvSP_.private_seg_size, 0
	.set _ZN7rocprim17ROCPRIM_400000_NS6detail17trampoline_kernelINS0_14default_configENS1_32segmented_reduce_config_selectorIfEEZNS1_21segmented_reduce_implIS3_PKfPfPKlfN6hipcub16HIPCUB_304000_NS6detail27convert_result_type_wrapperIS8_S9_N2at6native12_GLOBAL__N_19CustomMinEEEEE10hipError_tPvRmT0_T1_jT2_SQ_T4_T3_P12ihipStream_tbEUlT_E_NS1_11comp_targetILNS1_3genE4ELNS1_11target_archE910ELNS1_3gpuE8ELNS1_3repE0EEENS1_30default_config_static_selectorELNS0_4arch9wavefront6targetE0EEEvSP_.uses_vcc, 0
	.set _ZN7rocprim17ROCPRIM_400000_NS6detail17trampoline_kernelINS0_14default_configENS1_32segmented_reduce_config_selectorIfEEZNS1_21segmented_reduce_implIS3_PKfPfPKlfN6hipcub16HIPCUB_304000_NS6detail27convert_result_type_wrapperIS8_S9_N2at6native12_GLOBAL__N_19CustomMinEEEEE10hipError_tPvRmT0_T1_jT2_SQ_T4_T3_P12ihipStream_tbEUlT_E_NS1_11comp_targetILNS1_3genE4ELNS1_11target_archE910ELNS1_3gpuE8ELNS1_3repE0EEENS1_30default_config_static_selectorELNS0_4arch9wavefront6targetE0EEEvSP_.uses_flat_scratch, 0
	.set _ZN7rocprim17ROCPRIM_400000_NS6detail17trampoline_kernelINS0_14default_configENS1_32segmented_reduce_config_selectorIfEEZNS1_21segmented_reduce_implIS3_PKfPfPKlfN6hipcub16HIPCUB_304000_NS6detail27convert_result_type_wrapperIS8_S9_N2at6native12_GLOBAL__N_19CustomMinEEEEE10hipError_tPvRmT0_T1_jT2_SQ_T4_T3_P12ihipStream_tbEUlT_E_NS1_11comp_targetILNS1_3genE4ELNS1_11target_archE910ELNS1_3gpuE8ELNS1_3repE0EEENS1_30default_config_static_selectorELNS0_4arch9wavefront6targetE0EEEvSP_.has_dyn_sized_stack, 0
	.set _ZN7rocprim17ROCPRIM_400000_NS6detail17trampoline_kernelINS0_14default_configENS1_32segmented_reduce_config_selectorIfEEZNS1_21segmented_reduce_implIS3_PKfPfPKlfN6hipcub16HIPCUB_304000_NS6detail27convert_result_type_wrapperIS8_S9_N2at6native12_GLOBAL__N_19CustomMinEEEEE10hipError_tPvRmT0_T1_jT2_SQ_T4_T3_P12ihipStream_tbEUlT_E_NS1_11comp_targetILNS1_3genE4ELNS1_11target_archE910ELNS1_3gpuE8ELNS1_3repE0EEENS1_30default_config_static_selectorELNS0_4arch9wavefront6targetE0EEEvSP_.has_recursion, 0
	.set _ZN7rocprim17ROCPRIM_400000_NS6detail17trampoline_kernelINS0_14default_configENS1_32segmented_reduce_config_selectorIfEEZNS1_21segmented_reduce_implIS3_PKfPfPKlfN6hipcub16HIPCUB_304000_NS6detail27convert_result_type_wrapperIS8_S9_N2at6native12_GLOBAL__N_19CustomMinEEEEE10hipError_tPvRmT0_T1_jT2_SQ_T4_T3_P12ihipStream_tbEUlT_E_NS1_11comp_targetILNS1_3genE4ELNS1_11target_archE910ELNS1_3gpuE8ELNS1_3repE0EEENS1_30default_config_static_selectorELNS0_4arch9wavefront6targetE0EEEvSP_.has_indirect_call, 0
	.section	.AMDGPU.csdata,"",@progbits
; Kernel info:
; codeLenInByte = 0
; TotalNumSgprs: 0
; NumVgprs: 0
; ScratchSize: 0
; MemoryBound: 0
; FloatMode: 240
; IeeeMode: 1
; LDSByteSize: 0 bytes/workgroup (compile time only)
; SGPRBlocks: 0
; VGPRBlocks: 0
; NumSGPRsForWavesPerEU: 1
; NumVGPRsForWavesPerEU: 1
; NamedBarCnt: 0
; Occupancy: 16
; WaveLimiterHint : 0
; COMPUTE_PGM_RSRC2:SCRATCH_EN: 0
; COMPUTE_PGM_RSRC2:USER_SGPR: 2
; COMPUTE_PGM_RSRC2:TRAP_HANDLER: 0
; COMPUTE_PGM_RSRC2:TGID_X_EN: 1
; COMPUTE_PGM_RSRC2:TGID_Y_EN: 0
; COMPUTE_PGM_RSRC2:TGID_Z_EN: 0
; COMPUTE_PGM_RSRC2:TIDIG_COMP_CNT: 0
	.section	.text._ZN7rocprim17ROCPRIM_400000_NS6detail17trampoline_kernelINS0_14default_configENS1_32segmented_reduce_config_selectorIfEEZNS1_21segmented_reduce_implIS3_PKfPfPKlfN6hipcub16HIPCUB_304000_NS6detail27convert_result_type_wrapperIS8_S9_N2at6native12_GLOBAL__N_19CustomMinEEEEE10hipError_tPvRmT0_T1_jT2_SQ_T4_T3_P12ihipStream_tbEUlT_E_NS1_11comp_targetILNS1_3genE3ELNS1_11target_archE908ELNS1_3gpuE7ELNS1_3repE0EEENS1_30default_config_static_selectorELNS0_4arch9wavefront6targetE0EEEvSP_,"axG",@progbits,_ZN7rocprim17ROCPRIM_400000_NS6detail17trampoline_kernelINS0_14default_configENS1_32segmented_reduce_config_selectorIfEEZNS1_21segmented_reduce_implIS3_PKfPfPKlfN6hipcub16HIPCUB_304000_NS6detail27convert_result_type_wrapperIS8_S9_N2at6native12_GLOBAL__N_19CustomMinEEEEE10hipError_tPvRmT0_T1_jT2_SQ_T4_T3_P12ihipStream_tbEUlT_E_NS1_11comp_targetILNS1_3genE3ELNS1_11target_archE908ELNS1_3gpuE7ELNS1_3repE0EEENS1_30default_config_static_selectorELNS0_4arch9wavefront6targetE0EEEvSP_,comdat
	.globl	_ZN7rocprim17ROCPRIM_400000_NS6detail17trampoline_kernelINS0_14default_configENS1_32segmented_reduce_config_selectorIfEEZNS1_21segmented_reduce_implIS3_PKfPfPKlfN6hipcub16HIPCUB_304000_NS6detail27convert_result_type_wrapperIS8_S9_N2at6native12_GLOBAL__N_19CustomMinEEEEE10hipError_tPvRmT0_T1_jT2_SQ_T4_T3_P12ihipStream_tbEUlT_E_NS1_11comp_targetILNS1_3genE3ELNS1_11target_archE908ELNS1_3gpuE7ELNS1_3repE0EEENS1_30default_config_static_selectorELNS0_4arch9wavefront6targetE0EEEvSP_ ; -- Begin function _ZN7rocprim17ROCPRIM_400000_NS6detail17trampoline_kernelINS0_14default_configENS1_32segmented_reduce_config_selectorIfEEZNS1_21segmented_reduce_implIS3_PKfPfPKlfN6hipcub16HIPCUB_304000_NS6detail27convert_result_type_wrapperIS8_S9_N2at6native12_GLOBAL__N_19CustomMinEEEEE10hipError_tPvRmT0_T1_jT2_SQ_T4_T3_P12ihipStream_tbEUlT_E_NS1_11comp_targetILNS1_3genE3ELNS1_11target_archE908ELNS1_3gpuE7ELNS1_3repE0EEENS1_30default_config_static_selectorELNS0_4arch9wavefront6targetE0EEEvSP_
	.p2align	8
	.type	_ZN7rocprim17ROCPRIM_400000_NS6detail17trampoline_kernelINS0_14default_configENS1_32segmented_reduce_config_selectorIfEEZNS1_21segmented_reduce_implIS3_PKfPfPKlfN6hipcub16HIPCUB_304000_NS6detail27convert_result_type_wrapperIS8_S9_N2at6native12_GLOBAL__N_19CustomMinEEEEE10hipError_tPvRmT0_T1_jT2_SQ_T4_T3_P12ihipStream_tbEUlT_E_NS1_11comp_targetILNS1_3genE3ELNS1_11target_archE908ELNS1_3gpuE7ELNS1_3repE0EEENS1_30default_config_static_selectorELNS0_4arch9wavefront6targetE0EEEvSP_,@function
_ZN7rocprim17ROCPRIM_400000_NS6detail17trampoline_kernelINS0_14default_configENS1_32segmented_reduce_config_selectorIfEEZNS1_21segmented_reduce_implIS3_PKfPfPKlfN6hipcub16HIPCUB_304000_NS6detail27convert_result_type_wrapperIS8_S9_N2at6native12_GLOBAL__N_19CustomMinEEEEE10hipError_tPvRmT0_T1_jT2_SQ_T4_T3_P12ihipStream_tbEUlT_E_NS1_11comp_targetILNS1_3genE3ELNS1_11target_archE908ELNS1_3gpuE7ELNS1_3repE0EEENS1_30default_config_static_selectorELNS0_4arch9wavefront6targetE0EEEvSP_: ; @_ZN7rocprim17ROCPRIM_400000_NS6detail17trampoline_kernelINS0_14default_configENS1_32segmented_reduce_config_selectorIfEEZNS1_21segmented_reduce_implIS3_PKfPfPKlfN6hipcub16HIPCUB_304000_NS6detail27convert_result_type_wrapperIS8_S9_N2at6native12_GLOBAL__N_19CustomMinEEEEE10hipError_tPvRmT0_T1_jT2_SQ_T4_T3_P12ihipStream_tbEUlT_E_NS1_11comp_targetILNS1_3genE3ELNS1_11target_archE908ELNS1_3gpuE7ELNS1_3repE0EEENS1_30default_config_static_selectorELNS0_4arch9wavefront6targetE0EEEvSP_
; %bb.0:
	.section	.rodata,"a",@progbits
	.p2align	6, 0x0
	.amdhsa_kernel _ZN7rocprim17ROCPRIM_400000_NS6detail17trampoline_kernelINS0_14default_configENS1_32segmented_reduce_config_selectorIfEEZNS1_21segmented_reduce_implIS3_PKfPfPKlfN6hipcub16HIPCUB_304000_NS6detail27convert_result_type_wrapperIS8_S9_N2at6native12_GLOBAL__N_19CustomMinEEEEE10hipError_tPvRmT0_T1_jT2_SQ_T4_T3_P12ihipStream_tbEUlT_E_NS1_11comp_targetILNS1_3genE3ELNS1_11target_archE908ELNS1_3gpuE7ELNS1_3repE0EEENS1_30default_config_static_selectorELNS0_4arch9wavefront6targetE0EEEvSP_
		.amdhsa_group_segment_fixed_size 0
		.amdhsa_private_segment_fixed_size 0
		.amdhsa_kernarg_size 48
		.amdhsa_user_sgpr_count 2
		.amdhsa_user_sgpr_dispatch_ptr 0
		.amdhsa_user_sgpr_queue_ptr 0
		.amdhsa_user_sgpr_kernarg_segment_ptr 1
		.amdhsa_user_sgpr_dispatch_id 0
		.amdhsa_user_sgpr_kernarg_preload_length 0
		.amdhsa_user_sgpr_kernarg_preload_offset 0
		.amdhsa_user_sgpr_private_segment_size 0
		.amdhsa_wavefront_size32 1
		.amdhsa_uses_dynamic_stack 0
		.amdhsa_enable_private_segment 0
		.amdhsa_system_sgpr_workgroup_id_x 1
		.amdhsa_system_sgpr_workgroup_id_y 0
		.amdhsa_system_sgpr_workgroup_id_z 0
		.amdhsa_system_sgpr_workgroup_info 0
		.amdhsa_system_vgpr_workitem_id 0
		.amdhsa_next_free_vgpr 1
		.amdhsa_next_free_sgpr 1
		.amdhsa_named_barrier_count 0
		.amdhsa_reserve_vcc 0
		.amdhsa_float_round_mode_32 0
		.amdhsa_float_round_mode_16_64 0
		.amdhsa_float_denorm_mode_32 3
		.amdhsa_float_denorm_mode_16_64 3
		.amdhsa_fp16_overflow 0
		.amdhsa_memory_ordered 1
		.amdhsa_forward_progress 1
		.amdhsa_inst_pref_size 0
		.amdhsa_round_robin_scheduling 0
		.amdhsa_exception_fp_ieee_invalid_op 0
		.amdhsa_exception_fp_denorm_src 0
		.amdhsa_exception_fp_ieee_div_zero 0
		.amdhsa_exception_fp_ieee_overflow 0
		.amdhsa_exception_fp_ieee_underflow 0
		.amdhsa_exception_fp_ieee_inexact 0
		.amdhsa_exception_int_div_zero 0
	.end_amdhsa_kernel
	.section	.text._ZN7rocprim17ROCPRIM_400000_NS6detail17trampoline_kernelINS0_14default_configENS1_32segmented_reduce_config_selectorIfEEZNS1_21segmented_reduce_implIS3_PKfPfPKlfN6hipcub16HIPCUB_304000_NS6detail27convert_result_type_wrapperIS8_S9_N2at6native12_GLOBAL__N_19CustomMinEEEEE10hipError_tPvRmT0_T1_jT2_SQ_T4_T3_P12ihipStream_tbEUlT_E_NS1_11comp_targetILNS1_3genE3ELNS1_11target_archE908ELNS1_3gpuE7ELNS1_3repE0EEENS1_30default_config_static_selectorELNS0_4arch9wavefront6targetE0EEEvSP_,"axG",@progbits,_ZN7rocprim17ROCPRIM_400000_NS6detail17trampoline_kernelINS0_14default_configENS1_32segmented_reduce_config_selectorIfEEZNS1_21segmented_reduce_implIS3_PKfPfPKlfN6hipcub16HIPCUB_304000_NS6detail27convert_result_type_wrapperIS8_S9_N2at6native12_GLOBAL__N_19CustomMinEEEEE10hipError_tPvRmT0_T1_jT2_SQ_T4_T3_P12ihipStream_tbEUlT_E_NS1_11comp_targetILNS1_3genE3ELNS1_11target_archE908ELNS1_3gpuE7ELNS1_3repE0EEENS1_30default_config_static_selectorELNS0_4arch9wavefront6targetE0EEEvSP_,comdat
.Lfunc_end200:
	.size	_ZN7rocprim17ROCPRIM_400000_NS6detail17trampoline_kernelINS0_14default_configENS1_32segmented_reduce_config_selectorIfEEZNS1_21segmented_reduce_implIS3_PKfPfPKlfN6hipcub16HIPCUB_304000_NS6detail27convert_result_type_wrapperIS8_S9_N2at6native12_GLOBAL__N_19CustomMinEEEEE10hipError_tPvRmT0_T1_jT2_SQ_T4_T3_P12ihipStream_tbEUlT_E_NS1_11comp_targetILNS1_3genE3ELNS1_11target_archE908ELNS1_3gpuE7ELNS1_3repE0EEENS1_30default_config_static_selectorELNS0_4arch9wavefront6targetE0EEEvSP_, .Lfunc_end200-_ZN7rocprim17ROCPRIM_400000_NS6detail17trampoline_kernelINS0_14default_configENS1_32segmented_reduce_config_selectorIfEEZNS1_21segmented_reduce_implIS3_PKfPfPKlfN6hipcub16HIPCUB_304000_NS6detail27convert_result_type_wrapperIS8_S9_N2at6native12_GLOBAL__N_19CustomMinEEEEE10hipError_tPvRmT0_T1_jT2_SQ_T4_T3_P12ihipStream_tbEUlT_E_NS1_11comp_targetILNS1_3genE3ELNS1_11target_archE908ELNS1_3gpuE7ELNS1_3repE0EEENS1_30default_config_static_selectorELNS0_4arch9wavefront6targetE0EEEvSP_
                                        ; -- End function
	.set _ZN7rocprim17ROCPRIM_400000_NS6detail17trampoline_kernelINS0_14default_configENS1_32segmented_reduce_config_selectorIfEEZNS1_21segmented_reduce_implIS3_PKfPfPKlfN6hipcub16HIPCUB_304000_NS6detail27convert_result_type_wrapperIS8_S9_N2at6native12_GLOBAL__N_19CustomMinEEEEE10hipError_tPvRmT0_T1_jT2_SQ_T4_T3_P12ihipStream_tbEUlT_E_NS1_11comp_targetILNS1_3genE3ELNS1_11target_archE908ELNS1_3gpuE7ELNS1_3repE0EEENS1_30default_config_static_selectorELNS0_4arch9wavefront6targetE0EEEvSP_.num_vgpr, 0
	.set _ZN7rocprim17ROCPRIM_400000_NS6detail17trampoline_kernelINS0_14default_configENS1_32segmented_reduce_config_selectorIfEEZNS1_21segmented_reduce_implIS3_PKfPfPKlfN6hipcub16HIPCUB_304000_NS6detail27convert_result_type_wrapperIS8_S9_N2at6native12_GLOBAL__N_19CustomMinEEEEE10hipError_tPvRmT0_T1_jT2_SQ_T4_T3_P12ihipStream_tbEUlT_E_NS1_11comp_targetILNS1_3genE3ELNS1_11target_archE908ELNS1_3gpuE7ELNS1_3repE0EEENS1_30default_config_static_selectorELNS0_4arch9wavefront6targetE0EEEvSP_.num_agpr, 0
	.set _ZN7rocprim17ROCPRIM_400000_NS6detail17trampoline_kernelINS0_14default_configENS1_32segmented_reduce_config_selectorIfEEZNS1_21segmented_reduce_implIS3_PKfPfPKlfN6hipcub16HIPCUB_304000_NS6detail27convert_result_type_wrapperIS8_S9_N2at6native12_GLOBAL__N_19CustomMinEEEEE10hipError_tPvRmT0_T1_jT2_SQ_T4_T3_P12ihipStream_tbEUlT_E_NS1_11comp_targetILNS1_3genE3ELNS1_11target_archE908ELNS1_3gpuE7ELNS1_3repE0EEENS1_30default_config_static_selectorELNS0_4arch9wavefront6targetE0EEEvSP_.numbered_sgpr, 0
	.set _ZN7rocprim17ROCPRIM_400000_NS6detail17trampoline_kernelINS0_14default_configENS1_32segmented_reduce_config_selectorIfEEZNS1_21segmented_reduce_implIS3_PKfPfPKlfN6hipcub16HIPCUB_304000_NS6detail27convert_result_type_wrapperIS8_S9_N2at6native12_GLOBAL__N_19CustomMinEEEEE10hipError_tPvRmT0_T1_jT2_SQ_T4_T3_P12ihipStream_tbEUlT_E_NS1_11comp_targetILNS1_3genE3ELNS1_11target_archE908ELNS1_3gpuE7ELNS1_3repE0EEENS1_30default_config_static_selectorELNS0_4arch9wavefront6targetE0EEEvSP_.num_named_barrier, 0
	.set _ZN7rocprim17ROCPRIM_400000_NS6detail17trampoline_kernelINS0_14default_configENS1_32segmented_reduce_config_selectorIfEEZNS1_21segmented_reduce_implIS3_PKfPfPKlfN6hipcub16HIPCUB_304000_NS6detail27convert_result_type_wrapperIS8_S9_N2at6native12_GLOBAL__N_19CustomMinEEEEE10hipError_tPvRmT0_T1_jT2_SQ_T4_T3_P12ihipStream_tbEUlT_E_NS1_11comp_targetILNS1_3genE3ELNS1_11target_archE908ELNS1_3gpuE7ELNS1_3repE0EEENS1_30default_config_static_selectorELNS0_4arch9wavefront6targetE0EEEvSP_.private_seg_size, 0
	.set _ZN7rocprim17ROCPRIM_400000_NS6detail17trampoline_kernelINS0_14default_configENS1_32segmented_reduce_config_selectorIfEEZNS1_21segmented_reduce_implIS3_PKfPfPKlfN6hipcub16HIPCUB_304000_NS6detail27convert_result_type_wrapperIS8_S9_N2at6native12_GLOBAL__N_19CustomMinEEEEE10hipError_tPvRmT0_T1_jT2_SQ_T4_T3_P12ihipStream_tbEUlT_E_NS1_11comp_targetILNS1_3genE3ELNS1_11target_archE908ELNS1_3gpuE7ELNS1_3repE0EEENS1_30default_config_static_selectorELNS0_4arch9wavefront6targetE0EEEvSP_.uses_vcc, 0
	.set _ZN7rocprim17ROCPRIM_400000_NS6detail17trampoline_kernelINS0_14default_configENS1_32segmented_reduce_config_selectorIfEEZNS1_21segmented_reduce_implIS3_PKfPfPKlfN6hipcub16HIPCUB_304000_NS6detail27convert_result_type_wrapperIS8_S9_N2at6native12_GLOBAL__N_19CustomMinEEEEE10hipError_tPvRmT0_T1_jT2_SQ_T4_T3_P12ihipStream_tbEUlT_E_NS1_11comp_targetILNS1_3genE3ELNS1_11target_archE908ELNS1_3gpuE7ELNS1_3repE0EEENS1_30default_config_static_selectorELNS0_4arch9wavefront6targetE0EEEvSP_.uses_flat_scratch, 0
	.set _ZN7rocprim17ROCPRIM_400000_NS6detail17trampoline_kernelINS0_14default_configENS1_32segmented_reduce_config_selectorIfEEZNS1_21segmented_reduce_implIS3_PKfPfPKlfN6hipcub16HIPCUB_304000_NS6detail27convert_result_type_wrapperIS8_S9_N2at6native12_GLOBAL__N_19CustomMinEEEEE10hipError_tPvRmT0_T1_jT2_SQ_T4_T3_P12ihipStream_tbEUlT_E_NS1_11comp_targetILNS1_3genE3ELNS1_11target_archE908ELNS1_3gpuE7ELNS1_3repE0EEENS1_30default_config_static_selectorELNS0_4arch9wavefront6targetE0EEEvSP_.has_dyn_sized_stack, 0
	.set _ZN7rocprim17ROCPRIM_400000_NS6detail17trampoline_kernelINS0_14default_configENS1_32segmented_reduce_config_selectorIfEEZNS1_21segmented_reduce_implIS3_PKfPfPKlfN6hipcub16HIPCUB_304000_NS6detail27convert_result_type_wrapperIS8_S9_N2at6native12_GLOBAL__N_19CustomMinEEEEE10hipError_tPvRmT0_T1_jT2_SQ_T4_T3_P12ihipStream_tbEUlT_E_NS1_11comp_targetILNS1_3genE3ELNS1_11target_archE908ELNS1_3gpuE7ELNS1_3repE0EEENS1_30default_config_static_selectorELNS0_4arch9wavefront6targetE0EEEvSP_.has_recursion, 0
	.set _ZN7rocprim17ROCPRIM_400000_NS6detail17trampoline_kernelINS0_14default_configENS1_32segmented_reduce_config_selectorIfEEZNS1_21segmented_reduce_implIS3_PKfPfPKlfN6hipcub16HIPCUB_304000_NS6detail27convert_result_type_wrapperIS8_S9_N2at6native12_GLOBAL__N_19CustomMinEEEEE10hipError_tPvRmT0_T1_jT2_SQ_T4_T3_P12ihipStream_tbEUlT_E_NS1_11comp_targetILNS1_3genE3ELNS1_11target_archE908ELNS1_3gpuE7ELNS1_3repE0EEENS1_30default_config_static_selectorELNS0_4arch9wavefront6targetE0EEEvSP_.has_indirect_call, 0
	.section	.AMDGPU.csdata,"",@progbits
; Kernel info:
; codeLenInByte = 0
; TotalNumSgprs: 0
; NumVgprs: 0
; ScratchSize: 0
; MemoryBound: 0
; FloatMode: 240
; IeeeMode: 1
; LDSByteSize: 0 bytes/workgroup (compile time only)
; SGPRBlocks: 0
; VGPRBlocks: 0
; NumSGPRsForWavesPerEU: 1
; NumVGPRsForWavesPerEU: 1
; NamedBarCnt: 0
; Occupancy: 16
; WaveLimiterHint : 0
; COMPUTE_PGM_RSRC2:SCRATCH_EN: 0
; COMPUTE_PGM_RSRC2:USER_SGPR: 2
; COMPUTE_PGM_RSRC2:TRAP_HANDLER: 0
; COMPUTE_PGM_RSRC2:TGID_X_EN: 1
; COMPUTE_PGM_RSRC2:TGID_Y_EN: 0
; COMPUTE_PGM_RSRC2:TGID_Z_EN: 0
; COMPUTE_PGM_RSRC2:TIDIG_COMP_CNT: 0
	.section	.text._ZN7rocprim17ROCPRIM_400000_NS6detail17trampoline_kernelINS0_14default_configENS1_32segmented_reduce_config_selectorIfEEZNS1_21segmented_reduce_implIS3_PKfPfPKlfN6hipcub16HIPCUB_304000_NS6detail27convert_result_type_wrapperIS8_S9_N2at6native12_GLOBAL__N_19CustomMinEEEEE10hipError_tPvRmT0_T1_jT2_SQ_T4_T3_P12ihipStream_tbEUlT_E_NS1_11comp_targetILNS1_3genE2ELNS1_11target_archE906ELNS1_3gpuE6ELNS1_3repE0EEENS1_30default_config_static_selectorELNS0_4arch9wavefront6targetE0EEEvSP_,"axG",@progbits,_ZN7rocprim17ROCPRIM_400000_NS6detail17trampoline_kernelINS0_14default_configENS1_32segmented_reduce_config_selectorIfEEZNS1_21segmented_reduce_implIS3_PKfPfPKlfN6hipcub16HIPCUB_304000_NS6detail27convert_result_type_wrapperIS8_S9_N2at6native12_GLOBAL__N_19CustomMinEEEEE10hipError_tPvRmT0_T1_jT2_SQ_T4_T3_P12ihipStream_tbEUlT_E_NS1_11comp_targetILNS1_3genE2ELNS1_11target_archE906ELNS1_3gpuE6ELNS1_3repE0EEENS1_30default_config_static_selectorELNS0_4arch9wavefront6targetE0EEEvSP_,comdat
	.globl	_ZN7rocprim17ROCPRIM_400000_NS6detail17trampoline_kernelINS0_14default_configENS1_32segmented_reduce_config_selectorIfEEZNS1_21segmented_reduce_implIS3_PKfPfPKlfN6hipcub16HIPCUB_304000_NS6detail27convert_result_type_wrapperIS8_S9_N2at6native12_GLOBAL__N_19CustomMinEEEEE10hipError_tPvRmT0_T1_jT2_SQ_T4_T3_P12ihipStream_tbEUlT_E_NS1_11comp_targetILNS1_3genE2ELNS1_11target_archE906ELNS1_3gpuE6ELNS1_3repE0EEENS1_30default_config_static_selectorELNS0_4arch9wavefront6targetE0EEEvSP_ ; -- Begin function _ZN7rocprim17ROCPRIM_400000_NS6detail17trampoline_kernelINS0_14default_configENS1_32segmented_reduce_config_selectorIfEEZNS1_21segmented_reduce_implIS3_PKfPfPKlfN6hipcub16HIPCUB_304000_NS6detail27convert_result_type_wrapperIS8_S9_N2at6native12_GLOBAL__N_19CustomMinEEEEE10hipError_tPvRmT0_T1_jT2_SQ_T4_T3_P12ihipStream_tbEUlT_E_NS1_11comp_targetILNS1_3genE2ELNS1_11target_archE906ELNS1_3gpuE6ELNS1_3repE0EEENS1_30default_config_static_selectorELNS0_4arch9wavefront6targetE0EEEvSP_
	.p2align	8
	.type	_ZN7rocprim17ROCPRIM_400000_NS6detail17trampoline_kernelINS0_14default_configENS1_32segmented_reduce_config_selectorIfEEZNS1_21segmented_reduce_implIS3_PKfPfPKlfN6hipcub16HIPCUB_304000_NS6detail27convert_result_type_wrapperIS8_S9_N2at6native12_GLOBAL__N_19CustomMinEEEEE10hipError_tPvRmT0_T1_jT2_SQ_T4_T3_P12ihipStream_tbEUlT_E_NS1_11comp_targetILNS1_3genE2ELNS1_11target_archE906ELNS1_3gpuE6ELNS1_3repE0EEENS1_30default_config_static_selectorELNS0_4arch9wavefront6targetE0EEEvSP_,@function
_ZN7rocprim17ROCPRIM_400000_NS6detail17trampoline_kernelINS0_14default_configENS1_32segmented_reduce_config_selectorIfEEZNS1_21segmented_reduce_implIS3_PKfPfPKlfN6hipcub16HIPCUB_304000_NS6detail27convert_result_type_wrapperIS8_S9_N2at6native12_GLOBAL__N_19CustomMinEEEEE10hipError_tPvRmT0_T1_jT2_SQ_T4_T3_P12ihipStream_tbEUlT_E_NS1_11comp_targetILNS1_3genE2ELNS1_11target_archE906ELNS1_3gpuE6ELNS1_3repE0EEENS1_30default_config_static_selectorELNS0_4arch9wavefront6targetE0EEEvSP_: ; @_ZN7rocprim17ROCPRIM_400000_NS6detail17trampoline_kernelINS0_14default_configENS1_32segmented_reduce_config_selectorIfEEZNS1_21segmented_reduce_implIS3_PKfPfPKlfN6hipcub16HIPCUB_304000_NS6detail27convert_result_type_wrapperIS8_S9_N2at6native12_GLOBAL__N_19CustomMinEEEEE10hipError_tPvRmT0_T1_jT2_SQ_T4_T3_P12ihipStream_tbEUlT_E_NS1_11comp_targetILNS1_3genE2ELNS1_11target_archE906ELNS1_3gpuE6ELNS1_3repE0EEENS1_30default_config_static_selectorELNS0_4arch9wavefront6targetE0EEEvSP_
; %bb.0:
	.section	.rodata,"a",@progbits
	.p2align	6, 0x0
	.amdhsa_kernel _ZN7rocprim17ROCPRIM_400000_NS6detail17trampoline_kernelINS0_14default_configENS1_32segmented_reduce_config_selectorIfEEZNS1_21segmented_reduce_implIS3_PKfPfPKlfN6hipcub16HIPCUB_304000_NS6detail27convert_result_type_wrapperIS8_S9_N2at6native12_GLOBAL__N_19CustomMinEEEEE10hipError_tPvRmT0_T1_jT2_SQ_T4_T3_P12ihipStream_tbEUlT_E_NS1_11comp_targetILNS1_3genE2ELNS1_11target_archE906ELNS1_3gpuE6ELNS1_3repE0EEENS1_30default_config_static_selectorELNS0_4arch9wavefront6targetE0EEEvSP_
		.amdhsa_group_segment_fixed_size 0
		.amdhsa_private_segment_fixed_size 0
		.amdhsa_kernarg_size 48
		.amdhsa_user_sgpr_count 2
		.amdhsa_user_sgpr_dispatch_ptr 0
		.amdhsa_user_sgpr_queue_ptr 0
		.amdhsa_user_sgpr_kernarg_segment_ptr 1
		.amdhsa_user_sgpr_dispatch_id 0
		.amdhsa_user_sgpr_kernarg_preload_length 0
		.amdhsa_user_sgpr_kernarg_preload_offset 0
		.amdhsa_user_sgpr_private_segment_size 0
		.amdhsa_wavefront_size32 1
		.amdhsa_uses_dynamic_stack 0
		.amdhsa_enable_private_segment 0
		.amdhsa_system_sgpr_workgroup_id_x 1
		.amdhsa_system_sgpr_workgroup_id_y 0
		.amdhsa_system_sgpr_workgroup_id_z 0
		.amdhsa_system_sgpr_workgroup_info 0
		.amdhsa_system_vgpr_workitem_id 0
		.amdhsa_next_free_vgpr 1
		.amdhsa_next_free_sgpr 1
		.amdhsa_named_barrier_count 0
		.amdhsa_reserve_vcc 0
		.amdhsa_float_round_mode_32 0
		.amdhsa_float_round_mode_16_64 0
		.amdhsa_float_denorm_mode_32 3
		.amdhsa_float_denorm_mode_16_64 3
		.amdhsa_fp16_overflow 0
		.amdhsa_memory_ordered 1
		.amdhsa_forward_progress 1
		.amdhsa_inst_pref_size 0
		.amdhsa_round_robin_scheduling 0
		.amdhsa_exception_fp_ieee_invalid_op 0
		.amdhsa_exception_fp_denorm_src 0
		.amdhsa_exception_fp_ieee_div_zero 0
		.amdhsa_exception_fp_ieee_overflow 0
		.amdhsa_exception_fp_ieee_underflow 0
		.amdhsa_exception_fp_ieee_inexact 0
		.amdhsa_exception_int_div_zero 0
	.end_amdhsa_kernel
	.section	.text._ZN7rocprim17ROCPRIM_400000_NS6detail17trampoline_kernelINS0_14default_configENS1_32segmented_reduce_config_selectorIfEEZNS1_21segmented_reduce_implIS3_PKfPfPKlfN6hipcub16HIPCUB_304000_NS6detail27convert_result_type_wrapperIS8_S9_N2at6native12_GLOBAL__N_19CustomMinEEEEE10hipError_tPvRmT0_T1_jT2_SQ_T4_T3_P12ihipStream_tbEUlT_E_NS1_11comp_targetILNS1_3genE2ELNS1_11target_archE906ELNS1_3gpuE6ELNS1_3repE0EEENS1_30default_config_static_selectorELNS0_4arch9wavefront6targetE0EEEvSP_,"axG",@progbits,_ZN7rocprim17ROCPRIM_400000_NS6detail17trampoline_kernelINS0_14default_configENS1_32segmented_reduce_config_selectorIfEEZNS1_21segmented_reduce_implIS3_PKfPfPKlfN6hipcub16HIPCUB_304000_NS6detail27convert_result_type_wrapperIS8_S9_N2at6native12_GLOBAL__N_19CustomMinEEEEE10hipError_tPvRmT0_T1_jT2_SQ_T4_T3_P12ihipStream_tbEUlT_E_NS1_11comp_targetILNS1_3genE2ELNS1_11target_archE906ELNS1_3gpuE6ELNS1_3repE0EEENS1_30default_config_static_selectorELNS0_4arch9wavefront6targetE0EEEvSP_,comdat
.Lfunc_end201:
	.size	_ZN7rocprim17ROCPRIM_400000_NS6detail17trampoline_kernelINS0_14default_configENS1_32segmented_reduce_config_selectorIfEEZNS1_21segmented_reduce_implIS3_PKfPfPKlfN6hipcub16HIPCUB_304000_NS6detail27convert_result_type_wrapperIS8_S9_N2at6native12_GLOBAL__N_19CustomMinEEEEE10hipError_tPvRmT0_T1_jT2_SQ_T4_T3_P12ihipStream_tbEUlT_E_NS1_11comp_targetILNS1_3genE2ELNS1_11target_archE906ELNS1_3gpuE6ELNS1_3repE0EEENS1_30default_config_static_selectorELNS0_4arch9wavefront6targetE0EEEvSP_, .Lfunc_end201-_ZN7rocprim17ROCPRIM_400000_NS6detail17trampoline_kernelINS0_14default_configENS1_32segmented_reduce_config_selectorIfEEZNS1_21segmented_reduce_implIS3_PKfPfPKlfN6hipcub16HIPCUB_304000_NS6detail27convert_result_type_wrapperIS8_S9_N2at6native12_GLOBAL__N_19CustomMinEEEEE10hipError_tPvRmT0_T1_jT2_SQ_T4_T3_P12ihipStream_tbEUlT_E_NS1_11comp_targetILNS1_3genE2ELNS1_11target_archE906ELNS1_3gpuE6ELNS1_3repE0EEENS1_30default_config_static_selectorELNS0_4arch9wavefront6targetE0EEEvSP_
                                        ; -- End function
	.set _ZN7rocprim17ROCPRIM_400000_NS6detail17trampoline_kernelINS0_14default_configENS1_32segmented_reduce_config_selectorIfEEZNS1_21segmented_reduce_implIS3_PKfPfPKlfN6hipcub16HIPCUB_304000_NS6detail27convert_result_type_wrapperIS8_S9_N2at6native12_GLOBAL__N_19CustomMinEEEEE10hipError_tPvRmT0_T1_jT2_SQ_T4_T3_P12ihipStream_tbEUlT_E_NS1_11comp_targetILNS1_3genE2ELNS1_11target_archE906ELNS1_3gpuE6ELNS1_3repE0EEENS1_30default_config_static_selectorELNS0_4arch9wavefront6targetE0EEEvSP_.num_vgpr, 0
	.set _ZN7rocprim17ROCPRIM_400000_NS6detail17trampoline_kernelINS0_14default_configENS1_32segmented_reduce_config_selectorIfEEZNS1_21segmented_reduce_implIS3_PKfPfPKlfN6hipcub16HIPCUB_304000_NS6detail27convert_result_type_wrapperIS8_S9_N2at6native12_GLOBAL__N_19CustomMinEEEEE10hipError_tPvRmT0_T1_jT2_SQ_T4_T3_P12ihipStream_tbEUlT_E_NS1_11comp_targetILNS1_3genE2ELNS1_11target_archE906ELNS1_3gpuE6ELNS1_3repE0EEENS1_30default_config_static_selectorELNS0_4arch9wavefront6targetE0EEEvSP_.num_agpr, 0
	.set _ZN7rocprim17ROCPRIM_400000_NS6detail17trampoline_kernelINS0_14default_configENS1_32segmented_reduce_config_selectorIfEEZNS1_21segmented_reduce_implIS3_PKfPfPKlfN6hipcub16HIPCUB_304000_NS6detail27convert_result_type_wrapperIS8_S9_N2at6native12_GLOBAL__N_19CustomMinEEEEE10hipError_tPvRmT0_T1_jT2_SQ_T4_T3_P12ihipStream_tbEUlT_E_NS1_11comp_targetILNS1_3genE2ELNS1_11target_archE906ELNS1_3gpuE6ELNS1_3repE0EEENS1_30default_config_static_selectorELNS0_4arch9wavefront6targetE0EEEvSP_.numbered_sgpr, 0
	.set _ZN7rocprim17ROCPRIM_400000_NS6detail17trampoline_kernelINS0_14default_configENS1_32segmented_reduce_config_selectorIfEEZNS1_21segmented_reduce_implIS3_PKfPfPKlfN6hipcub16HIPCUB_304000_NS6detail27convert_result_type_wrapperIS8_S9_N2at6native12_GLOBAL__N_19CustomMinEEEEE10hipError_tPvRmT0_T1_jT2_SQ_T4_T3_P12ihipStream_tbEUlT_E_NS1_11comp_targetILNS1_3genE2ELNS1_11target_archE906ELNS1_3gpuE6ELNS1_3repE0EEENS1_30default_config_static_selectorELNS0_4arch9wavefront6targetE0EEEvSP_.num_named_barrier, 0
	.set _ZN7rocprim17ROCPRIM_400000_NS6detail17trampoline_kernelINS0_14default_configENS1_32segmented_reduce_config_selectorIfEEZNS1_21segmented_reduce_implIS3_PKfPfPKlfN6hipcub16HIPCUB_304000_NS6detail27convert_result_type_wrapperIS8_S9_N2at6native12_GLOBAL__N_19CustomMinEEEEE10hipError_tPvRmT0_T1_jT2_SQ_T4_T3_P12ihipStream_tbEUlT_E_NS1_11comp_targetILNS1_3genE2ELNS1_11target_archE906ELNS1_3gpuE6ELNS1_3repE0EEENS1_30default_config_static_selectorELNS0_4arch9wavefront6targetE0EEEvSP_.private_seg_size, 0
	.set _ZN7rocprim17ROCPRIM_400000_NS6detail17trampoline_kernelINS0_14default_configENS1_32segmented_reduce_config_selectorIfEEZNS1_21segmented_reduce_implIS3_PKfPfPKlfN6hipcub16HIPCUB_304000_NS6detail27convert_result_type_wrapperIS8_S9_N2at6native12_GLOBAL__N_19CustomMinEEEEE10hipError_tPvRmT0_T1_jT2_SQ_T4_T3_P12ihipStream_tbEUlT_E_NS1_11comp_targetILNS1_3genE2ELNS1_11target_archE906ELNS1_3gpuE6ELNS1_3repE0EEENS1_30default_config_static_selectorELNS0_4arch9wavefront6targetE0EEEvSP_.uses_vcc, 0
	.set _ZN7rocprim17ROCPRIM_400000_NS6detail17trampoline_kernelINS0_14default_configENS1_32segmented_reduce_config_selectorIfEEZNS1_21segmented_reduce_implIS3_PKfPfPKlfN6hipcub16HIPCUB_304000_NS6detail27convert_result_type_wrapperIS8_S9_N2at6native12_GLOBAL__N_19CustomMinEEEEE10hipError_tPvRmT0_T1_jT2_SQ_T4_T3_P12ihipStream_tbEUlT_E_NS1_11comp_targetILNS1_3genE2ELNS1_11target_archE906ELNS1_3gpuE6ELNS1_3repE0EEENS1_30default_config_static_selectorELNS0_4arch9wavefront6targetE0EEEvSP_.uses_flat_scratch, 0
	.set _ZN7rocprim17ROCPRIM_400000_NS6detail17trampoline_kernelINS0_14default_configENS1_32segmented_reduce_config_selectorIfEEZNS1_21segmented_reduce_implIS3_PKfPfPKlfN6hipcub16HIPCUB_304000_NS6detail27convert_result_type_wrapperIS8_S9_N2at6native12_GLOBAL__N_19CustomMinEEEEE10hipError_tPvRmT0_T1_jT2_SQ_T4_T3_P12ihipStream_tbEUlT_E_NS1_11comp_targetILNS1_3genE2ELNS1_11target_archE906ELNS1_3gpuE6ELNS1_3repE0EEENS1_30default_config_static_selectorELNS0_4arch9wavefront6targetE0EEEvSP_.has_dyn_sized_stack, 0
	.set _ZN7rocprim17ROCPRIM_400000_NS6detail17trampoline_kernelINS0_14default_configENS1_32segmented_reduce_config_selectorIfEEZNS1_21segmented_reduce_implIS3_PKfPfPKlfN6hipcub16HIPCUB_304000_NS6detail27convert_result_type_wrapperIS8_S9_N2at6native12_GLOBAL__N_19CustomMinEEEEE10hipError_tPvRmT0_T1_jT2_SQ_T4_T3_P12ihipStream_tbEUlT_E_NS1_11comp_targetILNS1_3genE2ELNS1_11target_archE906ELNS1_3gpuE6ELNS1_3repE0EEENS1_30default_config_static_selectorELNS0_4arch9wavefront6targetE0EEEvSP_.has_recursion, 0
	.set _ZN7rocprim17ROCPRIM_400000_NS6detail17trampoline_kernelINS0_14default_configENS1_32segmented_reduce_config_selectorIfEEZNS1_21segmented_reduce_implIS3_PKfPfPKlfN6hipcub16HIPCUB_304000_NS6detail27convert_result_type_wrapperIS8_S9_N2at6native12_GLOBAL__N_19CustomMinEEEEE10hipError_tPvRmT0_T1_jT2_SQ_T4_T3_P12ihipStream_tbEUlT_E_NS1_11comp_targetILNS1_3genE2ELNS1_11target_archE906ELNS1_3gpuE6ELNS1_3repE0EEENS1_30default_config_static_selectorELNS0_4arch9wavefront6targetE0EEEvSP_.has_indirect_call, 0
	.section	.AMDGPU.csdata,"",@progbits
; Kernel info:
; codeLenInByte = 0
; TotalNumSgprs: 0
; NumVgprs: 0
; ScratchSize: 0
; MemoryBound: 0
; FloatMode: 240
; IeeeMode: 1
; LDSByteSize: 0 bytes/workgroup (compile time only)
; SGPRBlocks: 0
; VGPRBlocks: 0
; NumSGPRsForWavesPerEU: 1
; NumVGPRsForWavesPerEU: 1
; NamedBarCnt: 0
; Occupancy: 16
; WaveLimiterHint : 0
; COMPUTE_PGM_RSRC2:SCRATCH_EN: 0
; COMPUTE_PGM_RSRC2:USER_SGPR: 2
; COMPUTE_PGM_RSRC2:TRAP_HANDLER: 0
; COMPUTE_PGM_RSRC2:TGID_X_EN: 1
; COMPUTE_PGM_RSRC2:TGID_Y_EN: 0
; COMPUTE_PGM_RSRC2:TGID_Z_EN: 0
; COMPUTE_PGM_RSRC2:TIDIG_COMP_CNT: 0
	.section	.text._ZN7rocprim17ROCPRIM_400000_NS6detail17trampoline_kernelINS0_14default_configENS1_32segmented_reduce_config_selectorIfEEZNS1_21segmented_reduce_implIS3_PKfPfPKlfN6hipcub16HIPCUB_304000_NS6detail27convert_result_type_wrapperIS8_S9_N2at6native12_GLOBAL__N_19CustomMinEEEEE10hipError_tPvRmT0_T1_jT2_SQ_T4_T3_P12ihipStream_tbEUlT_E_NS1_11comp_targetILNS1_3genE9ELNS1_11target_archE1100ELNS1_3gpuE3ELNS1_3repE0EEENS1_30default_config_static_selectorELNS0_4arch9wavefront6targetE0EEEvSP_,"axG",@progbits,_ZN7rocprim17ROCPRIM_400000_NS6detail17trampoline_kernelINS0_14default_configENS1_32segmented_reduce_config_selectorIfEEZNS1_21segmented_reduce_implIS3_PKfPfPKlfN6hipcub16HIPCUB_304000_NS6detail27convert_result_type_wrapperIS8_S9_N2at6native12_GLOBAL__N_19CustomMinEEEEE10hipError_tPvRmT0_T1_jT2_SQ_T4_T3_P12ihipStream_tbEUlT_E_NS1_11comp_targetILNS1_3genE9ELNS1_11target_archE1100ELNS1_3gpuE3ELNS1_3repE0EEENS1_30default_config_static_selectorELNS0_4arch9wavefront6targetE0EEEvSP_,comdat
	.globl	_ZN7rocprim17ROCPRIM_400000_NS6detail17trampoline_kernelINS0_14default_configENS1_32segmented_reduce_config_selectorIfEEZNS1_21segmented_reduce_implIS3_PKfPfPKlfN6hipcub16HIPCUB_304000_NS6detail27convert_result_type_wrapperIS8_S9_N2at6native12_GLOBAL__N_19CustomMinEEEEE10hipError_tPvRmT0_T1_jT2_SQ_T4_T3_P12ihipStream_tbEUlT_E_NS1_11comp_targetILNS1_3genE9ELNS1_11target_archE1100ELNS1_3gpuE3ELNS1_3repE0EEENS1_30default_config_static_selectorELNS0_4arch9wavefront6targetE0EEEvSP_ ; -- Begin function _ZN7rocprim17ROCPRIM_400000_NS6detail17trampoline_kernelINS0_14default_configENS1_32segmented_reduce_config_selectorIfEEZNS1_21segmented_reduce_implIS3_PKfPfPKlfN6hipcub16HIPCUB_304000_NS6detail27convert_result_type_wrapperIS8_S9_N2at6native12_GLOBAL__N_19CustomMinEEEEE10hipError_tPvRmT0_T1_jT2_SQ_T4_T3_P12ihipStream_tbEUlT_E_NS1_11comp_targetILNS1_3genE9ELNS1_11target_archE1100ELNS1_3gpuE3ELNS1_3repE0EEENS1_30default_config_static_selectorELNS0_4arch9wavefront6targetE0EEEvSP_
	.p2align	8
	.type	_ZN7rocprim17ROCPRIM_400000_NS6detail17trampoline_kernelINS0_14default_configENS1_32segmented_reduce_config_selectorIfEEZNS1_21segmented_reduce_implIS3_PKfPfPKlfN6hipcub16HIPCUB_304000_NS6detail27convert_result_type_wrapperIS8_S9_N2at6native12_GLOBAL__N_19CustomMinEEEEE10hipError_tPvRmT0_T1_jT2_SQ_T4_T3_P12ihipStream_tbEUlT_E_NS1_11comp_targetILNS1_3genE9ELNS1_11target_archE1100ELNS1_3gpuE3ELNS1_3repE0EEENS1_30default_config_static_selectorELNS0_4arch9wavefront6targetE0EEEvSP_,@function
_ZN7rocprim17ROCPRIM_400000_NS6detail17trampoline_kernelINS0_14default_configENS1_32segmented_reduce_config_selectorIfEEZNS1_21segmented_reduce_implIS3_PKfPfPKlfN6hipcub16HIPCUB_304000_NS6detail27convert_result_type_wrapperIS8_S9_N2at6native12_GLOBAL__N_19CustomMinEEEEE10hipError_tPvRmT0_T1_jT2_SQ_T4_T3_P12ihipStream_tbEUlT_E_NS1_11comp_targetILNS1_3genE9ELNS1_11target_archE1100ELNS1_3gpuE3ELNS1_3repE0EEENS1_30default_config_static_selectorELNS0_4arch9wavefront6targetE0EEEvSP_: ; @_ZN7rocprim17ROCPRIM_400000_NS6detail17trampoline_kernelINS0_14default_configENS1_32segmented_reduce_config_selectorIfEEZNS1_21segmented_reduce_implIS3_PKfPfPKlfN6hipcub16HIPCUB_304000_NS6detail27convert_result_type_wrapperIS8_S9_N2at6native12_GLOBAL__N_19CustomMinEEEEE10hipError_tPvRmT0_T1_jT2_SQ_T4_T3_P12ihipStream_tbEUlT_E_NS1_11comp_targetILNS1_3genE9ELNS1_11target_archE1100ELNS1_3gpuE3ELNS1_3repE0EEENS1_30default_config_static_selectorELNS0_4arch9wavefront6targetE0EEEvSP_
; %bb.0:
	.section	.rodata,"a",@progbits
	.p2align	6, 0x0
	.amdhsa_kernel _ZN7rocprim17ROCPRIM_400000_NS6detail17trampoline_kernelINS0_14default_configENS1_32segmented_reduce_config_selectorIfEEZNS1_21segmented_reduce_implIS3_PKfPfPKlfN6hipcub16HIPCUB_304000_NS6detail27convert_result_type_wrapperIS8_S9_N2at6native12_GLOBAL__N_19CustomMinEEEEE10hipError_tPvRmT0_T1_jT2_SQ_T4_T3_P12ihipStream_tbEUlT_E_NS1_11comp_targetILNS1_3genE9ELNS1_11target_archE1100ELNS1_3gpuE3ELNS1_3repE0EEENS1_30default_config_static_selectorELNS0_4arch9wavefront6targetE0EEEvSP_
		.amdhsa_group_segment_fixed_size 0
		.amdhsa_private_segment_fixed_size 0
		.amdhsa_kernarg_size 48
		.amdhsa_user_sgpr_count 2
		.amdhsa_user_sgpr_dispatch_ptr 0
		.amdhsa_user_sgpr_queue_ptr 0
		.amdhsa_user_sgpr_kernarg_segment_ptr 1
		.amdhsa_user_sgpr_dispatch_id 0
		.amdhsa_user_sgpr_kernarg_preload_length 0
		.amdhsa_user_sgpr_kernarg_preload_offset 0
		.amdhsa_user_sgpr_private_segment_size 0
		.amdhsa_wavefront_size32 1
		.amdhsa_uses_dynamic_stack 0
		.amdhsa_enable_private_segment 0
		.amdhsa_system_sgpr_workgroup_id_x 1
		.amdhsa_system_sgpr_workgroup_id_y 0
		.amdhsa_system_sgpr_workgroup_id_z 0
		.amdhsa_system_sgpr_workgroup_info 0
		.amdhsa_system_vgpr_workitem_id 0
		.amdhsa_next_free_vgpr 1
		.amdhsa_next_free_sgpr 1
		.amdhsa_named_barrier_count 0
		.amdhsa_reserve_vcc 0
		.amdhsa_float_round_mode_32 0
		.amdhsa_float_round_mode_16_64 0
		.amdhsa_float_denorm_mode_32 3
		.amdhsa_float_denorm_mode_16_64 3
		.amdhsa_fp16_overflow 0
		.amdhsa_memory_ordered 1
		.amdhsa_forward_progress 1
		.amdhsa_inst_pref_size 0
		.amdhsa_round_robin_scheduling 0
		.amdhsa_exception_fp_ieee_invalid_op 0
		.amdhsa_exception_fp_denorm_src 0
		.amdhsa_exception_fp_ieee_div_zero 0
		.amdhsa_exception_fp_ieee_overflow 0
		.amdhsa_exception_fp_ieee_underflow 0
		.amdhsa_exception_fp_ieee_inexact 0
		.amdhsa_exception_int_div_zero 0
	.end_amdhsa_kernel
	.section	.text._ZN7rocprim17ROCPRIM_400000_NS6detail17trampoline_kernelINS0_14default_configENS1_32segmented_reduce_config_selectorIfEEZNS1_21segmented_reduce_implIS3_PKfPfPKlfN6hipcub16HIPCUB_304000_NS6detail27convert_result_type_wrapperIS8_S9_N2at6native12_GLOBAL__N_19CustomMinEEEEE10hipError_tPvRmT0_T1_jT2_SQ_T4_T3_P12ihipStream_tbEUlT_E_NS1_11comp_targetILNS1_3genE9ELNS1_11target_archE1100ELNS1_3gpuE3ELNS1_3repE0EEENS1_30default_config_static_selectorELNS0_4arch9wavefront6targetE0EEEvSP_,"axG",@progbits,_ZN7rocprim17ROCPRIM_400000_NS6detail17trampoline_kernelINS0_14default_configENS1_32segmented_reduce_config_selectorIfEEZNS1_21segmented_reduce_implIS3_PKfPfPKlfN6hipcub16HIPCUB_304000_NS6detail27convert_result_type_wrapperIS8_S9_N2at6native12_GLOBAL__N_19CustomMinEEEEE10hipError_tPvRmT0_T1_jT2_SQ_T4_T3_P12ihipStream_tbEUlT_E_NS1_11comp_targetILNS1_3genE9ELNS1_11target_archE1100ELNS1_3gpuE3ELNS1_3repE0EEENS1_30default_config_static_selectorELNS0_4arch9wavefront6targetE0EEEvSP_,comdat
.Lfunc_end202:
	.size	_ZN7rocprim17ROCPRIM_400000_NS6detail17trampoline_kernelINS0_14default_configENS1_32segmented_reduce_config_selectorIfEEZNS1_21segmented_reduce_implIS3_PKfPfPKlfN6hipcub16HIPCUB_304000_NS6detail27convert_result_type_wrapperIS8_S9_N2at6native12_GLOBAL__N_19CustomMinEEEEE10hipError_tPvRmT0_T1_jT2_SQ_T4_T3_P12ihipStream_tbEUlT_E_NS1_11comp_targetILNS1_3genE9ELNS1_11target_archE1100ELNS1_3gpuE3ELNS1_3repE0EEENS1_30default_config_static_selectorELNS0_4arch9wavefront6targetE0EEEvSP_, .Lfunc_end202-_ZN7rocprim17ROCPRIM_400000_NS6detail17trampoline_kernelINS0_14default_configENS1_32segmented_reduce_config_selectorIfEEZNS1_21segmented_reduce_implIS3_PKfPfPKlfN6hipcub16HIPCUB_304000_NS6detail27convert_result_type_wrapperIS8_S9_N2at6native12_GLOBAL__N_19CustomMinEEEEE10hipError_tPvRmT0_T1_jT2_SQ_T4_T3_P12ihipStream_tbEUlT_E_NS1_11comp_targetILNS1_3genE9ELNS1_11target_archE1100ELNS1_3gpuE3ELNS1_3repE0EEENS1_30default_config_static_selectorELNS0_4arch9wavefront6targetE0EEEvSP_
                                        ; -- End function
	.set _ZN7rocprim17ROCPRIM_400000_NS6detail17trampoline_kernelINS0_14default_configENS1_32segmented_reduce_config_selectorIfEEZNS1_21segmented_reduce_implIS3_PKfPfPKlfN6hipcub16HIPCUB_304000_NS6detail27convert_result_type_wrapperIS8_S9_N2at6native12_GLOBAL__N_19CustomMinEEEEE10hipError_tPvRmT0_T1_jT2_SQ_T4_T3_P12ihipStream_tbEUlT_E_NS1_11comp_targetILNS1_3genE9ELNS1_11target_archE1100ELNS1_3gpuE3ELNS1_3repE0EEENS1_30default_config_static_selectorELNS0_4arch9wavefront6targetE0EEEvSP_.num_vgpr, 0
	.set _ZN7rocprim17ROCPRIM_400000_NS6detail17trampoline_kernelINS0_14default_configENS1_32segmented_reduce_config_selectorIfEEZNS1_21segmented_reduce_implIS3_PKfPfPKlfN6hipcub16HIPCUB_304000_NS6detail27convert_result_type_wrapperIS8_S9_N2at6native12_GLOBAL__N_19CustomMinEEEEE10hipError_tPvRmT0_T1_jT2_SQ_T4_T3_P12ihipStream_tbEUlT_E_NS1_11comp_targetILNS1_3genE9ELNS1_11target_archE1100ELNS1_3gpuE3ELNS1_3repE0EEENS1_30default_config_static_selectorELNS0_4arch9wavefront6targetE0EEEvSP_.num_agpr, 0
	.set _ZN7rocprim17ROCPRIM_400000_NS6detail17trampoline_kernelINS0_14default_configENS1_32segmented_reduce_config_selectorIfEEZNS1_21segmented_reduce_implIS3_PKfPfPKlfN6hipcub16HIPCUB_304000_NS6detail27convert_result_type_wrapperIS8_S9_N2at6native12_GLOBAL__N_19CustomMinEEEEE10hipError_tPvRmT0_T1_jT2_SQ_T4_T3_P12ihipStream_tbEUlT_E_NS1_11comp_targetILNS1_3genE9ELNS1_11target_archE1100ELNS1_3gpuE3ELNS1_3repE0EEENS1_30default_config_static_selectorELNS0_4arch9wavefront6targetE0EEEvSP_.numbered_sgpr, 0
	.set _ZN7rocprim17ROCPRIM_400000_NS6detail17trampoline_kernelINS0_14default_configENS1_32segmented_reduce_config_selectorIfEEZNS1_21segmented_reduce_implIS3_PKfPfPKlfN6hipcub16HIPCUB_304000_NS6detail27convert_result_type_wrapperIS8_S9_N2at6native12_GLOBAL__N_19CustomMinEEEEE10hipError_tPvRmT0_T1_jT2_SQ_T4_T3_P12ihipStream_tbEUlT_E_NS1_11comp_targetILNS1_3genE9ELNS1_11target_archE1100ELNS1_3gpuE3ELNS1_3repE0EEENS1_30default_config_static_selectorELNS0_4arch9wavefront6targetE0EEEvSP_.num_named_barrier, 0
	.set _ZN7rocprim17ROCPRIM_400000_NS6detail17trampoline_kernelINS0_14default_configENS1_32segmented_reduce_config_selectorIfEEZNS1_21segmented_reduce_implIS3_PKfPfPKlfN6hipcub16HIPCUB_304000_NS6detail27convert_result_type_wrapperIS8_S9_N2at6native12_GLOBAL__N_19CustomMinEEEEE10hipError_tPvRmT0_T1_jT2_SQ_T4_T3_P12ihipStream_tbEUlT_E_NS1_11comp_targetILNS1_3genE9ELNS1_11target_archE1100ELNS1_3gpuE3ELNS1_3repE0EEENS1_30default_config_static_selectorELNS0_4arch9wavefront6targetE0EEEvSP_.private_seg_size, 0
	.set _ZN7rocprim17ROCPRIM_400000_NS6detail17trampoline_kernelINS0_14default_configENS1_32segmented_reduce_config_selectorIfEEZNS1_21segmented_reduce_implIS3_PKfPfPKlfN6hipcub16HIPCUB_304000_NS6detail27convert_result_type_wrapperIS8_S9_N2at6native12_GLOBAL__N_19CustomMinEEEEE10hipError_tPvRmT0_T1_jT2_SQ_T4_T3_P12ihipStream_tbEUlT_E_NS1_11comp_targetILNS1_3genE9ELNS1_11target_archE1100ELNS1_3gpuE3ELNS1_3repE0EEENS1_30default_config_static_selectorELNS0_4arch9wavefront6targetE0EEEvSP_.uses_vcc, 0
	.set _ZN7rocprim17ROCPRIM_400000_NS6detail17trampoline_kernelINS0_14default_configENS1_32segmented_reduce_config_selectorIfEEZNS1_21segmented_reduce_implIS3_PKfPfPKlfN6hipcub16HIPCUB_304000_NS6detail27convert_result_type_wrapperIS8_S9_N2at6native12_GLOBAL__N_19CustomMinEEEEE10hipError_tPvRmT0_T1_jT2_SQ_T4_T3_P12ihipStream_tbEUlT_E_NS1_11comp_targetILNS1_3genE9ELNS1_11target_archE1100ELNS1_3gpuE3ELNS1_3repE0EEENS1_30default_config_static_selectorELNS0_4arch9wavefront6targetE0EEEvSP_.uses_flat_scratch, 0
	.set _ZN7rocprim17ROCPRIM_400000_NS6detail17trampoline_kernelINS0_14default_configENS1_32segmented_reduce_config_selectorIfEEZNS1_21segmented_reduce_implIS3_PKfPfPKlfN6hipcub16HIPCUB_304000_NS6detail27convert_result_type_wrapperIS8_S9_N2at6native12_GLOBAL__N_19CustomMinEEEEE10hipError_tPvRmT0_T1_jT2_SQ_T4_T3_P12ihipStream_tbEUlT_E_NS1_11comp_targetILNS1_3genE9ELNS1_11target_archE1100ELNS1_3gpuE3ELNS1_3repE0EEENS1_30default_config_static_selectorELNS0_4arch9wavefront6targetE0EEEvSP_.has_dyn_sized_stack, 0
	.set _ZN7rocprim17ROCPRIM_400000_NS6detail17trampoline_kernelINS0_14default_configENS1_32segmented_reduce_config_selectorIfEEZNS1_21segmented_reduce_implIS3_PKfPfPKlfN6hipcub16HIPCUB_304000_NS6detail27convert_result_type_wrapperIS8_S9_N2at6native12_GLOBAL__N_19CustomMinEEEEE10hipError_tPvRmT0_T1_jT2_SQ_T4_T3_P12ihipStream_tbEUlT_E_NS1_11comp_targetILNS1_3genE9ELNS1_11target_archE1100ELNS1_3gpuE3ELNS1_3repE0EEENS1_30default_config_static_selectorELNS0_4arch9wavefront6targetE0EEEvSP_.has_recursion, 0
	.set _ZN7rocprim17ROCPRIM_400000_NS6detail17trampoline_kernelINS0_14default_configENS1_32segmented_reduce_config_selectorIfEEZNS1_21segmented_reduce_implIS3_PKfPfPKlfN6hipcub16HIPCUB_304000_NS6detail27convert_result_type_wrapperIS8_S9_N2at6native12_GLOBAL__N_19CustomMinEEEEE10hipError_tPvRmT0_T1_jT2_SQ_T4_T3_P12ihipStream_tbEUlT_E_NS1_11comp_targetILNS1_3genE9ELNS1_11target_archE1100ELNS1_3gpuE3ELNS1_3repE0EEENS1_30default_config_static_selectorELNS0_4arch9wavefront6targetE0EEEvSP_.has_indirect_call, 0
	.section	.AMDGPU.csdata,"",@progbits
; Kernel info:
; codeLenInByte = 0
; TotalNumSgprs: 0
; NumVgprs: 0
; ScratchSize: 0
; MemoryBound: 0
; FloatMode: 240
; IeeeMode: 1
; LDSByteSize: 0 bytes/workgroup (compile time only)
; SGPRBlocks: 0
; VGPRBlocks: 0
; NumSGPRsForWavesPerEU: 1
; NumVGPRsForWavesPerEU: 1
; NamedBarCnt: 0
; Occupancy: 16
; WaveLimiterHint : 0
; COMPUTE_PGM_RSRC2:SCRATCH_EN: 0
; COMPUTE_PGM_RSRC2:USER_SGPR: 2
; COMPUTE_PGM_RSRC2:TRAP_HANDLER: 0
; COMPUTE_PGM_RSRC2:TGID_X_EN: 1
; COMPUTE_PGM_RSRC2:TGID_Y_EN: 0
; COMPUTE_PGM_RSRC2:TGID_Z_EN: 0
; COMPUTE_PGM_RSRC2:TIDIG_COMP_CNT: 0
	.section	.text._ZN7rocprim17ROCPRIM_400000_NS6detail17trampoline_kernelINS0_14default_configENS1_32segmented_reduce_config_selectorIfEEZNS1_21segmented_reduce_implIS3_PKfPfPKlfN6hipcub16HIPCUB_304000_NS6detail27convert_result_type_wrapperIS8_S9_N2at6native12_GLOBAL__N_19CustomMinEEEEE10hipError_tPvRmT0_T1_jT2_SQ_T4_T3_P12ihipStream_tbEUlT_E_NS1_11comp_targetILNS1_3genE8ELNS1_11target_archE1030ELNS1_3gpuE2ELNS1_3repE0EEENS1_30default_config_static_selectorELNS0_4arch9wavefront6targetE0EEEvSP_,"axG",@progbits,_ZN7rocprim17ROCPRIM_400000_NS6detail17trampoline_kernelINS0_14default_configENS1_32segmented_reduce_config_selectorIfEEZNS1_21segmented_reduce_implIS3_PKfPfPKlfN6hipcub16HIPCUB_304000_NS6detail27convert_result_type_wrapperIS8_S9_N2at6native12_GLOBAL__N_19CustomMinEEEEE10hipError_tPvRmT0_T1_jT2_SQ_T4_T3_P12ihipStream_tbEUlT_E_NS1_11comp_targetILNS1_3genE8ELNS1_11target_archE1030ELNS1_3gpuE2ELNS1_3repE0EEENS1_30default_config_static_selectorELNS0_4arch9wavefront6targetE0EEEvSP_,comdat
	.globl	_ZN7rocprim17ROCPRIM_400000_NS6detail17trampoline_kernelINS0_14default_configENS1_32segmented_reduce_config_selectorIfEEZNS1_21segmented_reduce_implIS3_PKfPfPKlfN6hipcub16HIPCUB_304000_NS6detail27convert_result_type_wrapperIS8_S9_N2at6native12_GLOBAL__N_19CustomMinEEEEE10hipError_tPvRmT0_T1_jT2_SQ_T4_T3_P12ihipStream_tbEUlT_E_NS1_11comp_targetILNS1_3genE8ELNS1_11target_archE1030ELNS1_3gpuE2ELNS1_3repE0EEENS1_30default_config_static_selectorELNS0_4arch9wavefront6targetE0EEEvSP_ ; -- Begin function _ZN7rocprim17ROCPRIM_400000_NS6detail17trampoline_kernelINS0_14default_configENS1_32segmented_reduce_config_selectorIfEEZNS1_21segmented_reduce_implIS3_PKfPfPKlfN6hipcub16HIPCUB_304000_NS6detail27convert_result_type_wrapperIS8_S9_N2at6native12_GLOBAL__N_19CustomMinEEEEE10hipError_tPvRmT0_T1_jT2_SQ_T4_T3_P12ihipStream_tbEUlT_E_NS1_11comp_targetILNS1_3genE8ELNS1_11target_archE1030ELNS1_3gpuE2ELNS1_3repE0EEENS1_30default_config_static_selectorELNS0_4arch9wavefront6targetE0EEEvSP_
	.p2align	8
	.type	_ZN7rocprim17ROCPRIM_400000_NS6detail17trampoline_kernelINS0_14default_configENS1_32segmented_reduce_config_selectorIfEEZNS1_21segmented_reduce_implIS3_PKfPfPKlfN6hipcub16HIPCUB_304000_NS6detail27convert_result_type_wrapperIS8_S9_N2at6native12_GLOBAL__N_19CustomMinEEEEE10hipError_tPvRmT0_T1_jT2_SQ_T4_T3_P12ihipStream_tbEUlT_E_NS1_11comp_targetILNS1_3genE8ELNS1_11target_archE1030ELNS1_3gpuE2ELNS1_3repE0EEENS1_30default_config_static_selectorELNS0_4arch9wavefront6targetE0EEEvSP_,@function
_ZN7rocprim17ROCPRIM_400000_NS6detail17trampoline_kernelINS0_14default_configENS1_32segmented_reduce_config_selectorIfEEZNS1_21segmented_reduce_implIS3_PKfPfPKlfN6hipcub16HIPCUB_304000_NS6detail27convert_result_type_wrapperIS8_S9_N2at6native12_GLOBAL__N_19CustomMinEEEEE10hipError_tPvRmT0_T1_jT2_SQ_T4_T3_P12ihipStream_tbEUlT_E_NS1_11comp_targetILNS1_3genE8ELNS1_11target_archE1030ELNS1_3gpuE2ELNS1_3repE0EEENS1_30default_config_static_selectorELNS0_4arch9wavefront6targetE0EEEvSP_: ; @_ZN7rocprim17ROCPRIM_400000_NS6detail17trampoline_kernelINS0_14default_configENS1_32segmented_reduce_config_selectorIfEEZNS1_21segmented_reduce_implIS3_PKfPfPKlfN6hipcub16HIPCUB_304000_NS6detail27convert_result_type_wrapperIS8_S9_N2at6native12_GLOBAL__N_19CustomMinEEEEE10hipError_tPvRmT0_T1_jT2_SQ_T4_T3_P12ihipStream_tbEUlT_E_NS1_11comp_targetILNS1_3genE8ELNS1_11target_archE1030ELNS1_3gpuE2ELNS1_3repE0EEENS1_30default_config_static_selectorELNS0_4arch9wavefront6targetE0EEEvSP_
; %bb.0:
	.section	.rodata,"a",@progbits
	.p2align	6, 0x0
	.amdhsa_kernel _ZN7rocprim17ROCPRIM_400000_NS6detail17trampoline_kernelINS0_14default_configENS1_32segmented_reduce_config_selectorIfEEZNS1_21segmented_reduce_implIS3_PKfPfPKlfN6hipcub16HIPCUB_304000_NS6detail27convert_result_type_wrapperIS8_S9_N2at6native12_GLOBAL__N_19CustomMinEEEEE10hipError_tPvRmT0_T1_jT2_SQ_T4_T3_P12ihipStream_tbEUlT_E_NS1_11comp_targetILNS1_3genE8ELNS1_11target_archE1030ELNS1_3gpuE2ELNS1_3repE0EEENS1_30default_config_static_selectorELNS0_4arch9wavefront6targetE0EEEvSP_
		.amdhsa_group_segment_fixed_size 0
		.amdhsa_private_segment_fixed_size 0
		.amdhsa_kernarg_size 48
		.amdhsa_user_sgpr_count 2
		.amdhsa_user_sgpr_dispatch_ptr 0
		.amdhsa_user_sgpr_queue_ptr 0
		.amdhsa_user_sgpr_kernarg_segment_ptr 1
		.amdhsa_user_sgpr_dispatch_id 0
		.amdhsa_user_sgpr_kernarg_preload_length 0
		.amdhsa_user_sgpr_kernarg_preload_offset 0
		.amdhsa_user_sgpr_private_segment_size 0
		.amdhsa_wavefront_size32 1
		.amdhsa_uses_dynamic_stack 0
		.amdhsa_enable_private_segment 0
		.amdhsa_system_sgpr_workgroup_id_x 1
		.amdhsa_system_sgpr_workgroup_id_y 0
		.amdhsa_system_sgpr_workgroup_id_z 0
		.amdhsa_system_sgpr_workgroup_info 0
		.amdhsa_system_vgpr_workitem_id 0
		.amdhsa_next_free_vgpr 1
		.amdhsa_next_free_sgpr 1
		.amdhsa_named_barrier_count 0
		.amdhsa_reserve_vcc 0
		.amdhsa_float_round_mode_32 0
		.amdhsa_float_round_mode_16_64 0
		.amdhsa_float_denorm_mode_32 3
		.amdhsa_float_denorm_mode_16_64 3
		.amdhsa_fp16_overflow 0
		.amdhsa_memory_ordered 1
		.amdhsa_forward_progress 1
		.amdhsa_inst_pref_size 0
		.amdhsa_round_robin_scheduling 0
		.amdhsa_exception_fp_ieee_invalid_op 0
		.amdhsa_exception_fp_denorm_src 0
		.amdhsa_exception_fp_ieee_div_zero 0
		.amdhsa_exception_fp_ieee_overflow 0
		.amdhsa_exception_fp_ieee_underflow 0
		.amdhsa_exception_fp_ieee_inexact 0
		.amdhsa_exception_int_div_zero 0
	.end_amdhsa_kernel
	.section	.text._ZN7rocprim17ROCPRIM_400000_NS6detail17trampoline_kernelINS0_14default_configENS1_32segmented_reduce_config_selectorIfEEZNS1_21segmented_reduce_implIS3_PKfPfPKlfN6hipcub16HIPCUB_304000_NS6detail27convert_result_type_wrapperIS8_S9_N2at6native12_GLOBAL__N_19CustomMinEEEEE10hipError_tPvRmT0_T1_jT2_SQ_T4_T3_P12ihipStream_tbEUlT_E_NS1_11comp_targetILNS1_3genE8ELNS1_11target_archE1030ELNS1_3gpuE2ELNS1_3repE0EEENS1_30default_config_static_selectorELNS0_4arch9wavefront6targetE0EEEvSP_,"axG",@progbits,_ZN7rocprim17ROCPRIM_400000_NS6detail17trampoline_kernelINS0_14default_configENS1_32segmented_reduce_config_selectorIfEEZNS1_21segmented_reduce_implIS3_PKfPfPKlfN6hipcub16HIPCUB_304000_NS6detail27convert_result_type_wrapperIS8_S9_N2at6native12_GLOBAL__N_19CustomMinEEEEE10hipError_tPvRmT0_T1_jT2_SQ_T4_T3_P12ihipStream_tbEUlT_E_NS1_11comp_targetILNS1_3genE8ELNS1_11target_archE1030ELNS1_3gpuE2ELNS1_3repE0EEENS1_30default_config_static_selectorELNS0_4arch9wavefront6targetE0EEEvSP_,comdat
.Lfunc_end203:
	.size	_ZN7rocprim17ROCPRIM_400000_NS6detail17trampoline_kernelINS0_14default_configENS1_32segmented_reduce_config_selectorIfEEZNS1_21segmented_reduce_implIS3_PKfPfPKlfN6hipcub16HIPCUB_304000_NS6detail27convert_result_type_wrapperIS8_S9_N2at6native12_GLOBAL__N_19CustomMinEEEEE10hipError_tPvRmT0_T1_jT2_SQ_T4_T3_P12ihipStream_tbEUlT_E_NS1_11comp_targetILNS1_3genE8ELNS1_11target_archE1030ELNS1_3gpuE2ELNS1_3repE0EEENS1_30default_config_static_selectorELNS0_4arch9wavefront6targetE0EEEvSP_, .Lfunc_end203-_ZN7rocprim17ROCPRIM_400000_NS6detail17trampoline_kernelINS0_14default_configENS1_32segmented_reduce_config_selectorIfEEZNS1_21segmented_reduce_implIS3_PKfPfPKlfN6hipcub16HIPCUB_304000_NS6detail27convert_result_type_wrapperIS8_S9_N2at6native12_GLOBAL__N_19CustomMinEEEEE10hipError_tPvRmT0_T1_jT2_SQ_T4_T3_P12ihipStream_tbEUlT_E_NS1_11comp_targetILNS1_3genE8ELNS1_11target_archE1030ELNS1_3gpuE2ELNS1_3repE0EEENS1_30default_config_static_selectorELNS0_4arch9wavefront6targetE0EEEvSP_
                                        ; -- End function
	.set _ZN7rocprim17ROCPRIM_400000_NS6detail17trampoline_kernelINS0_14default_configENS1_32segmented_reduce_config_selectorIfEEZNS1_21segmented_reduce_implIS3_PKfPfPKlfN6hipcub16HIPCUB_304000_NS6detail27convert_result_type_wrapperIS8_S9_N2at6native12_GLOBAL__N_19CustomMinEEEEE10hipError_tPvRmT0_T1_jT2_SQ_T4_T3_P12ihipStream_tbEUlT_E_NS1_11comp_targetILNS1_3genE8ELNS1_11target_archE1030ELNS1_3gpuE2ELNS1_3repE0EEENS1_30default_config_static_selectorELNS0_4arch9wavefront6targetE0EEEvSP_.num_vgpr, 0
	.set _ZN7rocprim17ROCPRIM_400000_NS6detail17trampoline_kernelINS0_14default_configENS1_32segmented_reduce_config_selectorIfEEZNS1_21segmented_reduce_implIS3_PKfPfPKlfN6hipcub16HIPCUB_304000_NS6detail27convert_result_type_wrapperIS8_S9_N2at6native12_GLOBAL__N_19CustomMinEEEEE10hipError_tPvRmT0_T1_jT2_SQ_T4_T3_P12ihipStream_tbEUlT_E_NS1_11comp_targetILNS1_3genE8ELNS1_11target_archE1030ELNS1_3gpuE2ELNS1_3repE0EEENS1_30default_config_static_selectorELNS0_4arch9wavefront6targetE0EEEvSP_.num_agpr, 0
	.set _ZN7rocprim17ROCPRIM_400000_NS6detail17trampoline_kernelINS0_14default_configENS1_32segmented_reduce_config_selectorIfEEZNS1_21segmented_reduce_implIS3_PKfPfPKlfN6hipcub16HIPCUB_304000_NS6detail27convert_result_type_wrapperIS8_S9_N2at6native12_GLOBAL__N_19CustomMinEEEEE10hipError_tPvRmT0_T1_jT2_SQ_T4_T3_P12ihipStream_tbEUlT_E_NS1_11comp_targetILNS1_3genE8ELNS1_11target_archE1030ELNS1_3gpuE2ELNS1_3repE0EEENS1_30default_config_static_selectorELNS0_4arch9wavefront6targetE0EEEvSP_.numbered_sgpr, 0
	.set _ZN7rocprim17ROCPRIM_400000_NS6detail17trampoline_kernelINS0_14default_configENS1_32segmented_reduce_config_selectorIfEEZNS1_21segmented_reduce_implIS3_PKfPfPKlfN6hipcub16HIPCUB_304000_NS6detail27convert_result_type_wrapperIS8_S9_N2at6native12_GLOBAL__N_19CustomMinEEEEE10hipError_tPvRmT0_T1_jT2_SQ_T4_T3_P12ihipStream_tbEUlT_E_NS1_11comp_targetILNS1_3genE8ELNS1_11target_archE1030ELNS1_3gpuE2ELNS1_3repE0EEENS1_30default_config_static_selectorELNS0_4arch9wavefront6targetE0EEEvSP_.num_named_barrier, 0
	.set _ZN7rocprim17ROCPRIM_400000_NS6detail17trampoline_kernelINS0_14default_configENS1_32segmented_reduce_config_selectorIfEEZNS1_21segmented_reduce_implIS3_PKfPfPKlfN6hipcub16HIPCUB_304000_NS6detail27convert_result_type_wrapperIS8_S9_N2at6native12_GLOBAL__N_19CustomMinEEEEE10hipError_tPvRmT0_T1_jT2_SQ_T4_T3_P12ihipStream_tbEUlT_E_NS1_11comp_targetILNS1_3genE8ELNS1_11target_archE1030ELNS1_3gpuE2ELNS1_3repE0EEENS1_30default_config_static_selectorELNS0_4arch9wavefront6targetE0EEEvSP_.private_seg_size, 0
	.set _ZN7rocprim17ROCPRIM_400000_NS6detail17trampoline_kernelINS0_14default_configENS1_32segmented_reduce_config_selectorIfEEZNS1_21segmented_reduce_implIS3_PKfPfPKlfN6hipcub16HIPCUB_304000_NS6detail27convert_result_type_wrapperIS8_S9_N2at6native12_GLOBAL__N_19CustomMinEEEEE10hipError_tPvRmT0_T1_jT2_SQ_T4_T3_P12ihipStream_tbEUlT_E_NS1_11comp_targetILNS1_3genE8ELNS1_11target_archE1030ELNS1_3gpuE2ELNS1_3repE0EEENS1_30default_config_static_selectorELNS0_4arch9wavefront6targetE0EEEvSP_.uses_vcc, 0
	.set _ZN7rocprim17ROCPRIM_400000_NS6detail17trampoline_kernelINS0_14default_configENS1_32segmented_reduce_config_selectorIfEEZNS1_21segmented_reduce_implIS3_PKfPfPKlfN6hipcub16HIPCUB_304000_NS6detail27convert_result_type_wrapperIS8_S9_N2at6native12_GLOBAL__N_19CustomMinEEEEE10hipError_tPvRmT0_T1_jT2_SQ_T4_T3_P12ihipStream_tbEUlT_E_NS1_11comp_targetILNS1_3genE8ELNS1_11target_archE1030ELNS1_3gpuE2ELNS1_3repE0EEENS1_30default_config_static_selectorELNS0_4arch9wavefront6targetE0EEEvSP_.uses_flat_scratch, 0
	.set _ZN7rocprim17ROCPRIM_400000_NS6detail17trampoline_kernelINS0_14default_configENS1_32segmented_reduce_config_selectorIfEEZNS1_21segmented_reduce_implIS3_PKfPfPKlfN6hipcub16HIPCUB_304000_NS6detail27convert_result_type_wrapperIS8_S9_N2at6native12_GLOBAL__N_19CustomMinEEEEE10hipError_tPvRmT0_T1_jT2_SQ_T4_T3_P12ihipStream_tbEUlT_E_NS1_11comp_targetILNS1_3genE8ELNS1_11target_archE1030ELNS1_3gpuE2ELNS1_3repE0EEENS1_30default_config_static_selectorELNS0_4arch9wavefront6targetE0EEEvSP_.has_dyn_sized_stack, 0
	.set _ZN7rocprim17ROCPRIM_400000_NS6detail17trampoline_kernelINS0_14default_configENS1_32segmented_reduce_config_selectorIfEEZNS1_21segmented_reduce_implIS3_PKfPfPKlfN6hipcub16HIPCUB_304000_NS6detail27convert_result_type_wrapperIS8_S9_N2at6native12_GLOBAL__N_19CustomMinEEEEE10hipError_tPvRmT0_T1_jT2_SQ_T4_T3_P12ihipStream_tbEUlT_E_NS1_11comp_targetILNS1_3genE8ELNS1_11target_archE1030ELNS1_3gpuE2ELNS1_3repE0EEENS1_30default_config_static_selectorELNS0_4arch9wavefront6targetE0EEEvSP_.has_recursion, 0
	.set _ZN7rocprim17ROCPRIM_400000_NS6detail17trampoline_kernelINS0_14default_configENS1_32segmented_reduce_config_selectorIfEEZNS1_21segmented_reduce_implIS3_PKfPfPKlfN6hipcub16HIPCUB_304000_NS6detail27convert_result_type_wrapperIS8_S9_N2at6native12_GLOBAL__N_19CustomMinEEEEE10hipError_tPvRmT0_T1_jT2_SQ_T4_T3_P12ihipStream_tbEUlT_E_NS1_11comp_targetILNS1_3genE8ELNS1_11target_archE1030ELNS1_3gpuE2ELNS1_3repE0EEENS1_30default_config_static_selectorELNS0_4arch9wavefront6targetE0EEEvSP_.has_indirect_call, 0
	.section	.AMDGPU.csdata,"",@progbits
; Kernel info:
; codeLenInByte = 0
; TotalNumSgprs: 0
; NumVgprs: 0
; ScratchSize: 0
; MemoryBound: 0
; FloatMode: 240
; IeeeMode: 1
; LDSByteSize: 0 bytes/workgroup (compile time only)
; SGPRBlocks: 0
; VGPRBlocks: 0
; NumSGPRsForWavesPerEU: 1
; NumVGPRsForWavesPerEU: 1
; NamedBarCnt: 0
; Occupancy: 16
; WaveLimiterHint : 0
; COMPUTE_PGM_RSRC2:SCRATCH_EN: 0
; COMPUTE_PGM_RSRC2:USER_SGPR: 2
; COMPUTE_PGM_RSRC2:TRAP_HANDLER: 0
; COMPUTE_PGM_RSRC2:TGID_X_EN: 1
; COMPUTE_PGM_RSRC2:TGID_Y_EN: 0
; COMPUTE_PGM_RSRC2:TGID_Z_EN: 0
; COMPUTE_PGM_RSRC2:TIDIG_COMP_CNT: 0
	.section	.text._ZN7rocprim17ROCPRIM_400000_NS6detail17trampoline_kernelINS0_14default_configENS1_32segmented_reduce_config_selectorIfEEZNS1_21segmented_reduce_implIS3_PKfPfPKlfN6hipcub16HIPCUB_304000_NS6detail27convert_result_type_wrapperIS8_S9_N2at6native12_GLOBAL__N_110CustomProdEEEEE10hipError_tPvRmT0_T1_jT2_SQ_T4_T3_P12ihipStream_tbEUlT_E_NS1_11comp_targetILNS1_3genE0ELNS1_11target_archE4294967295ELNS1_3gpuE0ELNS1_3repE0EEENS1_30default_config_static_selectorELNS0_4arch9wavefront6targetE0EEEvSP_,"axG",@progbits,_ZN7rocprim17ROCPRIM_400000_NS6detail17trampoline_kernelINS0_14default_configENS1_32segmented_reduce_config_selectorIfEEZNS1_21segmented_reduce_implIS3_PKfPfPKlfN6hipcub16HIPCUB_304000_NS6detail27convert_result_type_wrapperIS8_S9_N2at6native12_GLOBAL__N_110CustomProdEEEEE10hipError_tPvRmT0_T1_jT2_SQ_T4_T3_P12ihipStream_tbEUlT_E_NS1_11comp_targetILNS1_3genE0ELNS1_11target_archE4294967295ELNS1_3gpuE0ELNS1_3repE0EEENS1_30default_config_static_selectorELNS0_4arch9wavefront6targetE0EEEvSP_,comdat
	.globl	_ZN7rocprim17ROCPRIM_400000_NS6detail17trampoline_kernelINS0_14default_configENS1_32segmented_reduce_config_selectorIfEEZNS1_21segmented_reduce_implIS3_PKfPfPKlfN6hipcub16HIPCUB_304000_NS6detail27convert_result_type_wrapperIS8_S9_N2at6native12_GLOBAL__N_110CustomProdEEEEE10hipError_tPvRmT0_T1_jT2_SQ_T4_T3_P12ihipStream_tbEUlT_E_NS1_11comp_targetILNS1_3genE0ELNS1_11target_archE4294967295ELNS1_3gpuE0ELNS1_3repE0EEENS1_30default_config_static_selectorELNS0_4arch9wavefront6targetE0EEEvSP_ ; -- Begin function _ZN7rocprim17ROCPRIM_400000_NS6detail17trampoline_kernelINS0_14default_configENS1_32segmented_reduce_config_selectorIfEEZNS1_21segmented_reduce_implIS3_PKfPfPKlfN6hipcub16HIPCUB_304000_NS6detail27convert_result_type_wrapperIS8_S9_N2at6native12_GLOBAL__N_110CustomProdEEEEE10hipError_tPvRmT0_T1_jT2_SQ_T4_T3_P12ihipStream_tbEUlT_E_NS1_11comp_targetILNS1_3genE0ELNS1_11target_archE4294967295ELNS1_3gpuE0ELNS1_3repE0EEENS1_30default_config_static_selectorELNS0_4arch9wavefront6targetE0EEEvSP_
	.p2align	8
	.type	_ZN7rocprim17ROCPRIM_400000_NS6detail17trampoline_kernelINS0_14default_configENS1_32segmented_reduce_config_selectorIfEEZNS1_21segmented_reduce_implIS3_PKfPfPKlfN6hipcub16HIPCUB_304000_NS6detail27convert_result_type_wrapperIS8_S9_N2at6native12_GLOBAL__N_110CustomProdEEEEE10hipError_tPvRmT0_T1_jT2_SQ_T4_T3_P12ihipStream_tbEUlT_E_NS1_11comp_targetILNS1_3genE0ELNS1_11target_archE4294967295ELNS1_3gpuE0ELNS1_3repE0EEENS1_30default_config_static_selectorELNS0_4arch9wavefront6targetE0EEEvSP_,@function
_ZN7rocprim17ROCPRIM_400000_NS6detail17trampoline_kernelINS0_14default_configENS1_32segmented_reduce_config_selectorIfEEZNS1_21segmented_reduce_implIS3_PKfPfPKlfN6hipcub16HIPCUB_304000_NS6detail27convert_result_type_wrapperIS8_S9_N2at6native12_GLOBAL__N_110CustomProdEEEEE10hipError_tPvRmT0_T1_jT2_SQ_T4_T3_P12ihipStream_tbEUlT_E_NS1_11comp_targetILNS1_3genE0ELNS1_11target_archE4294967295ELNS1_3gpuE0ELNS1_3repE0EEENS1_30default_config_static_selectorELNS0_4arch9wavefront6targetE0EEEvSP_: ; @_ZN7rocprim17ROCPRIM_400000_NS6detail17trampoline_kernelINS0_14default_configENS1_32segmented_reduce_config_selectorIfEEZNS1_21segmented_reduce_implIS3_PKfPfPKlfN6hipcub16HIPCUB_304000_NS6detail27convert_result_type_wrapperIS8_S9_N2at6native12_GLOBAL__N_110CustomProdEEEEE10hipError_tPvRmT0_T1_jT2_SQ_T4_T3_P12ihipStream_tbEUlT_E_NS1_11comp_targetILNS1_3genE0ELNS1_11target_archE4294967295ELNS1_3gpuE0ELNS1_3repE0EEENS1_30default_config_static_selectorELNS0_4arch9wavefront6targetE0EEEvSP_
; %bb.0:
	s_clause 0x1
	s_load_b256 s[16:23], s[0:1], 0x0
	s_load_b64 s[2:3], s[0:1], 0x20
	s_bfe_u32 s4, ttmp6, 0x4000c
	s_and_b32 s5, ttmp6, 15
	s_add_co_i32 s4, s4, 1
	s_getreg_b32 s6, hwreg(HW_REG_IB_STS2, 6, 4)
	s_mul_i32 s4, ttmp9, s4
	s_load_b32 s15, s[0:1], 0x2c
	s_add_co_i32 s7, s5, s4
	s_mov_b32 s30, 0
	s_wait_kmcnt 0x0
	s_lshl_b64 s[0:1], s[20:21], 3
	s_cmp_eq_u32 s6, 0
	s_add_nc_u64 s[4:5], s[22:23], s[0:1]
	s_cselect_b32 s22, ttmp9, s7
	s_add_nc_u64 s[0:1], s[2:3], s[0:1]
	s_load_b64 s[26:27], s[4:5], s22 offset:0x0 scale_offset
	s_load_b64 s[24:25], s[0:1], s22 offset:0x0 scale_offset
	s_mov_b32 s23, 0
	s_wait_xcnt 0x0
	s_mov_b32 s1, -1
	s_wait_kmcnt 0x0
	v_cmp_gt_i64_e64 s0, s[24:25], s[26:27]
	s_and_b32 vcc_lo, exec_lo, s0
	v_cmp_eq_u32_e64 s0, 0, v0
	s_cbranch_vccnz .LBB204_2
; %bb.1:
	s_mov_b32 s1, 0
	s_and_b32 s30, s0, exec_lo
.LBB204_2:
	s_and_not1_b32 vcc_lo, exec_lo, s1
	s_cbranch_vccnz .LBB204_44
; %bb.3:
	s_add_nc_u64 s[0:1], s[26:27], 0x1000
	s_delay_alu instid0(SALU_CYCLE_1)
	v_cmp_le_i64_e64 s2, s[0:1], s[24:25]
	s_and_b32 vcc_lo, exec_lo, s2
	s_cbranch_vccz .LBB204_45
; %bb.4:
	s_lshl_b64 s[2:3], s[26:27], 2
	s_add_nc_u64 s[4:5], s[26:27], 0x2000
	s_add_nc_u64 s[2:3], s[16:17], s[2:3]
	v_cmp_ge_i64_e64 s4, s[4:5], s[24:25]
	s_clause 0x7
	global_load_b32 v8, v0, s[2:3] scale_offset
	global_load_b32 v1, v0, s[2:3] offset:1024 scale_offset
	global_load_b32 v2, v0, s[2:3] offset:2048 scale_offset
	;; [unrolled: 1-line block ×7, first 2 shown]
	s_and_b32 vcc_lo, exec_lo, s4
	s_wait_loadcnt 0x6
	v_mul_f32_e32 v9, v8, v1
	s_wait_loadcnt 0x5
	s_delay_alu instid0(VALU_DEP_1) | instskip(SKIP_1) | instid1(VALU_DEP_1)
	v_mul_f32_e32 v9, v9, v2
	s_wait_loadcnt 0x4
	v_mul_f32_e32 v9, v9, v3
	s_wait_loadcnt 0x3
	s_delay_alu instid0(VALU_DEP_1) | instskip(SKIP_1) | instid1(VALU_DEP_1)
	v_mul_f32_e32 v9, v9, v4
	;; [unrolled: 5-line block ×3, first 2 shown]
	s_wait_loadcnt 0x0
	v_mul_f32_e32 v17, v9, v7
	s_clause 0x7
	global_load_b32 v16, v0, s[2:3] offset:8192 scale_offset
	global_load_b32 v9, v0, s[2:3] offset:9216 scale_offset
	;; [unrolled: 1-line block ×8, first 2 shown]
	s_wait_loadcnt 0x7
	v_mul_f32_e32 v17, v17, v16
	s_wait_loadcnt 0x6
	s_delay_alu instid0(VALU_DEP_1) | instskip(SKIP_1) | instid1(VALU_DEP_1)
	v_mul_f32_e32 v17, v17, v9
	s_wait_loadcnt 0x5
	v_mul_f32_e32 v17, v17, v10
	s_wait_loadcnt 0x4
	s_delay_alu instid0(VALU_DEP_1) | instskip(SKIP_1) | instid1(VALU_DEP_1)
	v_mul_f32_e32 v17, v17, v11
	;; [unrolled: 5-line block ×3, first 2 shown]
	s_wait_loadcnt 0x1
	v_mul_f32_e32 v17, v17, v14
	s_wait_loadcnt 0x0
	s_delay_alu instid0(VALU_DEP_1)
	v_dual_mul_f32 v20, v17, v15 :: v_dual_mov_b32 v17, 0
	s_cbranch_vccnz .LBB204_7
; %bb.5:
	v_lshlrev_b32_e32 v16, 2, v0
	s_delay_alu instid0(VALU_DEP_1) | instskip(NEXT) | instid1(VALU_DEP_1)
	v_add_nc_u64_e32 v[2:3], s[2:3], v[16:17]
	v_add_nc_u64_e32 v[18:19], 0x4000, v[2:3]
.LBB204_6:                              ; =>This Inner Loop Header: Depth=1
	s_clause 0x7
	global_load_b32 v8, v[18:19], off
	global_load_b32 v1, v[18:19], off offset:1024
	global_load_b32 v2, v[18:19], off offset:2048
	;; [unrolled: 1-line block ×7, first 2 shown]
	s_add_nc_u64 s[2:3], s[0:1], 0x2000
	s_add_nc_u64 s[0:1], s[0:1], 0x1000
	v_cmp_lt_i64_e64 s2, s[2:3], s[24:25]
	s_and_b32 vcc_lo, exec_lo, s2
	s_wait_loadcnt 0x7
	v_mul_f32_e32 v9, v20, v8
	s_wait_loadcnt 0x6
	s_delay_alu instid0(VALU_DEP_1) | instskip(SKIP_1) | instid1(VALU_DEP_1)
	v_mul_f32_e32 v9, v9, v1
	s_wait_loadcnt 0x5
	v_mul_f32_e32 v9, v9, v2
	s_wait_loadcnt 0x4
	s_delay_alu instid0(VALU_DEP_1) | instskip(SKIP_1) | instid1(VALU_DEP_1)
	v_mul_f32_e32 v9, v9, v3
	;; [unrolled: 5-line block ×3, first 2 shown]
	s_wait_loadcnt 0x1
	v_mul_f32_e32 v9, v9, v6
	s_wait_loadcnt 0x0
	s_delay_alu instid0(VALU_DEP_1)
	v_mul_f32_e32 v17, v9, v7
	s_clause 0x7
	global_load_b32 v16, v[18:19], off offset:8192
	global_load_b32 v9, v[18:19], off offset:9216
	;; [unrolled: 1-line block ×8, first 2 shown]
	s_wait_xcnt 0x0
	v_add_nc_u64_e32 v[18:19], 0x4000, v[18:19]
	s_wait_loadcnt 0x7
	v_mul_f32_e32 v17, v17, v16
	s_wait_loadcnt 0x6
	s_delay_alu instid0(VALU_DEP_1) | instskip(SKIP_1) | instid1(VALU_DEP_1)
	v_mul_f32_e32 v17, v17, v9
	s_wait_loadcnt 0x5
	v_mul_f32_e32 v17, v17, v10
	s_wait_loadcnt 0x4
	s_delay_alu instid0(VALU_DEP_1) | instskip(SKIP_1) | instid1(VALU_DEP_1)
	v_mul_f32_e32 v17, v17, v11
	s_wait_loadcnt 0x3
	v_mul_f32_e32 v17, v17, v12
	s_wait_loadcnt 0x2
	s_delay_alu instid0(VALU_DEP_1) | instskip(SKIP_1) | instid1(VALU_DEP_1)
	v_mul_f32_e32 v17, v17, v13
	s_wait_loadcnt 0x1
	v_mul_f32_e32 v17, v17, v14
	s_wait_loadcnt 0x0
	s_delay_alu instid0(VALU_DEP_1)
	v_mul_f32_e32 v20, v17, v15
	s_cbranch_vccnz .LBB204_6
.LBB204_7:
	s_sub_co_i32 s14, s24, s0
	s_lshl_b64 s[0:1], s[0:1], 2
	v_cmp_gt_u32_e32 vcc_lo, s14, v0
	s_add_nc_u64 s[28:29], s[16:17], s[0:1]
	s_and_saveexec_b32 s0, vcc_lo
	s_cbranch_execz .LBB204_9
; %bb.8:
	global_load_b32 v8, v0, s[28:29] scale_offset
.LBB204_9:
	s_wait_xcnt 0x0
	s_or_b32 exec_lo, exec_lo, s0
	v_or_b32_e32 v17, 0x100, v0
	s_delay_alu instid0(VALU_DEP_1)
	v_cmp_gt_u32_e64 s0, s14, v17
	s_and_saveexec_b32 s1, s0
	s_cbranch_execz .LBB204_11
; %bb.10:
	global_load_b32 v1, v0, s[28:29] offset:1024 scale_offset
.LBB204_11:
	s_wait_xcnt 0x0
	s_or_b32 exec_lo, exec_lo, s1
	v_or_b32_e32 v17, 0x200, v0
	s_delay_alu instid0(VALU_DEP_1)
	v_cmp_gt_u32_e64 s1, s14, v17
	s_and_saveexec_b32 s2, s1
	s_cbranch_execz .LBB204_13
; %bb.12:
	global_load_b32 v2, v0, s[28:29] offset:2048 scale_offset
.LBB204_13:
	;; [unrolled: 10-line block ×15, first 2 shown]
	s_wait_xcnt 0x0
	s_or_b32 exec_lo, exec_lo, s31
	s_wait_loadcnt 0x0
	v_mul_f32_e32 v8, v20, v8
	s_delay_alu instid0(VALU_DEP_1) | instskip(NEXT) | instid1(VALU_DEP_1)
	v_cndmask_b32_e32 v8, v20, v8, vcc_lo
	v_mul_f32_e32 v1, v1, v8
	s_delay_alu instid0(VALU_DEP_1) | instskip(SKIP_1) | instid1(VALU_DEP_1)
	v_cndmask_b32_e64 v1, v8, v1, s0
	s_mov_b32 s0, exec_lo
	v_mul_f32_e32 v2, v2, v1
	s_delay_alu instid0(VALU_DEP_1) | instskip(NEXT) | instid1(VALU_DEP_1)
	v_cndmask_b32_e64 v1, v1, v2, s1
	v_mul_f32_e32 v2, v3, v1
	s_delay_alu instid0(VALU_DEP_1) | instskip(NEXT) | instid1(VALU_DEP_1)
	v_cndmask_b32_e64 v1, v1, v2, s2
	;; [unrolled: 3-line block ×14, first 2 shown]
	v_mov_b32_dpp v2, v1 quad_perm:[1,0,3,2] row_mask:0xf bank_mask:0xf
	s_delay_alu instid0(VALU_DEP_1) | instskip(NEXT) | instid1(VALU_DEP_1)
	v_mul_f32_e32 v1, v1, v2
	v_mov_b32_dpp v2, v1 quad_perm:[2,3,0,1] row_mask:0xf bank_mask:0xf
	s_delay_alu instid0(VALU_DEP_1) | instskip(NEXT) | instid1(VALU_DEP_1)
	v_mul_f32_e32 v1, v1, v2
	v_mov_b32_dpp v2, v1 row_ror:4 row_mask:0xf bank_mask:0xf
	s_delay_alu instid0(VALU_DEP_1) | instskip(NEXT) | instid1(VALU_DEP_1)
	v_mul_f32_e32 v1, v1, v2
	v_mov_b32_dpp v2, v1 row_ror:8 row_mask:0xf bank_mask:0xf
	s_delay_alu instid0(VALU_DEP_1)
	v_mul_f32_e32 v1, v1, v2
	ds_swizzle_b32 v2, v1 offset:swizzle(BROADCAST,32,15)
	s_wait_dscnt 0x0
	v_dual_mul_f32 v1, v1, v2 :: v_dual_mov_b32 v2, 0
	ds_bpermute_b32 v3, v2, v1 offset:124
	v_mbcnt_lo_u32_b32 v1, -1, 0
	s_delay_alu instid0(VALU_DEP_1)
	v_cmpx_eq_u32_e32 0, v1
	s_cbranch_execz .LBB204_41
; %bb.40:
	v_lshrrev_b32_e32 v2, 3, v0
	s_delay_alu instid0(VALU_DEP_1)
	v_and_b32_e32 v2, 28, v2
	s_wait_dscnt 0x0
	ds_store_b32 v2, v3
.LBB204_41:
	s_or_b32 exec_lo, exec_lo, s0
	s_delay_alu instid0(SALU_CYCLE_1)
	s_mov_b32 s0, exec_lo
	s_wait_dscnt 0x0
	s_barrier_signal -1
	s_barrier_wait -1
	v_cmpx_gt_u32_e32 32, v0
	s_cbranch_execz .LBB204_43
; %bb.42:
	v_and_b32_e32 v2, 7, v1
	s_delay_alu instid0(VALU_DEP_1) | instskip(SKIP_1) | instid1(VALU_DEP_1)
	v_cmp_ne_u32_e32 vcc_lo, 7, v2
	v_add_co_ci_u32_e64 v4, null, 0, v1, vcc_lo
	v_lshlrev_b32_e32 v4, 2, v4
	v_cmp_gt_u32_e32 vcc_lo, 6, v2
	v_lshlrev_b32_e32 v3, 2, v2
	v_cndmask_b32_e64 v2, 0, 2, vcc_lo
	s_delay_alu instid0(VALU_DEP_1)
	v_add_lshl_u32 v2, v2, v1, 2
	v_lshlrev_b32_e32 v1, 2, v1
	ds_load_b32 v3, v3
	v_or_b32_e32 v1, 16, v1
	s_wait_dscnt 0x0
	ds_bpermute_b32 v4, v4, v3
	s_wait_dscnt 0x0
	v_mul_f32_e32 v3, v3, v4
	ds_bpermute_b32 v2, v2, v3
	s_wait_dscnt 0x0
	v_mul_f32_e32 v2, v3, v2
	;; [unrolled: 3-line block ×3, first 2 shown]
.LBB204_43:
	s_or_b32 exec_lo, exec_lo, s0
	s_branch .LBB204_64
.LBB204_44:
	v_mov_b32_e32 v1, s15
	s_and_saveexec_b32 s0, s30
	s_cbranch_execnz .LBB204_67
	s_branch .LBB204_68
.LBB204_45:
                                        ; implicit-def: $vgpr3
	s_cbranch_execz .LBB204_64
; %bb.46:
	s_sub_co_i32 s2, s24, s26
	s_mov_b32 s0, exec_lo
                                        ; implicit-def: $vgpr1
	v_cmpx_gt_u32_e64 s2, v0
	s_cbranch_execz .LBB204_52
; %bb.47:
	v_mov_b32_e32 v1, 0
	s_mov_b32 s1, exec_lo
	s_delay_alu instid0(VALU_DEP_1) | instskip(NEXT) | instid1(VALU_DEP_1)
	v_add_nc_u64_e32 v[2:3], s[26:27], v[0:1]
	v_lshl_add_u64 v[4:5], v[2:3], 2, s[16:17]
	v_add_nc_u64_e32 v[2:3], 0x100, v[2:3]
	global_load_b32 v1, v[4:5], off
	s_wait_xcnt 0x0
	v_cmpx_gt_i64_e64 s[24:25], v[2:3]
	s_cbranch_execz .LBB204_51
; %bb.48:
	v_add_nc_u64_e32 v[4:5], 0x400, v[4:5]
	s_mov_b32 s3, 0
.LBB204_49:                             ; =>This Inner Loop Header: Depth=1
	global_load_b32 v6, v[4:5], off
	v_add_nc_u64_e32 v[2:3], 0x100, v[2:3]
	s_wait_xcnt 0x0
	v_add_nc_u64_e32 v[4:5], 0x400, v[4:5]
	s_delay_alu instid0(VALU_DEP_2)
	v_cmp_le_i64_e32 vcc_lo, s[24:25], v[2:3]
	s_or_b32 s3, vcc_lo, s3
	s_wait_loadcnt 0x0
	v_mul_f32_e32 v1, v1, v6
	s_and_not1_b32 exec_lo, exec_lo, s3
	s_cbranch_execnz .LBB204_49
; %bb.50:
	s_or_b32 exec_lo, exec_lo, s3
.LBB204_51:
	s_delay_alu instid0(SALU_CYCLE_1)
	s_or_b32 exec_lo, exec_lo, s1
.LBB204_52:
	s_delay_alu instid0(SALU_CYCLE_1) | instskip(SKIP_3) | instid1(VALU_DEP_1)
	s_or_b32 exec_lo, exec_lo, s0
	v_mbcnt_lo_u32_b32 v2, -1, 0
	s_cmp_lt_u32 s2, 0x100
	s_mov_b32 s0, -1
                                        ; implicit-def: $vgpr3
	v_cmp_eq_u32_e32 vcc_lo, 0, v2
	s_cbranch_scc0 .LBB204_58
; %bb.53:
	v_cmp_ne_u32_e64 s0, 31, v2
	v_and_b32_e32 v4, 0xe0, v0
	v_cmp_gt_u32_e64 s1, 28, v2
	v_add_nc_u32_e32 v5, 1, v2
	s_delay_alu instid0(VALU_DEP_4) | instskip(SKIP_2) | instid1(VALU_DEP_3)
	v_add_co_ci_u32_e64 v3, null, 0, v2, s0
	v_cmp_gt_u32_e64 s0, 30, v2
	v_sub_nc_u32_e64 v7, s2, v4 clamp
	v_lshlrev_b32_e32 v3, 2, v3
	s_delay_alu instid0(VALU_DEP_3) | instskip(NEXT) | instid1(VALU_DEP_3)
	v_cndmask_b32_e64 v6, 0, 2, s0
	v_cmp_lt_u32_e64 s0, v5, v7
	v_cndmask_b32_e64 v5, 0, 4, s1
	s_wait_loadcnt 0x0
	ds_bpermute_b32 v3, v3, v1
	v_add_lshl_u32 v4, v6, v2, 2
	v_add_nc_u32_e32 v6, 2, v2
	v_add_lshl_u32 v5, v5, v2, 2
	s_delay_alu instid0(VALU_DEP_2) | instskip(SKIP_2) | instid1(VALU_DEP_1)
	v_cmp_lt_u32_e64 s1, v6, v7
	s_wait_dscnt 0x0
	v_dual_mul_f32 v3, v1, v3 :: v_dual_add_nc_u32 v6, 4, v2
	v_cndmask_b32_e64 v3, v1, v3, s0
	ds_bpermute_b32 v4, v4, v3
	s_wait_dscnt 0x0
	v_mul_f32_e32 v4, v3, v4
	s_delay_alu instid0(VALU_DEP_1) | instskip(SKIP_4) | instid1(VALU_DEP_2)
	v_cndmask_b32_e64 v3, v3, v4, s1
	v_cmp_gt_u32_e64 s1, 24, v2
	ds_bpermute_b32 v4, v5, v3
	v_cndmask_b32_e64 v5, 0, 8, s1
	v_cmp_lt_u32_e64 s1, v6, v7
	v_add_lshl_u32 v5, v5, v2, 2
	s_wait_dscnt 0x0
	v_mul_f32_e32 v4, v3, v4
	s_delay_alu instid0(VALU_DEP_1) | instskip(SKIP_2) | instid1(VALU_DEP_1)
	v_cndmask_b32_e64 v3, v3, v4, s1
	ds_bpermute_b32 v4, v5, v3
	v_add_nc_u32_e32 v5, 8, v2
	v_cmp_lt_u32_e64 s1, v5, v7
	s_wait_dscnt 0x0
	v_dual_mul_f32 v6, v3, v4 :: v_dual_lshlrev_b32 v4, 2, v2
	s_delay_alu instid0(VALU_DEP_1) | instskip(SKIP_3) | instid1(VALU_DEP_1)
	v_dual_cndmask_b32 v3, v3, v6, s1 :: v_dual_bitop2_b32 v5, 64, v4 bitop3:0x54
	ds_bpermute_b32 v5, v5, v3
	s_wait_dscnt 0x0
	v_dual_mul_f32 v5, v3, v5 :: v_dual_add_nc_u32 v6, 16, v2
	v_cmp_lt_u32_e64 s1, v6, v7
	s_delay_alu instid0(VALU_DEP_1) | instskip(NEXT) | instid1(VALU_DEP_1)
	v_cndmask_b32_e64 v3, v3, v5, s1
	v_cndmask_b32_e64 v3, v1, v3, s0
	s_and_saveexec_b32 s0, vcc_lo
; %bb.54:
	v_lshrrev_b32_e32 v5, 3, v0
	s_delay_alu instid0(VALU_DEP_1)
	v_and_b32_e32 v5, 28, v5
	ds_store_b32 v5, v3
; %bb.55:
	s_or_b32 exec_lo, exec_lo, s0
	s_delay_alu instid0(SALU_CYCLE_1)
	s_mov_b32 s1, exec_lo
	s_wait_dscnt 0x0
	s_barrier_signal -1
	s_barrier_wait -1
	v_cmpx_gt_u32_e32 8, v0
	s_cbranch_execz .LBB204_57
; %bb.56:
	ds_load_b32 v3, v4
	v_and_b32_e32 v5, 7, v2
	s_add_co_i32 s2, s2, 31
	v_or_b32_e32 v4, 16, v4
	s_lshr_b32 s2, s2, 5
	s_delay_alu instid0(VALU_DEP_2) | instskip(SKIP_3) | instid1(VALU_DEP_2)
	v_cmp_ne_u32_e32 vcc_lo, 7, v5
	v_add_nc_u32_e32 v8, 1, v5
	v_add_co_ci_u32_e64 v6, null, 0, v2, vcc_lo
	v_cmp_gt_u32_e32 vcc_lo, 6, v5
	v_lshlrev_b32_e32 v6, 2, v6
	v_cndmask_b32_e64 v7, 0, 2, vcc_lo
	v_cmp_gt_u32_e32 vcc_lo, s2, v8
	s_wait_dscnt 0x0
	ds_bpermute_b32 v6, v6, v3
	v_add_lshl_u32 v7, v7, v2, 2
	s_wait_dscnt 0x0
	v_mul_f32_e32 v6, v3, v6
	s_delay_alu instid0(VALU_DEP_1) | instskip(SKIP_4) | instid1(VALU_DEP_2)
	v_cndmask_b32_e32 v6, v3, v6, vcc_lo
	ds_bpermute_b32 v7, v7, v6
	s_wait_dscnt 0x0
	v_dual_mul_f32 v7, v6, v7 :: v_dual_add_nc_u32 v8, 2, v5
	v_add_nc_u32_e32 v5, 4, v5
	v_cmp_gt_u32_e64 s0, s2, v8
	s_delay_alu instid0(VALU_DEP_1) | instskip(NEXT) | instid1(VALU_DEP_3)
	v_cndmask_b32_e64 v6, v6, v7, s0
	v_cmp_gt_u32_e64 s0, s2, v5
	ds_bpermute_b32 v4, v4, v6
	s_wait_dscnt 0x0
	v_mul_f32_e32 v4, v6, v4
	s_delay_alu instid0(VALU_DEP_1) | instskip(NEXT) | instid1(VALU_DEP_1)
	v_cndmask_b32_e64 v4, v6, v4, s0
	v_cndmask_b32_e32 v3, v3, v4, vcc_lo
.LBB204_57:
	s_or_b32 exec_lo, exec_lo, s1
	s_mov_b32 s0, 0
.LBB204_58:
	s_delay_alu instid0(SALU_CYCLE_1)
	s_and_b32 vcc_lo, exec_lo, s0
	s_cbranch_vccz .LBB204_64
; %bb.59:
	s_wait_loadcnt 0x0
	v_mov_b32_dpp v3, v1 quad_perm:[1,0,3,2] row_mask:0xf bank_mask:0xf
	s_mov_b32 s0, exec_lo
	s_delay_alu instid0(VALU_DEP_1) | instskip(NEXT) | instid1(VALU_DEP_1)
	v_mul_f32_e32 v1, v1, v3
	v_mov_b32_dpp v3, v1 quad_perm:[2,3,0,1] row_mask:0xf bank_mask:0xf
	s_delay_alu instid0(VALU_DEP_1) | instskip(NEXT) | instid1(VALU_DEP_1)
	v_mul_f32_e32 v1, v1, v3
	v_mov_b32_dpp v3, v1 row_ror:4 row_mask:0xf bank_mask:0xf
	s_delay_alu instid0(VALU_DEP_1) | instskip(NEXT) | instid1(VALU_DEP_1)
	v_mul_f32_e32 v1, v1, v3
	v_mov_b32_dpp v3, v1 row_ror:8 row_mask:0xf bank_mask:0xf
	s_delay_alu instid0(VALU_DEP_1)
	v_mul_f32_e32 v1, v1, v3
	ds_swizzle_b32 v3, v1 offset:swizzle(BROADCAST,32,15)
	s_wait_dscnt 0x0
	v_dual_mul_f32 v1, v1, v3 :: v_dual_mov_b32 v3, 0
	ds_bpermute_b32 v3, v3, v1 offset:124
	v_cmpx_eq_u32_e32 0, v2
	s_cbranch_execz .LBB204_61
; %bb.60:
	v_lshrrev_b32_e32 v1, 3, v0
	s_delay_alu instid0(VALU_DEP_1)
	v_and_b32_e32 v1, 28, v1
	s_wait_dscnt 0x0
	ds_store_b32 v1, v3
.LBB204_61:
	s_or_b32 exec_lo, exec_lo, s0
	s_delay_alu instid0(SALU_CYCLE_1)
	s_mov_b32 s0, exec_lo
	s_wait_dscnt 0x0
	s_barrier_signal -1
	s_barrier_wait -1
	v_cmpx_gt_u32_e32 32, v0
	s_cbranch_execz .LBB204_63
; %bb.62:
	v_and_b32_e32 v1, 7, v2
	s_delay_alu instid0(VALU_DEP_1) | instskip(SKIP_1) | instid1(VALU_DEP_1)
	v_cmp_ne_u32_e32 vcc_lo, 7, v1
	v_add_co_ci_u32_e64 v4, null, 0, v2, vcc_lo
	v_lshlrev_b32_e32 v4, 2, v4
	v_cmp_gt_u32_e32 vcc_lo, 6, v1
	v_lshlrev_b32_e32 v3, 2, v1
	v_cndmask_b32_e64 v1, 0, 2, vcc_lo
	s_delay_alu instid0(VALU_DEP_1)
	v_add_lshl_u32 v1, v1, v2, 2
	v_lshlrev_b32_e32 v2, 2, v2
	ds_load_b32 v3, v3
	v_or_b32_e32 v2, 16, v2
	s_wait_dscnt 0x0
	ds_bpermute_b32 v4, v4, v3
	s_wait_dscnt 0x0
	v_mul_f32_e32 v3, v3, v4
	ds_bpermute_b32 v1, v1, v3
	s_wait_dscnt 0x0
	v_mul_f32_e32 v1, v3, v1
	;; [unrolled: 3-line block ×3, first 2 shown]
.LBB204_63:
	s_or_b32 exec_lo, exec_lo, s0
.LBB204_64:
	s_delay_alu instid0(SALU_CYCLE_1)
	s_mov_b32 s0, exec_lo
                                        ; implicit-def: $vgpr1
	v_cmpx_eq_u32_e32 0, v0
	s_cbranch_execz .LBB204_66
; %bb.65:
	s_wait_loadcnt 0x0
	v_mul_f32_e32 v1, s15, v3
	s_or_b32 s30, s30, exec_lo
.LBB204_66:
	s_or_b32 exec_lo, exec_lo, s0
	s_and_saveexec_b32 s0, s30
	s_cbranch_execz .LBB204_68
.LBB204_67:
	s_lshl_b64 s[0:1], s[20:21], 2
	v_mov_b32_e32 v0, 0
	s_add_nc_u64 s[0:1], s[18:19], s[0:1]
	s_lshl_b64 s[2:3], s[22:23], 2
	s_delay_alu instid0(SALU_CYCLE_1)
	s_add_nc_u64 s[0:1], s[0:1], s[2:3]
	s_wait_loadcnt 0x0
	global_store_b32 v0, v1, s[0:1]
.LBB204_68:
	s_endpgm
	.section	.rodata,"a",@progbits
	.p2align	6, 0x0
	.amdhsa_kernel _ZN7rocprim17ROCPRIM_400000_NS6detail17trampoline_kernelINS0_14default_configENS1_32segmented_reduce_config_selectorIfEEZNS1_21segmented_reduce_implIS3_PKfPfPKlfN6hipcub16HIPCUB_304000_NS6detail27convert_result_type_wrapperIS8_S9_N2at6native12_GLOBAL__N_110CustomProdEEEEE10hipError_tPvRmT0_T1_jT2_SQ_T4_T3_P12ihipStream_tbEUlT_E_NS1_11comp_targetILNS1_3genE0ELNS1_11target_archE4294967295ELNS1_3gpuE0ELNS1_3repE0EEENS1_30default_config_static_selectorELNS0_4arch9wavefront6targetE0EEEvSP_
		.amdhsa_group_segment_fixed_size 32
		.amdhsa_private_segment_fixed_size 0
		.amdhsa_kernarg_size 48
		.amdhsa_user_sgpr_count 2
		.amdhsa_user_sgpr_dispatch_ptr 0
		.amdhsa_user_sgpr_queue_ptr 0
		.amdhsa_user_sgpr_kernarg_segment_ptr 1
		.amdhsa_user_sgpr_dispatch_id 0
		.amdhsa_user_sgpr_kernarg_preload_length 0
		.amdhsa_user_sgpr_kernarg_preload_offset 0
		.amdhsa_user_sgpr_private_segment_size 0
		.amdhsa_wavefront_size32 1
		.amdhsa_uses_dynamic_stack 0
		.amdhsa_enable_private_segment 0
		.amdhsa_system_sgpr_workgroup_id_x 1
		.amdhsa_system_sgpr_workgroup_id_y 0
		.amdhsa_system_sgpr_workgroup_id_z 0
		.amdhsa_system_sgpr_workgroup_info 0
		.amdhsa_system_vgpr_workitem_id 0
		.amdhsa_next_free_vgpr 21
		.amdhsa_next_free_sgpr 32
		.amdhsa_named_barrier_count 0
		.amdhsa_reserve_vcc 1
		.amdhsa_float_round_mode_32 0
		.amdhsa_float_round_mode_16_64 0
		.amdhsa_float_denorm_mode_32 3
		.amdhsa_float_denorm_mode_16_64 3
		.amdhsa_fp16_overflow 0
		.amdhsa_memory_ordered 1
		.amdhsa_forward_progress 1
		.amdhsa_inst_pref_size 28
		.amdhsa_round_robin_scheduling 0
		.amdhsa_exception_fp_ieee_invalid_op 0
		.amdhsa_exception_fp_denorm_src 0
		.amdhsa_exception_fp_ieee_div_zero 0
		.amdhsa_exception_fp_ieee_overflow 0
		.amdhsa_exception_fp_ieee_underflow 0
		.amdhsa_exception_fp_ieee_inexact 0
		.amdhsa_exception_int_div_zero 0
	.end_amdhsa_kernel
	.section	.text._ZN7rocprim17ROCPRIM_400000_NS6detail17trampoline_kernelINS0_14default_configENS1_32segmented_reduce_config_selectorIfEEZNS1_21segmented_reduce_implIS3_PKfPfPKlfN6hipcub16HIPCUB_304000_NS6detail27convert_result_type_wrapperIS8_S9_N2at6native12_GLOBAL__N_110CustomProdEEEEE10hipError_tPvRmT0_T1_jT2_SQ_T4_T3_P12ihipStream_tbEUlT_E_NS1_11comp_targetILNS1_3genE0ELNS1_11target_archE4294967295ELNS1_3gpuE0ELNS1_3repE0EEENS1_30default_config_static_selectorELNS0_4arch9wavefront6targetE0EEEvSP_,"axG",@progbits,_ZN7rocprim17ROCPRIM_400000_NS6detail17trampoline_kernelINS0_14default_configENS1_32segmented_reduce_config_selectorIfEEZNS1_21segmented_reduce_implIS3_PKfPfPKlfN6hipcub16HIPCUB_304000_NS6detail27convert_result_type_wrapperIS8_S9_N2at6native12_GLOBAL__N_110CustomProdEEEEE10hipError_tPvRmT0_T1_jT2_SQ_T4_T3_P12ihipStream_tbEUlT_E_NS1_11comp_targetILNS1_3genE0ELNS1_11target_archE4294967295ELNS1_3gpuE0ELNS1_3repE0EEENS1_30default_config_static_selectorELNS0_4arch9wavefront6targetE0EEEvSP_,comdat
.Lfunc_end204:
	.size	_ZN7rocprim17ROCPRIM_400000_NS6detail17trampoline_kernelINS0_14default_configENS1_32segmented_reduce_config_selectorIfEEZNS1_21segmented_reduce_implIS3_PKfPfPKlfN6hipcub16HIPCUB_304000_NS6detail27convert_result_type_wrapperIS8_S9_N2at6native12_GLOBAL__N_110CustomProdEEEEE10hipError_tPvRmT0_T1_jT2_SQ_T4_T3_P12ihipStream_tbEUlT_E_NS1_11comp_targetILNS1_3genE0ELNS1_11target_archE4294967295ELNS1_3gpuE0ELNS1_3repE0EEENS1_30default_config_static_selectorELNS0_4arch9wavefront6targetE0EEEvSP_, .Lfunc_end204-_ZN7rocprim17ROCPRIM_400000_NS6detail17trampoline_kernelINS0_14default_configENS1_32segmented_reduce_config_selectorIfEEZNS1_21segmented_reduce_implIS3_PKfPfPKlfN6hipcub16HIPCUB_304000_NS6detail27convert_result_type_wrapperIS8_S9_N2at6native12_GLOBAL__N_110CustomProdEEEEE10hipError_tPvRmT0_T1_jT2_SQ_T4_T3_P12ihipStream_tbEUlT_E_NS1_11comp_targetILNS1_3genE0ELNS1_11target_archE4294967295ELNS1_3gpuE0ELNS1_3repE0EEENS1_30default_config_static_selectorELNS0_4arch9wavefront6targetE0EEEvSP_
                                        ; -- End function
	.set _ZN7rocprim17ROCPRIM_400000_NS6detail17trampoline_kernelINS0_14default_configENS1_32segmented_reduce_config_selectorIfEEZNS1_21segmented_reduce_implIS3_PKfPfPKlfN6hipcub16HIPCUB_304000_NS6detail27convert_result_type_wrapperIS8_S9_N2at6native12_GLOBAL__N_110CustomProdEEEEE10hipError_tPvRmT0_T1_jT2_SQ_T4_T3_P12ihipStream_tbEUlT_E_NS1_11comp_targetILNS1_3genE0ELNS1_11target_archE4294967295ELNS1_3gpuE0ELNS1_3repE0EEENS1_30default_config_static_selectorELNS0_4arch9wavefront6targetE0EEEvSP_.num_vgpr, 21
	.set _ZN7rocprim17ROCPRIM_400000_NS6detail17trampoline_kernelINS0_14default_configENS1_32segmented_reduce_config_selectorIfEEZNS1_21segmented_reduce_implIS3_PKfPfPKlfN6hipcub16HIPCUB_304000_NS6detail27convert_result_type_wrapperIS8_S9_N2at6native12_GLOBAL__N_110CustomProdEEEEE10hipError_tPvRmT0_T1_jT2_SQ_T4_T3_P12ihipStream_tbEUlT_E_NS1_11comp_targetILNS1_3genE0ELNS1_11target_archE4294967295ELNS1_3gpuE0ELNS1_3repE0EEENS1_30default_config_static_selectorELNS0_4arch9wavefront6targetE0EEEvSP_.num_agpr, 0
	.set _ZN7rocprim17ROCPRIM_400000_NS6detail17trampoline_kernelINS0_14default_configENS1_32segmented_reduce_config_selectorIfEEZNS1_21segmented_reduce_implIS3_PKfPfPKlfN6hipcub16HIPCUB_304000_NS6detail27convert_result_type_wrapperIS8_S9_N2at6native12_GLOBAL__N_110CustomProdEEEEE10hipError_tPvRmT0_T1_jT2_SQ_T4_T3_P12ihipStream_tbEUlT_E_NS1_11comp_targetILNS1_3genE0ELNS1_11target_archE4294967295ELNS1_3gpuE0ELNS1_3repE0EEENS1_30default_config_static_selectorELNS0_4arch9wavefront6targetE0EEEvSP_.numbered_sgpr, 32
	.set _ZN7rocprim17ROCPRIM_400000_NS6detail17trampoline_kernelINS0_14default_configENS1_32segmented_reduce_config_selectorIfEEZNS1_21segmented_reduce_implIS3_PKfPfPKlfN6hipcub16HIPCUB_304000_NS6detail27convert_result_type_wrapperIS8_S9_N2at6native12_GLOBAL__N_110CustomProdEEEEE10hipError_tPvRmT0_T1_jT2_SQ_T4_T3_P12ihipStream_tbEUlT_E_NS1_11comp_targetILNS1_3genE0ELNS1_11target_archE4294967295ELNS1_3gpuE0ELNS1_3repE0EEENS1_30default_config_static_selectorELNS0_4arch9wavefront6targetE0EEEvSP_.num_named_barrier, 0
	.set _ZN7rocprim17ROCPRIM_400000_NS6detail17trampoline_kernelINS0_14default_configENS1_32segmented_reduce_config_selectorIfEEZNS1_21segmented_reduce_implIS3_PKfPfPKlfN6hipcub16HIPCUB_304000_NS6detail27convert_result_type_wrapperIS8_S9_N2at6native12_GLOBAL__N_110CustomProdEEEEE10hipError_tPvRmT0_T1_jT2_SQ_T4_T3_P12ihipStream_tbEUlT_E_NS1_11comp_targetILNS1_3genE0ELNS1_11target_archE4294967295ELNS1_3gpuE0ELNS1_3repE0EEENS1_30default_config_static_selectorELNS0_4arch9wavefront6targetE0EEEvSP_.private_seg_size, 0
	.set _ZN7rocprim17ROCPRIM_400000_NS6detail17trampoline_kernelINS0_14default_configENS1_32segmented_reduce_config_selectorIfEEZNS1_21segmented_reduce_implIS3_PKfPfPKlfN6hipcub16HIPCUB_304000_NS6detail27convert_result_type_wrapperIS8_S9_N2at6native12_GLOBAL__N_110CustomProdEEEEE10hipError_tPvRmT0_T1_jT2_SQ_T4_T3_P12ihipStream_tbEUlT_E_NS1_11comp_targetILNS1_3genE0ELNS1_11target_archE4294967295ELNS1_3gpuE0ELNS1_3repE0EEENS1_30default_config_static_selectorELNS0_4arch9wavefront6targetE0EEEvSP_.uses_vcc, 1
	.set _ZN7rocprim17ROCPRIM_400000_NS6detail17trampoline_kernelINS0_14default_configENS1_32segmented_reduce_config_selectorIfEEZNS1_21segmented_reduce_implIS3_PKfPfPKlfN6hipcub16HIPCUB_304000_NS6detail27convert_result_type_wrapperIS8_S9_N2at6native12_GLOBAL__N_110CustomProdEEEEE10hipError_tPvRmT0_T1_jT2_SQ_T4_T3_P12ihipStream_tbEUlT_E_NS1_11comp_targetILNS1_3genE0ELNS1_11target_archE4294967295ELNS1_3gpuE0ELNS1_3repE0EEENS1_30default_config_static_selectorELNS0_4arch9wavefront6targetE0EEEvSP_.uses_flat_scratch, 0
	.set _ZN7rocprim17ROCPRIM_400000_NS6detail17trampoline_kernelINS0_14default_configENS1_32segmented_reduce_config_selectorIfEEZNS1_21segmented_reduce_implIS3_PKfPfPKlfN6hipcub16HIPCUB_304000_NS6detail27convert_result_type_wrapperIS8_S9_N2at6native12_GLOBAL__N_110CustomProdEEEEE10hipError_tPvRmT0_T1_jT2_SQ_T4_T3_P12ihipStream_tbEUlT_E_NS1_11comp_targetILNS1_3genE0ELNS1_11target_archE4294967295ELNS1_3gpuE0ELNS1_3repE0EEENS1_30default_config_static_selectorELNS0_4arch9wavefront6targetE0EEEvSP_.has_dyn_sized_stack, 0
	.set _ZN7rocprim17ROCPRIM_400000_NS6detail17trampoline_kernelINS0_14default_configENS1_32segmented_reduce_config_selectorIfEEZNS1_21segmented_reduce_implIS3_PKfPfPKlfN6hipcub16HIPCUB_304000_NS6detail27convert_result_type_wrapperIS8_S9_N2at6native12_GLOBAL__N_110CustomProdEEEEE10hipError_tPvRmT0_T1_jT2_SQ_T4_T3_P12ihipStream_tbEUlT_E_NS1_11comp_targetILNS1_3genE0ELNS1_11target_archE4294967295ELNS1_3gpuE0ELNS1_3repE0EEENS1_30default_config_static_selectorELNS0_4arch9wavefront6targetE0EEEvSP_.has_recursion, 0
	.set _ZN7rocprim17ROCPRIM_400000_NS6detail17trampoline_kernelINS0_14default_configENS1_32segmented_reduce_config_selectorIfEEZNS1_21segmented_reduce_implIS3_PKfPfPKlfN6hipcub16HIPCUB_304000_NS6detail27convert_result_type_wrapperIS8_S9_N2at6native12_GLOBAL__N_110CustomProdEEEEE10hipError_tPvRmT0_T1_jT2_SQ_T4_T3_P12ihipStream_tbEUlT_E_NS1_11comp_targetILNS1_3genE0ELNS1_11target_archE4294967295ELNS1_3gpuE0ELNS1_3repE0EEENS1_30default_config_static_selectorELNS0_4arch9wavefront6targetE0EEEvSP_.has_indirect_call, 0
	.section	.AMDGPU.csdata,"",@progbits
; Kernel info:
; codeLenInByte = 3508
; TotalNumSgprs: 34
; NumVgprs: 21
; ScratchSize: 0
; MemoryBound: 0
; FloatMode: 240
; IeeeMode: 1
; LDSByteSize: 32 bytes/workgroup (compile time only)
; SGPRBlocks: 0
; VGPRBlocks: 1
; NumSGPRsForWavesPerEU: 34
; NumVGPRsForWavesPerEU: 21
; NamedBarCnt: 0
; Occupancy: 16
; WaveLimiterHint : 1
; COMPUTE_PGM_RSRC2:SCRATCH_EN: 0
; COMPUTE_PGM_RSRC2:USER_SGPR: 2
; COMPUTE_PGM_RSRC2:TRAP_HANDLER: 0
; COMPUTE_PGM_RSRC2:TGID_X_EN: 1
; COMPUTE_PGM_RSRC2:TGID_Y_EN: 0
; COMPUTE_PGM_RSRC2:TGID_Z_EN: 0
; COMPUTE_PGM_RSRC2:TIDIG_COMP_CNT: 0
	.section	.text._ZN7rocprim17ROCPRIM_400000_NS6detail17trampoline_kernelINS0_14default_configENS1_32segmented_reduce_config_selectorIfEEZNS1_21segmented_reduce_implIS3_PKfPfPKlfN6hipcub16HIPCUB_304000_NS6detail27convert_result_type_wrapperIS8_S9_N2at6native12_GLOBAL__N_110CustomProdEEEEE10hipError_tPvRmT0_T1_jT2_SQ_T4_T3_P12ihipStream_tbEUlT_E_NS1_11comp_targetILNS1_3genE5ELNS1_11target_archE942ELNS1_3gpuE9ELNS1_3repE0EEENS1_30default_config_static_selectorELNS0_4arch9wavefront6targetE0EEEvSP_,"axG",@progbits,_ZN7rocprim17ROCPRIM_400000_NS6detail17trampoline_kernelINS0_14default_configENS1_32segmented_reduce_config_selectorIfEEZNS1_21segmented_reduce_implIS3_PKfPfPKlfN6hipcub16HIPCUB_304000_NS6detail27convert_result_type_wrapperIS8_S9_N2at6native12_GLOBAL__N_110CustomProdEEEEE10hipError_tPvRmT0_T1_jT2_SQ_T4_T3_P12ihipStream_tbEUlT_E_NS1_11comp_targetILNS1_3genE5ELNS1_11target_archE942ELNS1_3gpuE9ELNS1_3repE0EEENS1_30default_config_static_selectorELNS0_4arch9wavefront6targetE0EEEvSP_,comdat
	.globl	_ZN7rocprim17ROCPRIM_400000_NS6detail17trampoline_kernelINS0_14default_configENS1_32segmented_reduce_config_selectorIfEEZNS1_21segmented_reduce_implIS3_PKfPfPKlfN6hipcub16HIPCUB_304000_NS6detail27convert_result_type_wrapperIS8_S9_N2at6native12_GLOBAL__N_110CustomProdEEEEE10hipError_tPvRmT0_T1_jT2_SQ_T4_T3_P12ihipStream_tbEUlT_E_NS1_11comp_targetILNS1_3genE5ELNS1_11target_archE942ELNS1_3gpuE9ELNS1_3repE0EEENS1_30default_config_static_selectorELNS0_4arch9wavefront6targetE0EEEvSP_ ; -- Begin function _ZN7rocprim17ROCPRIM_400000_NS6detail17trampoline_kernelINS0_14default_configENS1_32segmented_reduce_config_selectorIfEEZNS1_21segmented_reduce_implIS3_PKfPfPKlfN6hipcub16HIPCUB_304000_NS6detail27convert_result_type_wrapperIS8_S9_N2at6native12_GLOBAL__N_110CustomProdEEEEE10hipError_tPvRmT0_T1_jT2_SQ_T4_T3_P12ihipStream_tbEUlT_E_NS1_11comp_targetILNS1_3genE5ELNS1_11target_archE942ELNS1_3gpuE9ELNS1_3repE0EEENS1_30default_config_static_selectorELNS0_4arch9wavefront6targetE0EEEvSP_
	.p2align	8
	.type	_ZN7rocprim17ROCPRIM_400000_NS6detail17trampoline_kernelINS0_14default_configENS1_32segmented_reduce_config_selectorIfEEZNS1_21segmented_reduce_implIS3_PKfPfPKlfN6hipcub16HIPCUB_304000_NS6detail27convert_result_type_wrapperIS8_S9_N2at6native12_GLOBAL__N_110CustomProdEEEEE10hipError_tPvRmT0_T1_jT2_SQ_T4_T3_P12ihipStream_tbEUlT_E_NS1_11comp_targetILNS1_3genE5ELNS1_11target_archE942ELNS1_3gpuE9ELNS1_3repE0EEENS1_30default_config_static_selectorELNS0_4arch9wavefront6targetE0EEEvSP_,@function
_ZN7rocprim17ROCPRIM_400000_NS6detail17trampoline_kernelINS0_14default_configENS1_32segmented_reduce_config_selectorIfEEZNS1_21segmented_reduce_implIS3_PKfPfPKlfN6hipcub16HIPCUB_304000_NS6detail27convert_result_type_wrapperIS8_S9_N2at6native12_GLOBAL__N_110CustomProdEEEEE10hipError_tPvRmT0_T1_jT2_SQ_T4_T3_P12ihipStream_tbEUlT_E_NS1_11comp_targetILNS1_3genE5ELNS1_11target_archE942ELNS1_3gpuE9ELNS1_3repE0EEENS1_30default_config_static_selectorELNS0_4arch9wavefront6targetE0EEEvSP_: ; @_ZN7rocprim17ROCPRIM_400000_NS6detail17trampoline_kernelINS0_14default_configENS1_32segmented_reduce_config_selectorIfEEZNS1_21segmented_reduce_implIS3_PKfPfPKlfN6hipcub16HIPCUB_304000_NS6detail27convert_result_type_wrapperIS8_S9_N2at6native12_GLOBAL__N_110CustomProdEEEEE10hipError_tPvRmT0_T1_jT2_SQ_T4_T3_P12ihipStream_tbEUlT_E_NS1_11comp_targetILNS1_3genE5ELNS1_11target_archE942ELNS1_3gpuE9ELNS1_3repE0EEENS1_30default_config_static_selectorELNS0_4arch9wavefront6targetE0EEEvSP_
; %bb.0:
	.section	.rodata,"a",@progbits
	.p2align	6, 0x0
	.amdhsa_kernel _ZN7rocprim17ROCPRIM_400000_NS6detail17trampoline_kernelINS0_14default_configENS1_32segmented_reduce_config_selectorIfEEZNS1_21segmented_reduce_implIS3_PKfPfPKlfN6hipcub16HIPCUB_304000_NS6detail27convert_result_type_wrapperIS8_S9_N2at6native12_GLOBAL__N_110CustomProdEEEEE10hipError_tPvRmT0_T1_jT2_SQ_T4_T3_P12ihipStream_tbEUlT_E_NS1_11comp_targetILNS1_3genE5ELNS1_11target_archE942ELNS1_3gpuE9ELNS1_3repE0EEENS1_30default_config_static_selectorELNS0_4arch9wavefront6targetE0EEEvSP_
		.amdhsa_group_segment_fixed_size 0
		.amdhsa_private_segment_fixed_size 0
		.amdhsa_kernarg_size 48
		.amdhsa_user_sgpr_count 2
		.amdhsa_user_sgpr_dispatch_ptr 0
		.amdhsa_user_sgpr_queue_ptr 0
		.amdhsa_user_sgpr_kernarg_segment_ptr 1
		.amdhsa_user_sgpr_dispatch_id 0
		.amdhsa_user_sgpr_kernarg_preload_length 0
		.amdhsa_user_sgpr_kernarg_preload_offset 0
		.amdhsa_user_sgpr_private_segment_size 0
		.amdhsa_wavefront_size32 1
		.amdhsa_uses_dynamic_stack 0
		.amdhsa_enable_private_segment 0
		.amdhsa_system_sgpr_workgroup_id_x 1
		.amdhsa_system_sgpr_workgroup_id_y 0
		.amdhsa_system_sgpr_workgroup_id_z 0
		.amdhsa_system_sgpr_workgroup_info 0
		.amdhsa_system_vgpr_workitem_id 0
		.amdhsa_next_free_vgpr 1
		.amdhsa_next_free_sgpr 1
		.amdhsa_named_barrier_count 0
		.amdhsa_reserve_vcc 0
		.amdhsa_float_round_mode_32 0
		.amdhsa_float_round_mode_16_64 0
		.amdhsa_float_denorm_mode_32 3
		.amdhsa_float_denorm_mode_16_64 3
		.amdhsa_fp16_overflow 0
		.amdhsa_memory_ordered 1
		.amdhsa_forward_progress 1
		.amdhsa_inst_pref_size 0
		.amdhsa_round_robin_scheduling 0
		.amdhsa_exception_fp_ieee_invalid_op 0
		.amdhsa_exception_fp_denorm_src 0
		.amdhsa_exception_fp_ieee_div_zero 0
		.amdhsa_exception_fp_ieee_overflow 0
		.amdhsa_exception_fp_ieee_underflow 0
		.amdhsa_exception_fp_ieee_inexact 0
		.amdhsa_exception_int_div_zero 0
	.end_amdhsa_kernel
	.section	.text._ZN7rocprim17ROCPRIM_400000_NS6detail17trampoline_kernelINS0_14default_configENS1_32segmented_reduce_config_selectorIfEEZNS1_21segmented_reduce_implIS3_PKfPfPKlfN6hipcub16HIPCUB_304000_NS6detail27convert_result_type_wrapperIS8_S9_N2at6native12_GLOBAL__N_110CustomProdEEEEE10hipError_tPvRmT0_T1_jT2_SQ_T4_T3_P12ihipStream_tbEUlT_E_NS1_11comp_targetILNS1_3genE5ELNS1_11target_archE942ELNS1_3gpuE9ELNS1_3repE0EEENS1_30default_config_static_selectorELNS0_4arch9wavefront6targetE0EEEvSP_,"axG",@progbits,_ZN7rocprim17ROCPRIM_400000_NS6detail17trampoline_kernelINS0_14default_configENS1_32segmented_reduce_config_selectorIfEEZNS1_21segmented_reduce_implIS3_PKfPfPKlfN6hipcub16HIPCUB_304000_NS6detail27convert_result_type_wrapperIS8_S9_N2at6native12_GLOBAL__N_110CustomProdEEEEE10hipError_tPvRmT0_T1_jT2_SQ_T4_T3_P12ihipStream_tbEUlT_E_NS1_11comp_targetILNS1_3genE5ELNS1_11target_archE942ELNS1_3gpuE9ELNS1_3repE0EEENS1_30default_config_static_selectorELNS0_4arch9wavefront6targetE0EEEvSP_,comdat
.Lfunc_end205:
	.size	_ZN7rocprim17ROCPRIM_400000_NS6detail17trampoline_kernelINS0_14default_configENS1_32segmented_reduce_config_selectorIfEEZNS1_21segmented_reduce_implIS3_PKfPfPKlfN6hipcub16HIPCUB_304000_NS6detail27convert_result_type_wrapperIS8_S9_N2at6native12_GLOBAL__N_110CustomProdEEEEE10hipError_tPvRmT0_T1_jT2_SQ_T4_T3_P12ihipStream_tbEUlT_E_NS1_11comp_targetILNS1_3genE5ELNS1_11target_archE942ELNS1_3gpuE9ELNS1_3repE0EEENS1_30default_config_static_selectorELNS0_4arch9wavefront6targetE0EEEvSP_, .Lfunc_end205-_ZN7rocprim17ROCPRIM_400000_NS6detail17trampoline_kernelINS0_14default_configENS1_32segmented_reduce_config_selectorIfEEZNS1_21segmented_reduce_implIS3_PKfPfPKlfN6hipcub16HIPCUB_304000_NS6detail27convert_result_type_wrapperIS8_S9_N2at6native12_GLOBAL__N_110CustomProdEEEEE10hipError_tPvRmT0_T1_jT2_SQ_T4_T3_P12ihipStream_tbEUlT_E_NS1_11comp_targetILNS1_3genE5ELNS1_11target_archE942ELNS1_3gpuE9ELNS1_3repE0EEENS1_30default_config_static_selectorELNS0_4arch9wavefront6targetE0EEEvSP_
                                        ; -- End function
	.set _ZN7rocprim17ROCPRIM_400000_NS6detail17trampoline_kernelINS0_14default_configENS1_32segmented_reduce_config_selectorIfEEZNS1_21segmented_reduce_implIS3_PKfPfPKlfN6hipcub16HIPCUB_304000_NS6detail27convert_result_type_wrapperIS8_S9_N2at6native12_GLOBAL__N_110CustomProdEEEEE10hipError_tPvRmT0_T1_jT2_SQ_T4_T3_P12ihipStream_tbEUlT_E_NS1_11comp_targetILNS1_3genE5ELNS1_11target_archE942ELNS1_3gpuE9ELNS1_3repE0EEENS1_30default_config_static_selectorELNS0_4arch9wavefront6targetE0EEEvSP_.num_vgpr, 0
	.set _ZN7rocprim17ROCPRIM_400000_NS6detail17trampoline_kernelINS0_14default_configENS1_32segmented_reduce_config_selectorIfEEZNS1_21segmented_reduce_implIS3_PKfPfPKlfN6hipcub16HIPCUB_304000_NS6detail27convert_result_type_wrapperIS8_S9_N2at6native12_GLOBAL__N_110CustomProdEEEEE10hipError_tPvRmT0_T1_jT2_SQ_T4_T3_P12ihipStream_tbEUlT_E_NS1_11comp_targetILNS1_3genE5ELNS1_11target_archE942ELNS1_3gpuE9ELNS1_3repE0EEENS1_30default_config_static_selectorELNS0_4arch9wavefront6targetE0EEEvSP_.num_agpr, 0
	.set _ZN7rocprim17ROCPRIM_400000_NS6detail17trampoline_kernelINS0_14default_configENS1_32segmented_reduce_config_selectorIfEEZNS1_21segmented_reduce_implIS3_PKfPfPKlfN6hipcub16HIPCUB_304000_NS6detail27convert_result_type_wrapperIS8_S9_N2at6native12_GLOBAL__N_110CustomProdEEEEE10hipError_tPvRmT0_T1_jT2_SQ_T4_T3_P12ihipStream_tbEUlT_E_NS1_11comp_targetILNS1_3genE5ELNS1_11target_archE942ELNS1_3gpuE9ELNS1_3repE0EEENS1_30default_config_static_selectorELNS0_4arch9wavefront6targetE0EEEvSP_.numbered_sgpr, 0
	.set _ZN7rocprim17ROCPRIM_400000_NS6detail17trampoline_kernelINS0_14default_configENS1_32segmented_reduce_config_selectorIfEEZNS1_21segmented_reduce_implIS3_PKfPfPKlfN6hipcub16HIPCUB_304000_NS6detail27convert_result_type_wrapperIS8_S9_N2at6native12_GLOBAL__N_110CustomProdEEEEE10hipError_tPvRmT0_T1_jT2_SQ_T4_T3_P12ihipStream_tbEUlT_E_NS1_11comp_targetILNS1_3genE5ELNS1_11target_archE942ELNS1_3gpuE9ELNS1_3repE0EEENS1_30default_config_static_selectorELNS0_4arch9wavefront6targetE0EEEvSP_.num_named_barrier, 0
	.set _ZN7rocprim17ROCPRIM_400000_NS6detail17trampoline_kernelINS0_14default_configENS1_32segmented_reduce_config_selectorIfEEZNS1_21segmented_reduce_implIS3_PKfPfPKlfN6hipcub16HIPCUB_304000_NS6detail27convert_result_type_wrapperIS8_S9_N2at6native12_GLOBAL__N_110CustomProdEEEEE10hipError_tPvRmT0_T1_jT2_SQ_T4_T3_P12ihipStream_tbEUlT_E_NS1_11comp_targetILNS1_3genE5ELNS1_11target_archE942ELNS1_3gpuE9ELNS1_3repE0EEENS1_30default_config_static_selectorELNS0_4arch9wavefront6targetE0EEEvSP_.private_seg_size, 0
	.set _ZN7rocprim17ROCPRIM_400000_NS6detail17trampoline_kernelINS0_14default_configENS1_32segmented_reduce_config_selectorIfEEZNS1_21segmented_reduce_implIS3_PKfPfPKlfN6hipcub16HIPCUB_304000_NS6detail27convert_result_type_wrapperIS8_S9_N2at6native12_GLOBAL__N_110CustomProdEEEEE10hipError_tPvRmT0_T1_jT2_SQ_T4_T3_P12ihipStream_tbEUlT_E_NS1_11comp_targetILNS1_3genE5ELNS1_11target_archE942ELNS1_3gpuE9ELNS1_3repE0EEENS1_30default_config_static_selectorELNS0_4arch9wavefront6targetE0EEEvSP_.uses_vcc, 0
	.set _ZN7rocprim17ROCPRIM_400000_NS6detail17trampoline_kernelINS0_14default_configENS1_32segmented_reduce_config_selectorIfEEZNS1_21segmented_reduce_implIS3_PKfPfPKlfN6hipcub16HIPCUB_304000_NS6detail27convert_result_type_wrapperIS8_S9_N2at6native12_GLOBAL__N_110CustomProdEEEEE10hipError_tPvRmT0_T1_jT2_SQ_T4_T3_P12ihipStream_tbEUlT_E_NS1_11comp_targetILNS1_3genE5ELNS1_11target_archE942ELNS1_3gpuE9ELNS1_3repE0EEENS1_30default_config_static_selectorELNS0_4arch9wavefront6targetE0EEEvSP_.uses_flat_scratch, 0
	.set _ZN7rocprim17ROCPRIM_400000_NS6detail17trampoline_kernelINS0_14default_configENS1_32segmented_reduce_config_selectorIfEEZNS1_21segmented_reduce_implIS3_PKfPfPKlfN6hipcub16HIPCUB_304000_NS6detail27convert_result_type_wrapperIS8_S9_N2at6native12_GLOBAL__N_110CustomProdEEEEE10hipError_tPvRmT0_T1_jT2_SQ_T4_T3_P12ihipStream_tbEUlT_E_NS1_11comp_targetILNS1_3genE5ELNS1_11target_archE942ELNS1_3gpuE9ELNS1_3repE0EEENS1_30default_config_static_selectorELNS0_4arch9wavefront6targetE0EEEvSP_.has_dyn_sized_stack, 0
	.set _ZN7rocprim17ROCPRIM_400000_NS6detail17trampoline_kernelINS0_14default_configENS1_32segmented_reduce_config_selectorIfEEZNS1_21segmented_reduce_implIS3_PKfPfPKlfN6hipcub16HIPCUB_304000_NS6detail27convert_result_type_wrapperIS8_S9_N2at6native12_GLOBAL__N_110CustomProdEEEEE10hipError_tPvRmT0_T1_jT2_SQ_T4_T3_P12ihipStream_tbEUlT_E_NS1_11comp_targetILNS1_3genE5ELNS1_11target_archE942ELNS1_3gpuE9ELNS1_3repE0EEENS1_30default_config_static_selectorELNS0_4arch9wavefront6targetE0EEEvSP_.has_recursion, 0
	.set _ZN7rocprim17ROCPRIM_400000_NS6detail17trampoline_kernelINS0_14default_configENS1_32segmented_reduce_config_selectorIfEEZNS1_21segmented_reduce_implIS3_PKfPfPKlfN6hipcub16HIPCUB_304000_NS6detail27convert_result_type_wrapperIS8_S9_N2at6native12_GLOBAL__N_110CustomProdEEEEE10hipError_tPvRmT0_T1_jT2_SQ_T4_T3_P12ihipStream_tbEUlT_E_NS1_11comp_targetILNS1_3genE5ELNS1_11target_archE942ELNS1_3gpuE9ELNS1_3repE0EEENS1_30default_config_static_selectorELNS0_4arch9wavefront6targetE0EEEvSP_.has_indirect_call, 0
	.section	.AMDGPU.csdata,"",@progbits
; Kernel info:
; codeLenInByte = 0
; TotalNumSgprs: 0
; NumVgprs: 0
; ScratchSize: 0
; MemoryBound: 0
; FloatMode: 240
; IeeeMode: 1
; LDSByteSize: 0 bytes/workgroup (compile time only)
; SGPRBlocks: 0
; VGPRBlocks: 0
; NumSGPRsForWavesPerEU: 1
; NumVGPRsForWavesPerEU: 1
; NamedBarCnt: 0
; Occupancy: 16
; WaveLimiterHint : 0
; COMPUTE_PGM_RSRC2:SCRATCH_EN: 0
; COMPUTE_PGM_RSRC2:USER_SGPR: 2
; COMPUTE_PGM_RSRC2:TRAP_HANDLER: 0
; COMPUTE_PGM_RSRC2:TGID_X_EN: 1
; COMPUTE_PGM_RSRC2:TGID_Y_EN: 0
; COMPUTE_PGM_RSRC2:TGID_Z_EN: 0
; COMPUTE_PGM_RSRC2:TIDIG_COMP_CNT: 0
	.section	.text._ZN7rocprim17ROCPRIM_400000_NS6detail17trampoline_kernelINS0_14default_configENS1_32segmented_reduce_config_selectorIfEEZNS1_21segmented_reduce_implIS3_PKfPfPKlfN6hipcub16HIPCUB_304000_NS6detail27convert_result_type_wrapperIS8_S9_N2at6native12_GLOBAL__N_110CustomProdEEEEE10hipError_tPvRmT0_T1_jT2_SQ_T4_T3_P12ihipStream_tbEUlT_E_NS1_11comp_targetILNS1_3genE10ELNS1_11target_archE1201ELNS1_3gpuE5ELNS1_3repE0EEENS1_30default_config_static_selectorELNS0_4arch9wavefront6targetE0EEEvSP_,"axG",@progbits,_ZN7rocprim17ROCPRIM_400000_NS6detail17trampoline_kernelINS0_14default_configENS1_32segmented_reduce_config_selectorIfEEZNS1_21segmented_reduce_implIS3_PKfPfPKlfN6hipcub16HIPCUB_304000_NS6detail27convert_result_type_wrapperIS8_S9_N2at6native12_GLOBAL__N_110CustomProdEEEEE10hipError_tPvRmT0_T1_jT2_SQ_T4_T3_P12ihipStream_tbEUlT_E_NS1_11comp_targetILNS1_3genE10ELNS1_11target_archE1201ELNS1_3gpuE5ELNS1_3repE0EEENS1_30default_config_static_selectorELNS0_4arch9wavefront6targetE0EEEvSP_,comdat
	.globl	_ZN7rocprim17ROCPRIM_400000_NS6detail17trampoline_kernelINS0_14default_configENS1_32segmented_reduce_config_selectorIfEEZNS1_21segmented_reduce_implIS3_PKfPfPKlfN6hipcub16HIPCUB_304000_NS6detail27convert_result_type_wrapperIS8_S9_N2at6native12_GLOBAL__N_110CustomProdEEEEE10hipError_tPvRmT0_T1_jT2_SQ_T4_T3_P12ihipStream_tbEUlT_E_NS1_11comp_targetILNS1_3genE10ELNS1_11target_archE1201ELNS1_3gpuE5ELNS1_3repE0EEENS1_30default_config_static_selectorELNS0_4arch9wavefront6targetE0EEEvSP_ ; -- Begin function _ZN7rocprim17ROCPRIM_400000_NS6detail17trampoline_kernelINS0_14default_configENS1_32segmented_reduce_config_selectorIfEEZNS1_21segmented_reduce_implIS3_PKfPfPKlfN6hipcub16HIPCUB_304000_NS6detail27convert_result_type_wrapperIS8_S9_N2at6native12_GLOBAL__N_110CustomProdEEEEE10hipError_tPvRmT0_T1_jT2_SQ_T4_T3_P12ihipStream_tbEUlT_E_NS1_11comp_targetILNS1_3genE10ELNS1_11target_archE1201ELNS1_3gpuE5ELNS1_3repE0EEENS1_30default_config_static_selectorELNS0_4arch9wavefront6targetE0EEEvSP_
	.p2align	8
	.type	_ZN7rocprim17ROCPRIM_400000_NS6detail17trampoline_kernelINS0_14default_configENS1_32segmented_reduce_config_selectorIfEEZNS1_21segmented_reduce_implIS3_PKfPfPKlfN6hipcub16HIPCUB_304000_NS6detail27convert_result_type_wrapperIS8_S9_N2at6native12_GLOBAL__N_110CustomProdEEEEE10hipError_tPvRmT0_T1_jT2_SQ_T4_T3_P12ihipStream_tbEUlT_E_NS1_11comp_targetILNS1_3genE10ELNS1_11target_archE1201ELNS1_3gpuE5ELNS1_3repE0EEENS1_30default_config_static_selectorELNS0_4arch9wavefront6targetE0EEEvSP_,@function
_ZN7rocprim17ROCPRIM_400000_NS6detail17trampoline_kernelINS0_14default_configENS1_32segmented_reduce_config_selectorIfEEZNS1_21segmented_reduce_implIS3_PKfPfPKlfN6hipcub16HIPCUB_304000_NS6detail27convert_result_type_wrapperIS8_S9_N2at6native12_GLOBAL__N_110CustomProdEEEEE10hipError_tPvRmT0_T1_jT2_SQ_T4_T3_P12ihipStream_tbEUlT_E_NS1_11comp_targetILNS1_3genE10ELNS1_11target_archE1201ELNS1_3gpuE5ELNS1_3repE0EEENS1_30default_config_static_selectorELNS0_4arch9wavefront6targetE0EEEvSP_: ; @_ZN7rocprim17ROCPRIM_400000_NS6detail17trampoline_kernelINS0_14default_configENS1_32segmented_reduce_config_selectorIfEEZNS1_21segmented_reduce_implIS3_PKfPfPKlfN6hipcub16HIPCUB_304000_NS6detail27convert_result_type_wrapperIS8_S9_N2at6native12_GLOBAL__N_110CustomProdEEEEE10hipError_tPvRmT0_T1_jT2_SQ_T4_T3_P12ihipStream_tbEUlT_E_NS1_11comp_targetILNS1_3genE10ELNS1_11target_archE1201ELNS1_3gpuE5ELNS1_3repE0EEENS1_30default_config_static_selectorELNS0_4arch9wavefront6targetE0EEEvSP_
; %bb.0:
	.section	.rodata,"a",@progbits
	.p2align	6, 0x0
	.amdhsa_kernel _ZN7rocprim17ROCPRIM_400000_NS6detail17trampoline_kernelINS0_14default_configENS1_32segmented_reduce_config_selectorIfEEZNS1_21segmented_reduce_implIS3_PKfPfPKlfN6hipcub16HIPCUB_304000_NS6detail27convert_result_type_wrapperIS8_S9_N2at6native12_GLOBAL__N_110CustomProdEEEEE10hipError_tPvRmT0_T1_jT2_SQ_T4_T3_P12ihipStream_tbEUlT_E_NS1_11comp_targetILNS1_3genE10ELNS1_11target_archE1201ELNS1_3gpuE5ELNS1_3repE0EEENS1_30default_config_static_selectorELNS0_4arch9wavefront6targetE0EEEvSP_
		.amdhsa_group_segment_fixed_size 0
		.amdhsa_private_segment_fixed_size 0
		.amdhsa_kernarg_size 48
		.amdhsa_user_sgpr_count 2
		.amdhsa_user_sgpr_dispatch_ptr 0
		.amdhsa_user_sgpr_queue_ptr 0
		.amdhsa_user_sgpr_kernarg_segment_ptr 1
		.amdhsa_user_sgpr_dispatch_id 0
		.amdhsa_user_sgpr_kernarg_preload_length 0
		.amdhsa_user_sgpr_kernarg_preload_offset 0
		.amdhsa_user_sgpr_private_segment_size 0
		.amdhsa_wavefront_size32 1
		.amdhsa_uses_dynamic_stack 0
		.amdhsa_enable_private_segment 0
		.amdhsa_system_sgpr_workgroup_id_x 1
		.amdhsa_system_sgpr_workgroup_id_y 0
		.amdhsa_system_sgpr_workgroup_id_z 0
		.amdhsa_system_sgpr_workgroup_info 0
		.amdhsa_system_vgpr_workitem_id 0
		.amdhsa_next_free_vgpr 1
		.amdhsa_next_free_sgpr 1
		.amdhsa_named_barrier_count 0
		.amdhsa_reserve_vcc 0
		.amdhsa_float_round_mode_32 0
		.amdhsa_float_round_mode_16_64 0
		.amdhsa_float_denorm_mode_32 3
		.amdhsa_float_denorm_mode_16_64 3
		.amdhsa_fp16_overflow 0
		.amdhsa_memory_ordered 1
		.amdhsa_forward_progress 1
		.amdhsa_inst_pref_size 0
		.amdhsa_round_robin_scheduling 0
		.amdhsa_exception_fp_ieee_invalid_op 0
		.amdhsa_exception_fp_denorm_src 0
		.amdhsa_exception_fp_ieee_div_zero 0
		.amdhsa_exception_fp_ieee_overflow 0
		.amdhsa_exception_fp_ieee_underflow 0
		.amdhsa_exception_fp_ieee_inexact 0
		.amdhsa_exception_int_div_zero 0
	.end_amdhsa_kernel
	.section	.text._ZN7rocprim17ROCPRIM_400000_NS6detail17trampoline_kernelINS0_14default_configENS1_32segmented_reduce_config_selectorIfEEZNS1_21segmented_reduce_implIS3_PKfPfPKlfN6hipcub16HIPCUB_304000_NS6detail27convert_result_type_wrapperIS8_S9_N2at6native12_GLOBAL__N_110CustomProdEEEEE10hipError_tPvRmT0_T1_jT2_SQ_T4_T3_P12ihipStream_tbEUlT_E_NS1_11comp_targetILNS1_3genE10ELNS1_11target_archE1201ELNS1_3gpuE5ELNS1_3repE0EEENS1_30default_config_static_selectorELNS0_4arch9wavefront6targetE0EEEvSP_,"axG",@progbits,_ZN7rocprim17ROCPRIM_400000_NS6detail17trampoline_kernelINS0_14default_configENS1_32segmented_reduce_config_selectorIfEEZNS1_21segmented_reduce_implIS3_PKfPfPKlfN6hipcub16HIPCUB_304000_NS6detail27convert_result_type_wrapperIS8_S9_N2at6native12_GLOBAL__N_110CustomProdEEEEE10hipError_tPvRmT0_T1_jT2_SQ_T4_T3_P12ihipStream_tbEUlT_E_NS1_11comp_targetILNS1_3genE10ELNS1_11target_archE1201ELNS1_3gpuE5ELNS1_3repE0EEENS1_30default_config_static_selectorELNS0_4arch9wavefront6targetE0EEEvSP_,comdat
.Lfunc_end206:
	.size	_ZN7rocprim17ROCPRIM_400000_NS6detail17trampoline_kernelINS0_14default_configENS1_32segmented_reduce_config_selectorIfEEZNS1_21segmented_reduce_implIS3_PKfPfPKlfN6hipcub16HIPCUB_304000_NS6detail27convert_result_type_wrapperIS8_S9_N2at6native12_GLOBAL__N_110CustomProdEEEEE10hipError_tPvRmT0_T1_jT2_SQ_T4_T3_P12ihipStream_tbEUlT_E_NS1_11comp_targetILNS1_3genE10ELNS1_11target_archE1201ELNS1_3gpuE5ELNS1_3repE0EEENS1_30default_config_static_selectorELNS0_4arch9wavefront6targetE0EEEvSP_, .Lfunc_end206-_ZN7rocprim17ROCPRIM_400000_NS6detail17trampoline_kernelINS0_14default_configENS1_32segmented_reduce_config_selectorIfEEZNS1_21segmented_reduce_implIS3_PKfPfPKlfN6hipcub16HIPCUB_304000_NS6detail27convert_result_type_wrapperIS8_S9_N2at6native12_GLOBAL__N_110CustomProdEEEEE10hipError_tPvRmT0_T1_jT2_SQ_T4_T3_P12ihipStream_tbEUlT_E_NS1_11comp_targetILNS1_3genE10ELNS1_11target_archE1201ELNS1_3gpuE5ELNS1_3repE0EEENS1_30default_config_static_selectorELNS0_4arch9wavefront6targetE0EEEvSP_
                                        ; -- End function
	.set _ZN7rocprim17ROCPRIM_400000_NS6detail17trampoline_kernelINS0_14default_configENS1_32segmented_reduce_config_selectorIfEEZNS1_21segmented_reduce_implIS3_PKfPfPKlfN6hipcub16HIPCUB_304000_NS6detail27convert_result_type_wrapperIS8_S9_N2at6native12_GLOBAL__N_110CustomProdEEEEE10hipError_tPvRmT0_T1_jT2_SQ_T4_T3_P12ihipStream_tbEUlT_E_NS1_11comp_targetILNS1_3genE10ELNS1_11target_archE1201ELNS1_3gpuE5ELNS1_3repE0EEENS1_30default_config_static_selectorELNS0_4arch9wavefront6targetE0EEEvSP_.num_vgpr, 0
	.set _ZN7rocprim17ROCPRIM_400000_NS6detail17trampoline_kernelINS0_14default_configENS1_32segmented_reduce_config_selectorIfEEZNS1_21segmented_reduce_implIS3_PKfPfPKlfN6hipcub16HIPCUB_304000_NS6detail27convert_result_type_wrapperIS8_S9_N2at6native12_GLOBAL__N_110CustomProdEEEEE10hipError_tPvRmT0_T1_jT2_SQ_T4_T3_P12ihipStream_tbEUlT_E_NS1_11comp_targetILNS1_3genE10ELNS1_11target_archE1201ELNS1_3gpuE5ELNS1_3repE0EEENS1_30default_config_static_selectorELNS0_4arch9wavefront6targetE0EEEvSP_.num_agpr, 0
	.set _ZN7rocprim17ROCPRIM_400000_NS6detail17trampoline_kernelINS0_14default_configENS1_32segmented_reduce_config_selectorIfEEZNS1_21segmented_reduce_implIS3_PKfPfPKlfN6hipcub16HIPCUB_304000_NS6detail27convert_result_type_wrapperIS8_S9_N2at6native12_GLOBAL__N_110CustomProdEEEEE10hipError_tPvRmT0_T1_jT2_SQ_T4_T3_P12ihipStream_tbEUlT_E_NS1_11comp_targetILNS1_3genE10ELNS1_11target_archE1201ELNS1_3gpuE5ELNS1_3repE0EEENS1_30default_config_static_selectorELNS0_4arch9wavefront6targetE0EEEvSP_.numbered_sgpr, 0
	.set _ZN7rocprim17ROCPRIM_400000_NS6detail17trampoline_kernelINS0_14default_configENS1_32segmented_reduce_config_selectorIfEEZNS1_21segmented_reduce_implIS3_PKfPfPKlfN6hipcub16HIPCUB_304000_NS6detail27convert_result_type_wrapperIS8_S9_N2at6native12_GLOBAL__N_110CustomProdEEEEE10hipError_tPvRmT0_T1_jT2_SQ_T4_T3_P12ihipStream_tbEUlT_E_NS1_11comp_targetILNS1_3genE10ELNS1_11target_archE1201ELNS1_3gpuE5ELNS1_3repE0EEENS1_30default_config_static_selectorELNS0_4arch9wavefront6targetE0EEEvSP_.num_named_barrier, 0
	.set _ZN7rocprim17ROCPRIM_400000_NS6detail17trampoline_kernelINS0_14default_configENS1_32segmented_reduce_config_selectorIfEEZNS1_21segmented_reduce_implIS3_PKfPfPKlfN6hipcub16HIPCUB_304000_NS6detail27convert_result_type_wrapperIS8_S9_N2at6native12_GLOBAL__N_110CustomProdEEEEE10hipError_tPvRmT0_T1_jT2_SQ_T4_T3_P12ihipStream_tbEUlT_E_NS1_11comp_targetILNS1_3genE10ELNS1_11target_archE1201ELNS1_3gpuE5ELNS1_3repE0EEENS1_30default_config_static_selectorELNS0_4arch9wavefront6targetE0EEEvSP_.private_seg_size, 0
	.set _ZN7rocprim17ROCPRIM_400000_NS6detail17trampoline_kernelINS0_14default_configENS1_32segmented_reduce_config_selectorIfEEZNS1_21segmented_reduce_implIS3_PKfPfPKlfN6hipcub16HIPCUB_304000_NS6detail27convert_result_type_wrapperIS8_S9_N2at6native12_GLOBAL__N_110CustomProdEEEEE10hipError_tPvRmT0_T1_jT2_SQ_T4_T3_P12ihipStream_tbEUlT_E_NS1_11comp_targetILNS1_3genE10ELNS1_11target_archE1201ELNS1_3gpuE5ELNS1_3repE0EEENS1_30default_config_static_selectorELNS0_4arch9wavefront6targetE0EEEvSP_.uses_vcc, 0
	.set _ZN7rocprim17ROCPRIM_400000_NS6detail17trampoline_kernelINS0_14default_configENS1_32segmented_reduce_config_selectorIfEEZNS1_21segmented_reduce_implIS3_PKfPfPKlfN6hipcub16HIPCUB_304000_NS6detail27convert_result_type_wrapperIS8_S9_N2at6native12_GLOBAL__N_110CustomProdEEEEE10hipError_tPvRmT0_T1_jT2_SQ_T4_T3_P12ihipStream_tbEUlT_E_NS1_11comp_targetILNS1_3genE10ELNS1_11target_archE1201ELNS1_3gpuE5ELNS1_3repE0EEENS1_30default_config_static_selectorELNS0_4arch9wavefront6targetE0EEEvSP_.uses_flat_scratch, 0
	.set _ZN7rocprim17ROCPRIM_400000_NS6detail17trampoline_kernelINS0_14default_configENS1_32segmented_reduce_config_selectorIfEEZNS1_21segmented_reduce_implIS3_PKfPfPKlfN6hipcub16HIPCUB_304000_NS6detail27convert_result_type_wrapperIS8_S9_N2at6native12_GLOBAL__N_110CustomProdEEEEE10hipError_tPvRmT0_T1_jT2_SQ_T4_T3_P12ihipStream_tbEUlT_E_NS1_11comp_targetILNS1_3genE10ELNS1_11target_archE1201ELNS1_3gpuE5ELNS1_3repE0EEENS1_30default_config_static_selectorELNS0_4arch9wavefront6targetE0EEEvSP_.has_dyn_sized_stack, 0
	.set _ZN7rocprim17ROCPRIM_400000_NS6detail17trampoline_kernelINS0_14default_configENS1_32segmented_reduce_config_selectorIfEEZNS1_21segmented_reduce_implIS3_PKfPfPKlfN6hipcub16HIPCUB_304000_NS6detail27convert_result_type_wrapperIS8_S9_N2at6native12_GLOBAL__N_110CustomProdEEEEE10hipError_tPvRmT0_T1_jT2_SQ_T4_T3_P12ihipStream_tbEUlT_E_NS1_11comp_targetILNS1_3genE10ELNS1_11target_archE1201ELNS1_3gpuE5ELNS1_3repE0EEENS1_30default_config_static_selectorELNS0_4arch9wavefront6targetE0EEEvSP_.has_recursion, 0
	.set _ZN7rocprim17ROCPRIM_400000_NS6detail17trampoline_kernelINS0_14default_configENS1_32segmented_reduce_config_selectorIfEEZNS1_21segmented_reduce_implIS3_PKfPfPKlfN6hipcub16HIPCUB_304000_NS6detail27convert_result_type_wrapperIS8_S9_N2at6native12_GLOBAL__N_110CustomProdEEEEE10hipError_tPvRmT0_T1_jT2_SQ_T4_T3_P12ihipStream_tbEUlT_E_NS1_11comp_targetILNS1_3genE10ELNS1_11target_archE1201ELNS1_3gpuE5ELNS1_3repE0EEENS1_30default_config_static_selectorELNS0_4arch9wavefront6targetE0EEEvSP_.has_indirect_call, 0
	.section	.AMDGPU.csdata,"",@progbits
; Kernel info:
; codeLenInByte = 0
; TotalNumSgprs: 0
; NumVgprs: 0
; ScratchSize: 0
; MemoryBound: 0
; FloatMode: 240
; IeeeMode: 1
; LDSByteSize: 0 bytes/workgroup (compile time only)
; SGPRBlocks: 0
; VGPRBlocks: 0
; NumSGPRsForWavesPerEU: 1
; NumVGPRsForWavesPerEU: 1
; NamedBarCnt: 0
; Occupancy: 16
; WaveLimiterHint : 0
; COMPUTE_PGM_RSRC2:SCRATCH_EN: 0
; COMPUTE_PGM_RSRC2:USER_SGPR: 2
; COMPUTE_PGM_RSRC2:TRAP_HANDLER: 0
; COMPUTE_PGM_RSRC2:TGID_X_EN: 1
; COMPUTE_PGM_RSRC2:TGID_Y_EN: 0
; COMPUTE_PGM_RSRC2:TGID_Z_EN: 0
; COMPUTE_PGM_RSRC2:TIDIG_COMP_CNT: 0
	.section	.text._ZN7rocprim17ROCPRIM_400000_NS6detail17trampoline_kernelINS0_14default_configENS1_32segmented_reduce_config_selectorIfEEZNS1_21segmented_reduce_implIS3_PKfPfPKlfN6hipcub16HIPCUB_304000_NS6detail27convert_result_type_wrapperIS8_S9_N2at6native12_GLOBAL__N_110CustomProdEEEEE10hipError_tPvRmT0_T1_jT2_SQ_T4_T3_P12ihipStream_tbEUlT_E_NS1_11comp_targetILNS1_3genE4ELNS1_11target_archE910ELNS1_3gpuE8ELNS1_3repE0EEENS1_30default_config_static_selectorELNS0_4arch9wavefront6targetE0EEEvSP_,"axG",@progbits,_ZN7rocprim17ROCPRIM_400000_NS6detail17trampoline_kernelINS0_14default_configENS1_32segmented_reduce_config_selectorIfEEZNS1_21segmented_reduce_implIS3_PKfPfPKlfN6hipcub16HIPCUB_304000_NS6detail27convert_result_type_wrapperIS8_S9_N2at6native12_GLOBAL__N_110CustomProdEEEEE10hipError_tPvRmT0_T1_jT2_SQ_T4_T3_P12ihipStream_tbEUlT_E_NS1_11comp_targetILNS1_3genE4ELNS1_11target_archE910ELNS1_3gpuE8ELNS1_3repE0EEENS1_30default_config_static_selectorELNS0_4arch9wavefront6targetE0EEEvSP_,comdat
	.globl	_ZN7rocprim17ROCPRIM_400000_NS6detail17trampoline_kernelINS0_14default_configENS1_32segmented_reduce_config_selectorIfEEZNS1_21segmented_reduce_implIS3_PKfPfPKlfN6hipcub16HIPCUB_304000_NS6detail27convert_result_type_wrapperIS8_S9_N2at6native12_GLOBAL__N_110CustomProdEEEEE10hipError_tPvRmT0_T1_jT2_SQ_T4_T3_P12ihipStream_tbEUlT_E_NS1_11comp_targetILNS1_3genE4ELNS1_11target_archE910ELNS1_3gpuE8ELNS1_3repE0EEENS1_30default_config_static_selectorELNS0_4arch9wavefront6targetE0EEEvSP_ ; -- Begin function _ZN7rocprim17ROCPRIM_400000_NS6detail17trampoline_kernelINS0_14default_configENS1_32segmented_reduce_config_selectorIfEEZNS1_21segmented_reduce_implIS3_PKfPfPKlfN6hipcub16HIPCUB_304000_NS6detail27convert_result_type_wrapperIS8_S9_N2at6native12_GLOBAL__N_110CustomProdEEEEE10hipError_tPvRmT0_T1_jT2_SQ_T4_T3_P12ihipStream_tbEUlT_E_NS1_11comp_targetILNS1_3genE4ELNS1_11target_archE910ELNS1_3gpuE8ELNS1_3repE0EEENS1_30default_config_static_selectorELNS0_4arch9wavefront6targetE0EEEvSP_
	.p2align	8
	.type	_ZN7rocprim17ROCPRIM_400000_NS6detail17trampoline_kernelINS0_14default_configENS1_32segmented_reduce_config_selectorIfEEZNS1_21segmented_reduce_implIS3_PKfPfPKlfN6hipcub16HIPCUB_304000_NS6detail27convert_result_type_wrapperIS8_S9_N2at6native12_GLOBAL__N_110CustomProdEEEEE10hipError_tPvRmT0_T1_jT2_SQ_T4_T3_P12ihipStream_tbEUlT_E_NS1_11comp_targetILNS1_3genE4ELNS1_11target_archE910ELNS1_3gpuE8ELNS1_3repE0EEENS1_30default_config_static_selectorELNS0_4arch9wavefront6targetE0EEEvSP_,@function
_ZN7rocprim17ROCPRIM_400000_NS6detail17trampoline_kernelINS0_14default_configENS1_32segmented_reduce_config_selectorIfEEZNS1_21segmented_reduce_implIS3_PKfPfPKlfN6hipcub16HIPCUB_304000_NS6detail27convert_result_type_wrapperIS8_S9_N2at6native12_GLOBAL__N_110CustomProdEEEEE10hipError_tPvRmT0_T1_jT2_SQ_T4_T3_P12ihipStream_tbEUlT_E_NS1_11comp_targetILNS1_3genE4ELNS1_11target_archE910ELNS1_3gpuE8ELNS1_3repE0EEENS1_30default_config_static_selectorELNS0_4arch9wavefront6targetE0EEEvSP_: ; @_ZN7rocprim17ROCPRIM_400000_NS6detail17trampoline_kernelINS0_14default_configENS1_32segmented_reduce_config_selectorIfEEZNS1_21segmented_reduce_implIS3_PKfPfPKlfN6hipcub16HIPCUB_304000_NS6detail27convert_result_type_wrapperIS8_S9_N2at6native12_GLOBAL__N_110CustomProdEEEEE10hipError_tPvRmT0_T1_jT2_SQ_T4_T3_P12ihipStream_tbEUlT_E_NS1_11comp_targetILNS1_3genE4ELNS1_11target_archE910ELNS1_3gpuE8ELNS1_3repE0EEENS1_30default_config_static_selectorELNS0_4arch9wavefront6targetE0EEEvSP_
; %bb.0:
	.section	.rodata,"a",@progbits
	.p2align	6, 0x0
	.amdhsa_kernel _ZN7rocprim17ROCPRIM_400000_NS6detail17trampoline_kernelINS0_14default_configENS1_32segmented_reduce_config_selectorIfEEZNS1_21segmented_reduce_implIS3_PKfPfPKlfN6hipcub16HIPCUB_304000_NS6detail27convert_result_type_wrapperIS8_S9_N2at6native12_GLOBAL__N_110CustomProdEEEEE10hipError_tPvRmT0_T1_jT2_SQ_T4_T3_P12ihipStream_tbEUlT_E_NS1_11comp_targetILNS1_3genE4ELNS1_11target_archE910ELNS1_3gpuE8ELNS1_3repE0EEENS1_30default_config_static_selectorELNS0_4arch9wavefront6targetE0EEEvSP_
		.amdhsa_group_segment_fixed_size 0
		.amdhsa_private_segment_fixed_size 0
		.amdhsa_kernarg_size 48
		.amdhsa_user_sgpr_count 2
		.amdhsa_user_sgpr_dispatch_ptr 0
		.amdhsa_user_sgpr_queue_ptr 0
		.amdhsa_user_sgpr_kernarg_segment_ptr 1
		.amdhsa_user_sgpr_dispatch_id 0
		.amdhsa_user_sgpr_kernarg_preload_length 0
		.amdhsa_user_sgpr_kernarg_preload_offset 0
		.amdhsa_user_sgpr_private_segment_size 0
		.amdhsa_wavefront_size32 1
		.amdhsa_uses_dynamic_stack 0
		.amdhsa_enable_private_segment 0
		.amdhsa_system_sgpr_workgroup_id_x 1
		.amdhsa_system_sgpr_workgroup_id_y 0
		.amdhsa_system_sgpr_workgroup_id_z 0
		.amdhsa_system_sgpr_workgroup_info 0
		.amdhsa_system_vgpr_workitem_id 0
		.amdhsa_next_free_vgpr 1
		.amdhsa_next_free_sgpr 1
		.amdhsa_named_barrier_count 0
		.amdhsa_reserve_vcc 0
		.amdhsa_float_round_mode_32 0
		.amdhsa_float_round_mode_16_64 0
		.amdhsa_float_denorm_mode_32 3
		.amdhsa_float_denorm_mode_16_64 3
		.amdhsa_fp16_overflow 0
		.amdhsa_memory_ordered 1
		.amdhsa_forward_progress 1
		.amdhsa_inst_pref_size 0
		.amdhsa_round_robin_scheduling 0
		.amdhsa_exception_fp_ieee_invalid_op 0
		.amdhsa_exception_fp_denorm_src 0
		.amdhsa_exception_fp_ieee_div_zero 0
		.amdhsa_exception_fp_ieee_overflow 0
		.amdhsa_exception_fp_ieee_underflow 0
		.amdhsa_exception_fp_ieee_inexact 0
		.amdhsa_exception_int_div_zero 0
	.end_amdhsa_kernel
	.section	.text._ZN7rocprim17ROCPRIM_400000_NS6detail17trampoline_kernelINS0_14default_configENS1_32segmented_reduce_config_selectorIfEEZNS1_21segmented_reduce_implIS3_PKfPfPKlfN6hipcub16HIPCUB_304000_NS6detail27convert_result_type_wrapperIS8_S9_N2at6native12_GLOBAL__N_110CustomProdEEEEE10hipError_tPvRmT0_T1_jT2_SQ_T4_T3_P12ihipStream_tbEUlT_E_NS1_11comp_targetILNS1_3genE4ELNS1_11target_archE910ELNS1_3gpuE8ELNS1_3repE0EEENS1_30default_config_static_selectorELNS0_4arch9wavefront6targetE0EEEvSP_,"axG",@progbits,_ZN7rocprim17ROCPRIM_400000_NS6detail17trampoline_kernelINS0_14default_configENS1_32segmented_reduce_config_selectorIfEEZNS1_21segmented_reduce_implIS3_PKfPfPKlfN6hipcub16HIPCUB_304000_NS6detail27convert_result_type_wrapperIS8_S9_N2at6native12_GLOBAL__N_110CustomProdEEEEE10hipError_tPvRmT0_T1_jT2_SQ_T4_T3_P12ihipStream_tbEUlT_E_NS1_11comp_targetILNS1_3genE4ELNS1_11target_archE910ELNS1_3gpuE8ELNS1_3repE0EEENS1_30default_config_static_selectorELNS0_4arch9wavefront6targetE0EEEvSP_,comdat
.Lfunc_end207:
	.size	_ZN7rocprim17ROCPRIM_400000_NS6detail17trampoline_kernelINS0_14default_configENS1_32segmented_reduce_config_selectorIfEEZNS1_21segmented_reduce_implIS3_PKfPfPKlfN6hipcub16HIPCUB_304000_NS6detail27convert_result_type_wrapperIS8_S9_N2at6native12_GLOBAL__N_110CustomProdEEEEE10hipError_tPvRmT0_T1_jT2_SQ_T4_T3_P12ihipStream_tbEUlT_E_NS1_11comp_targetILNS1_3genE4ELNS1_11target_archE910ELNS1_3gpuE8ELNS1_3repE0EEENS1_30default_config_static_selectorELNS0_4arch9wavefront6targetE0EEEvSP_, .Lfunc_end207-_ZN7rocprim17ROCPRIM_400000_NS6detail17trampoline_kernelINS0_14default_configENS1_32segmented_reduce_config_selectorIfEEZNS1_21segmented_reduce_implIS3_PKfPfPKlfN6hipcub16HIPCUB_304000_NS6detail27convert_result_type_wrapperIS8_S9_N2at6native12_GLOBAL__N_110CustomProdEEEEE10hipError_tPvRmT0_T1_jT2_SQ_T4_T3_P12ihipStream_tbEUlT_E_NS1_11comp_targetILNS1_3genE4ELNS1_11target_archE910ELNS1_3gpuE8ELNS1_3repE0EEENS1_30default_config_static_selectorELNS0_4arch9wavefront6targetE0EEEvSP_
                                        ; -- End function
	.set _ZN7rocprim17ROCPRIM_400000_NS6detail17trampoline_kernelINS0_14default_configENS1_32segmented_reduce_config_selectorIfEEZNS1_21segmented_reduce_implIS3_PKfPfPKlfN6hipcub16HIPCUB_304000_NS6detail27convert_result_type_wrapperIS8_S9_N2at6native12_GLOBAL__N_110CustomProdEEEEE10hipError_tPvRmT0_T1_jT2_SQ_T4_T3_P12ihipStream_tbEUlT_E_NS1_11comp_targetILNS1_3genE4ELNS1_11target_archE910ELNS1_3gpuE8ELNS1_3repE0EEENS1_30default_config_static_selectorELNS0_4arch9wavefront6targetE0EEEvSP_.num_vgpr, 0
	.set _ZN7rocprim17ROCPRIM_400000_NS6detail17trampoline_kernelINS0_14default_configENS1_32segmented_reduce_config_selectorIfEEZNS1_21segmented_reduce_implIS3_PKfPfPKlfN6hipcub16HIPCUB_304000_NS6detail27convert_result_type_wrapperIS8_S9_N2at6native12_GLOBAL__N_110CustomProdEEEEE10hipError_tPvRmT0_T1_jT2_SQ_T4_T3_P12ihipStream_tbEUlT_E_NS1_11comp_targetILNS1_3genE4ELNS1_11target_archE910ELNS1_3gpuE8ELNS1_3repE0EEENS1_30default_config_static_selectorELNS0_4arch9wavefront6targetE0EEEvSP_.num_agpr, 0
	.set _ZN7rocprim17ROCPRIM_400000_NS6detail17trampoline_kernelINS0_14default_configENS1_32segmented_reduce_config_selectorIfEEZNS1_21segmented_reduce_implIS3_PKfPfPKlfN6hipcub16HIPCUB_304000_NS6detail27convert_result_type_wrapperIS8_S9_N2at6native12_GLOBAL__N_110CustomProdEEEEE10hipError_tPvRmT0_T1_jT2_SQ_T4_T3_P12ihipStream_tbEUlT_E_NS1_11comp_targetILNS1_3genE4ELNS1_11target_archE910ELNS1_3gpuE8ELNS1_3repE0EEENS1_30default_config_static_selectorELNS0_4arch9wavefront6targetE0EEEvSP_.numbered_sgpr, 0
	.set _ZN7rocprim17ROCPRIM_400000_NS6detail17trampoline_kernelINS0_14default_configENS1_32segmented_reduce_config_selectorIfEEZNS1_21segmented_reduce_implIS3_PKfPfPKlfN6hipcub16HIPCUB_304000_NS6detail27convert_result_type_wrapperIS8_S9_N2at6native12_GLOBAL__N_110CustomProdEEEEE10hipError_tPvRmT0_T1_jT2_SQ_T4_T3_P12ihipStream_tbEUlT_E_NS1_11comp_targetILNS1_3genE4ELNS1_11target_archE910ELNS1_3gpuE8ELNS1_3repE0EEENS1_30default_config_static_selectorELNS0_4arch9wavefront6targetE0EEEvSP_.num_named_barrier, 0
	.set _ZN7rocprim17ROCPRIM_400000_NS6detail17trampoline_kernelINS0_14default_configENS1_32segmented_reduce_config_selectorIfEEZNS1_21segmented_reduce_implIS3_PKfPfPKlfN6hipcub16HIPCUB_304000_NS6detail27convert_result_type_wrapperIS8_S9_N2at6native12_GLOBAL__N_110CustomProdEEEEE10hipError_tPvRmT0_T1_jT2_SQ_T4_T3_P12ihipStream_tbEUlT_E_NS1_11comp_targetILNS1_3genE4ELNS1_11target_archE910ELNS1_3gpuE8ELNS1_3repE0EEENS1_30default_config_static_selectorELNS0_4arch9wavefront6targetE0EEEvSP_.private_seg_size, 0
	.set _ZN7rocprim17ROCPRIM_400000_NS6detail17trampoline_kernelINS0_14default_configENS1_32segmented_reduce_config_selectorIfEEZNS1_21segmented_reduce_implIS3_PKfPfPKlfN6hipcub16HIPCUB_304000_NS6detail27convert_result_type_wrapperIS8_S9_N2at6native12_GLOBAL__N_110CustomProdEEEEE10hipError_tPvRmT0_T1_jT2_SQ_T4_T3_P12ihipStream_tbEUlT_E_NS1_11comp_targetILNS1_3genE4ELNS1_11target_archE910ELNS1_3gpuE8ELNS1_3repE0EEENS1_30default_config_static_selectorELNS0_4arch9wavefront6targetE0EEEvSP_.uses_vcc, 0
	.set _ZN7rocprim17ROCPRIM_400000_NS6detail17trampoline_kernelINS0_14default_configENS1_32segmented_reduce_config_selectorIfEEZNS1_21segmented_reduce_implIS3_PKfPfPKlfN6hipcub16HIPCUB_304000_NS6detail27convert_result_type_wrapperIS8_S9_N2at6native12_GLOBAL__N_110CustomProdEEEEE10hipError_tPvRmT0_T1_jT2_SQ_T4_T3_P12ihipStream_tbEUlT_E_NS1_11comp_targetILNS1_3genE4ELNS1_11target_archE910ELNS1_3gpuE8ELNS1_3repE0EEENS1_30default_config_static_selectorELNS0_4arch9wavefront6targetE0EEEvSP_.uses_flat_scratch, 0
	.set _ZN7rocprim17ROCPRIM_400000_NS6detail17trampoline_kernelINS0_14default_configENS1_32segmented_reduce_config_selectorIfEEZNS1_21segmented_reduce_implIS3_PKfPfPKlfN6hipcub16HIPCUB_304000_NS6detail27convert_result_type_wrapperIS8_S9_N2at6native12_GLOBAL__N_110CustomProdEEEEE10hipError_tPvRmT0_T1_jT2_SQ_T4_T3_P12ihipStream_tbEUlT_E_NS1_11comp_targetILNS1_3genE4ELNS1_11target_archE910ELNS1_3gpuE8ELNS1_3repE0EEENS1_30default_config_static_selectorELNS0_4arch9wavefront6targetE0EEEvSP_.has_dyn_sized_stack, 0
	.set _ZN7rocprim17ROCPRIM_400000_NS6detail17trampoline_kernelINS0_14default_configENS1_32segmented_reduce_config_selectorIfEEZNS1_21segmented_reduce_implIS3_PKfPfPKlfN6hipcub16HIPCUB_304000_NS6detail27convert_result_type_wrapperIS8_S9_N2at6native12_GLOBAL__N_110CustomProdEEEEE10hipError_tPvRmT0_T1_jT2_SQ_T4_T3_P12ihipStream_tbEUlT_E_NS1_11comp_targetILNS1_3genE4ELNS1_11target_archE910ELNS1_3gpuE8ELNS1_3repE0EEENS1_30default_config_static_selectorELNS0_4arch9wavefront6targetE0EEEvSP_.has_recursion, 0
	.set _ZN7rocprim17ROCPRIM_400000_NS6detail17trampoline_kernelINS0_14default_configENS1_32segmented_reduce_config_selectorIfEEZNS1_21segmented_reduce_implIS3_PKfPfPKlfN6hipcub16HIPCUB_304000_NS6detail27convert_result_type_wrapperIS8_S9_N2at6native12_GLOBAL__N_110CustomProdEEEEE10hipError_tPvRmT0_T1_jT2_SQ_T4_T3_P12ihipStream_tbEUlT_E_NS1_11comp_targetILNS1_3genE4ELNS1_11target_archE910ELNS1_3gpuE8ELNS1_3repE0EEENS1_30default_config_static_selectorELNS0_4arch9wavefront6targetE0EEEvSP_.has_indirect_call, 0
	.section	.AMDGPU.csdata,"",@progbits
; Kernel info:
; codeLenInByte = 0
; TotalNumSgprs: 0
; NumVgprs: 0
; ScratchSize: 0
; MemoryBound: 0
; FloatMode: 240
; IeeeMode: 1
; LDSByteSize: 0 bytes/workgroup (compile time only)
; SGPRBlocks: 0
; VGPRBlocks: 0
; NumSGPRsForWavesPerEU: 1
; NumVGPRsForWavesPerEU: 1
; NamedBarCnt: 0
; Occupancy: 16
; WaveLimiterHint : 0
; COMPUTE_PGM_RSRC2:SCRATCH_EN: 0
; COMPUTE_PGM_RSRC2:USER_SGPR: 2
; COMPUTE_PGM_RSRC2:TRAP_HANDLER: 0
; COMPUTE_PGM_RSRC2:TGID_X_EN: 1
; COMPUTE_PGM_RSRC2:TGID_Y_EN: 0
; COMPUTE_PGM_RSRC2:TGID_Z_EN: 0
; COMPUTE_PGM_RSRC2:TIDIG_COMP_CNT: 0
	.section	.text._ZN7rocprim17ROCPRIM_400000_NS6detail17trampoline_kernelINS0_14default_configENS1_32segmented_reduce_config_selectorIfEEZNS1_21segmented_reduce_implIS3_PKfPfPKlfN6hipcub16HIPCUB_304000_NS6detail27convert_result_type_wrapperIS8_S9_N2at6native12_GLOBAL__N_110CustomProdEEEEE10hipError_tPvRmT0_T1_jT2_SQ_T4_T3_P12ihipStream_tbEUlT_E_NS1_11comp_targetILNS1_3genE3ELNS1_11target_archE908ELNS1_3gpuE7ELNS1_3repE0EEENS1_30default_config_static_selectorELNS0_4arch9wavefront6targetE0EEEvSP_,"axG",@progbits,_ZN7rocprim17ROCPRIM_400000_NS6detail17trampoline_kernelINS0_14default_configENS1_32segmented_reduce_config_selectorIfEEZNS1_21segmented_reduce_implIS3_PKfPfPKlfN6hipcub16HIPCUB_304000_NS6detail27convert_result_type_wrapperIS8_S9_N2at6native12_GLOBAL__N_110CustomProdEEEEE10hipError_tPvRmT0_T1_jT2_SQ_T4_T3_P12ihipStream_tbEUlT_E_NS1_11comp_targetILNS1_3genE3ELNS1_11target_archE908ELNS1_3gpuE7ELNS1_3repE0EEENS1_30default_config_static_selectorELNS0_4arch9wavefront6targetE0EEEvSP_,comdat
	.globl	_ZN7rocprim17ROCPRIM_400000_NS6detail17trampoline_kernelINS0_14default_configENS1_32segmented_reduce_config_selectorIfEEZNS1_21segmented_reduce_implIS3_PKfPfPKlfN6hipcub16HIPCUB_304000_NS6detail27convert_result_type_wrapperIS8_S9_N2at6native12_GLOBAL__N_110CustomProdEEEEE10hipError_tPvRmT0_T1_jT2_SQ_T4_T3_P12ihipStream_tbEUlT_E_NS1_11comp_targetILNS1_3genE3ELNS1_11target_archE908ELNS1_3gpuE7ELNS1_3repE0EEENS1_30default_config_static_selectorELNS0_4arch9wavefront6targetE0EEEvSP_ ; -- Begin function _ZN7rocprim17ROCPRIM_400000_NS6detail17trampoline_kernelINS0_14default_configENS1_32segmented_reduce_config_selectorIfEEZNS1_21segmented_reduce_implIS3_PKfPfPKlfN6hipcub16HIPCUB_304000_NS6detail27convert_result_type_wrapperIS8_S9_N2at6native12_GLOBAL__N_110CustomProdEEEEE10hipError_tPvRmT0_T1_jT2_SQ_T4_T3_P12ihipStream_tbEUlT_E_NS1_11comp_targetILNS1_3genE3ELNS1_11target_archE908ELNS1_3gpuE7ELNS1_3repE0EEENS1_30default_config_static_selectorELNS0_4arch9wavefront6targetE0EEEvSP_
	.p2align	8
	.type	_ZN7rocprim17ROCPRIM_400000_NS6detail17trampoline_kernelINS0_14default_configENS1_32segmented_reduce_config_selectorIfEEZNS1_21segmented_reduce_implIS3_PKfPfPKlfN6hipcub16HIPCUB_304000_NS6detail27convert_result_type_wrapperIS8_S9_N2at6native12_GLOBAL__N_110CustomProdEEEEE10hipError_tPvRmT0_T1_jT2_SQ_T4_T3_P12ihipStream_tbEUlT_E_NS1_11comp_targetILNS1_3genE3ELNS1_11target_archE908ELNS1_3gpuE7ELNS1_3repE0EEENS1_30default_config_static_selectorELNS0_4arch9wavefront6targetE0EEEvSP_,@function
_ZN7rocprim17ROCPRIM_400000_NS6detail17trampoline_kernelINS0_14default_configENS1_32segmented_reduce_config_selectorIfEEZNS1_21segmented_reduce_implIS3_PKfPfPKlfN6hipcub16HIPCUB_304000_NS6detail27convert_result_type_wrapperIS8_S9_N2at6native12_GLOBAL__N_110CustomProdEEEEE10hipError_tPvRmT0_T1_jT2_SQ_T4_T3_P12ihipStream_tbEUlT_E_NS1_11comp_targetILNS1_3genE3ELNS1_11target_archE908ELNS1_3gpuE7ELNS1_3repE0EEENS1_30default_config_static_selectorELNS0_4arch9wavefront6targetE0EEEvSP_: ; @_ZN7rocprim17ROCPRIM_400000_NS6detail17trampoline_kernelINS0_14default_configENS1_32segmented_reduce_config_selectorIfEEZNS1_21segmented_reduce_implIS3_PKfPfPKlfN6hipcub16HIPCUB_304000_NS6detail27convert_result_type_wrapperIS8_S9_N2at6native12_GLOBAL__N_110CustomProdEEEEE10hipError_tPvRmT0_T1_jT2_SQ_T4_T3_P12ihipStream_tbEUlT_E_NS1_11comp_targetILNS1_3genE3ELNS1_11target_archE908ELNS1_3gpuE7ELNS1_3repE0EEENS1_30default_config_static_selectorELNS0_4arch9wavefront6targetE0EEEvSP_
; %bb.0:
	.section	.rodata,"a",@progbits
	.p2align	6, 0x0
	.amdhsa_kernel _ZN7rocprim17ROCPRIM_400000_NS6detail17trampoline_kernelINS0_14default_configENS1_32segmented_reduce_config_selectorIfEEZNS1_21segmented_reduce_implIS3_PKfPfPKlfN6hipcub16HIPCUB_304000_NS6detail27convert_result_type_wrapperIS8_S9_N2at6native12_GLOBAL__N_110CustomProdEEEEE10hipError_tPvRmT0_T1_jT2_SQ_T4_T3_P12ihipStream_tbEUlT_E_NS1_11comp_targetILNS1_3genE3ELNS1_11target_archE908ELNS1_3gpuE7ELNS1_3repE0EEENS1_30default_config_static_selectorELNS0_4arch9wavefront6targetE0EEEvSP_
		.amdhsa_group_segment_fixed_size 0
		.amdhsa_private_segment_fixed_size 0
		.amdhsa_kernarg_size 48
		.amdhsa_user_sgpr_count 2
		.amdhsa_user_sgpr_dispatch_ptr 0
		.amdhsa_user_sgpr_queue_ptr 0
		.amdhsa_user_sgpr_kernarg_segment_ptr 1
		.amdhsa_user_sgpr_dispatch_id 0
		.amdhsa_user_sgpr_kernarg_preload_length 0
		.amdhsa_user_sgpr_kernarg_preload_offset 0
		.amdhsa_user_sgpr_private_segment_size 0
		.amdhsa_wavefront_size32 1
		.amdhsa_uses_dynamic_stack 0
		.amdhsa_enable_private_segment 0
		.amdhsa_system_sgpr_workgroup_id_x 1
		.amdhsa_system_sgpr_workgroup_id_y 0
		.amdhsa_system_sgpr_workgroup_id_z 0
		.amdhsa_system_sgpr_workgroup_info 0
		.amdhsa_system_vgpr_workitem_id 0
		.amdhsa_next_free_vgpr 1
		.amdhsa_next_free_sgpr 1
		.amdhsa_named_barrier_count 0
		.amdhsa_reserve_vcc 0
		.amdhsa_float_round_mode_32 0
		.amdhsa_float_round_mode_16_64 0
		.amdhsa_float_denorm_mode_32 3
		.amdhsa_float_denorm_mode_16_64 3
		.amdhsa_fp16_overflow 0
		.amdhsa_memory_ordered 1
		.amdhsa_forward_progress 1
		.amdhsa_inst_pref_size 0
		.amdhsa_round_robin_scheduling 0
		.amdhsa_exception_fp_ieee_invalid_op 0
		.amdhsa_exception_fp_denorm_src 0
		.amdhsa_exception_fp_ieee_div_zero 0
		.amdhsa_exception_fp_ieee_overflow 0
		.amdhsa_exception_fp_ieee_underflow 0
		.amdhsa_exception_fp_ieee_inexact 0
		.amdhsa_exception_int_div_zero 0
	.end_amdhsa_kernel
	.section	.text._ZN7rocprim17ROCPRIM_400000_NS6detail17trampoline_kernelINS0_14default_configENS1_32segmented_reduce_config_selectorIfEEZNS1_21segmented_reduce_implIS3_PKfPfPKlfN6hipcub16HIPCUB_304000_NS6detail27convert_result_type_wrapperIS8_S9_N2at6native12_GLOBAL__N_110CustomProdEEEEE10hipError_tPvRmT0_T1_jT2_SQ_T4_T3_P12ihipStream_tbEUlT_E_NS1_11comp_targetILNS1_3genE3ELNS1_11target_archE908ELNS1_3gpuE7ELNS1_3repE0EEENS1_30default_config_static_selectorELNS0_4arch9wavefront6targetE0EEEvSP_,"axG",@progbits,_ZN7rocprim17ROCPRIM_400000_NS6detail17trampoline_kernelINS0_14default_configENS1_32segmented_reduce_config_selectorIfEEZNS1_21segmented_reduce_implIS3_PKfPfPKlfN6hipcub16HIPCUB_304000_NS6detail27convert_result_type_wrapperIS8_S9_N2at6native12_GLOBAL__N_110CustomProdEEEEE10hipError_tPvRmT0_T1_jT2_SQ_T4_T3_P12ihipStream_tbEUlT_E_NS1_11comp_targetILNS1_3genE3ELNS1_11target_archE908ELNS1_3gpuE7ELNS1_3repE0EEENS1_30default_config_static_selectorELNS0_4arch9wavefront6targetE0EEEvSP_,comdat
.Lfunc_end208:
	.size	_ZN7rocprim17ROCPRIM_400000_NS6detail17trampoline_kernelINS0_14default_configENS1_32segmented_reduce_config_selectorIfEEZNS1_21segmented_reduce_implIS3_PKfPfPKlfN6hipcub16HIPCUB_304000_NS6detail27convert_result_type_wrapperIS8_S9_N2at6native12_GLOBAL__N_110CustomProdEEEEE10hipError_tPvRmT0_T1_jT2_SQ_T4_T3_P12ihipStream_tbEUlT_E_NS1_11comp_targetILNS1_3genE3ELNS1_11target_archE908ELNS1_3gpuE7ELNS1_3repE0EEENS1_30default_config_static_selectorELNS0_4arch9wavefront6targetE0EEEvSP_, .Lfunc_end208-_ZN7rocprim17ROCPRIM_400000_NS6detail17trampoline_kernelINS0_14default_configENS1_32segmented_reduce_config_selectorIfEEZNS1_21segmented_reduce_implIS3_PKfPfPKlfN6hipcub16HIPCUB_304000_NS6detail27convert_result_type_wrapperIS8_S9_N2at6native12_GLOBAL__N_110CustomProdEEEEE10hipError_tPvRmT0_T1_jT2_SQ_T4_T3_P12ihipStream_tbEUlT_E_NS1_11comp_targetILNS1_3genE3ELNS1_11target_archE908ELNS1_3gpuE7ELNS1_3repE0EEENS1_30default_config_static_selectorELNS0_4arch9wavefront6targetE0EEEvSP_
                                        ; -- End function
	.set _ZN7rocprim17ROCPRIM_400000_NS6detail17trampoline_kernelINS0_14default_configENS1_32segmented_reduce_config_selectorIfEEZNS1_21segmented_reduce_implIS3_PKfPfPKlfN6hipcub16HIPCUB_304000_NS6detail27convert_result_type_wrapperIS8_S9_N2at6native12_GLOBAL__N_110CustomProdEEEEE10hipError_tPvRmT0_T1_jT2_SQ_T4_T3_P12ihipStream_tbEUlT_E_NS1_11comp_targetILNS1_3genE3ELNS1_11target_archE908ELNS1_3gpuE7ELNS1_3repE0EEENS1_30default_config_static_selectorELNS0_4arch9wavefront6targetE0EEEvSP_.num_vgpr, 0
	.set _ZN7rocprim17ROCPRIM_400000_NS6detail17trampoline_kernelINS0_14default_configENS1_32segmented_reduce_config_selectorIfEEZNS1_21segmented_reduce_implIS3_PKfPfPKlfN6hipcub16HIPCUB_304000_NS6detail27convert_result_type_wrapperIS8_S9_N2at6native12_GLOBAL__N_110CustomProdEEEEE10hipError_tPvRmT0_T1_jT2_SQ_T4_T3_P12ihipStream_tbEUlT_E_NS1_11comp_targetILNS1_3genE3ELNS1_11target_archE908ELNS1_3gpuE7ELNS1_3repE0EEENS1_30default_config_static_selectorELNS0_4arch9wavefront6targetE0EEEvSP_.num_agpr, 0
	.set _ZN7rocprim17ROCPRIM_400000_NS6detail17trampoline_kernelINS0_14default_configENS1_32segmented_reduce_config_selectorIfEEZNS1_21segmented_reduce_implIS3_PKfPfPKlfN6hipcub16HIPCUB_304000_NS6detail27convert_result_type_wrapperIS8_S9_N2at6native12_GLOBAL__N_110CustomProdEEEEE10hipError_tPvRmT0_T1_jT2_SQ_T4_T3_P12ihipStream_tbEUlT_E_NS1_11comp_targetILNS1_3genE3ELNS1_11target_archE908ELNS1_3gpuE7ELNS1_3repE0EEENS1_30default_config_static_selectorELNS0_4arch9wavefront6targetE0EEEvSP_.numbered_sgpr, 0
	.set _ZN7rocprim17ROCPRIM_400000_NS6detail17trampoline_kernelINS0_14default_configENS1_32segmented_reduce_config_selectorIfEEZNS1_21segmented_reduce_implIS3_PKfPfPKlfN6hipcub16HIPCUB_304000_NS6detail27convert_result_type_wrapperIS8_S9_N2at6native12_GLOBAL__N_110CustomProdEEEEE10hipError_tPvRmT0_T1_jT2_SQ_T4_T3_P12ihipStream_tbEUlT_E_NS1_11comp_targetILNS1_3genE3ELNS1_11target_archE908ELNS1_3gpuE7ELNS1_3repE0EEENS1_30default_config_static_selectorELNS0_4arch9wavefront6targetE0EEEvSP_.num_named_barrier, 0
	.set _ZN7rocprim17ROCPRIM_400000_NS6detail17trampoline_kernelINS0_14default_configENS1_32segmented_reduce_config_selectorIfEEZNS1_21segmented_reduce_implIS3_PKfPfPKlfN6hipcub16HIPCUB_304000_NS6detail27convert_result_type_wrapperIS8_S9_N2at6native12_GLOBAL__N_110CustomProdEEEEE10hipError_tPvRmT0_T1_jT2_SQ_T4_T3_P12ihipStream_tbEUlT_E_NS1_11comp_targetILNS1_3genE3ELNS1_11target_archE908ELNS1_3gpuE7ELNS1_3repE0EEENS1_30default_config_static_selectorELNS0_4arch9wavefront6targetE0EEEvSP_.private_seg_size, 0
	.set _ZN7rocprim17ROCPRIM_400000_NS6detail17trampoline_kernelINS0_14default_configENS1_32segmented_reduce_config_selectorIfEEZNS1_21segmented_reduce_implIS3_PKfPfPKlfN6hipcub16HIPCUB_304000_NS6detail27convert_result_type_wrapperIS8_S9_N2at6native12_GLOBAL__N_110CustomProdEEEEE10hipError_tPvRmT0_T1_jT2_SQ_T4_T3_P12ihipStream_tbEUlT_E_NS1_11comp_targetILNS1_3genE3ELNS1_11target_archE908ELNS1_3gpuE7ELNS1_3repE0EEENS1_30default_config_static_selectorELNS0_4arch9wavefront6targetE0EEEvSP_.uses_vcc, 0
	.set _ZN7rocprim17ROCPRIM_400000_NS6detail17trampoline_kernelINS0_14default_configENS1_32segmented_reduce_config_selectorIfEEZNS1_21segmented_reduce_implIS3_PKfPfPKlfN6hipcub16HIPCUB_304000_NS6detail27convert_result_type_wrapperIS8_S9_N2at6native12_GLOBAL__N_110CustomProdEEEEE10hipError_tPvRmT0_T1_jT2_SQ_T4_T3_P12ihipStream_tbEUlT_E_NS1_11comp_targetILNS1_3genE3ELNS1_11target_archE908ELNS1_3gpuE7ELNS1_3repE0EEENS1_30default_config_static_selectorELNS0_4arch9wavefront6targetE0EEEvSP_.uses_flat_scratch, 0
	.set _ZN7rocprim17ROCPRIM_400000_NS6detail17trampoline_kernelINS0_14default_configENS1_32segmented_reduce_config_selectorIfEEZNS1_21segmented_reduce_implIS3_PKfPfPKlfN6hipcub16HIPCUB_304000_NS6detail27convert_result_type_wrapperIS8_S9_N2at6native12_GLOBAL__N_110CustomProdEEEEE10hipError_tPvRmT0_T1_jT2_SQ_T4_T3_P12ihipStream_tbEUlT_E_NS1_11comp_targetILNS1_3genE3ELNS1_11target_archE908ELNS1_3gpuE7ELNS1_3repE0EEENS1_30default_config_static_selectorELNS0_4arch9wavefront6targetE0EEEvSP_.has_dyn_sized_stack, 0
	.set _ZN7rocprim17ROCPRIM_400000_NS6detail17trampoline_kernelINS0_14default_configENS1_32segmented_reduce_config_selectorIfEEZNS1_21segmented_reduce_implIS3_PKfPfPKlfN6hipcub16HIPCUB_304000_NS6detail27convert_result_type_wrapperIS8_S9_N2at6native12_GLOBAL__N_110CustomProdEEEEE10hipError_tPvRmT0_T1_jT2_SQ_T4_T3_P12ihipStream_tbEUlT_E_NS1_11comp_targetILNS1_3genE3ELNS1_11target_archE908ELNS1_3gpuE7ELNS1_3repE0EEENS1_30default_config_static_selectorELNS0_4arch9wavefront6targetE0EEEvSP_.has_recursion, 0
	.set _ZN7rocprim17ROCPRIM_400000_NS6detail17trampoline_kernelINS0_14default_configENS1_32segmented_reduce_config_selectorIfEEZNS1_21segmented_reduce_implIS3_PKfPfPKlfN6hipcub16HIPCUB_304000_NS6detail27convert_result_type_wrapperIS8_S9_N2at6native12_GLOBAL__N_110CustomProdEEEEE10hipError_tPvRmT0_T1_jT2_SQ_T4_T3_P12ihipStream_tbEUlT_E_NS1_11comp_targetILNS1_3genE3ELNS1_11target_archE908ELNS1_3gpuE7ELNS1_3repE0EEENS1_30default_config_static_selectorELNS0_4arch9wavefront6targetE0EEEvSP_.has_indirect_call, 0
	.section	.AMDGPU.csdata,"",@progbits
; Kernel info:
; codeLenInByte = 0
; TotalNumSgprs: 0
; NumVgprs: 0
; ScratchSize: 0
; MemoryBound: 0
; FloatMode: 240
; IeeeMode: 1
; LDSByteSize: 0 bytes/workgroup (compile time only)
; SGPRBlocks: 0
; VGPRBlocks: 0
; NumSGPRsForWavesPerEU: 1
; NumVGPRsForWavesPerEU: 1
; NamedBarCnt: 0
; Occupancy: 16
; WaveLimiterHint : 0
; COMPUTE_PGM_RSRC2:SCRATCH_EN: 0
; COMPUTE_PGM_RSRC2:USER_SGPR: 2
; COMPUTE_PGM_RSRC2:TRAP_HANDLER: 0
; COMPUTE_PGM_RSRC2:TGID_X_EN: 1
; COMPUTE_PGM_RSRC2:TGID_Y_EN: 0
; COMPUTE_PGM_RSRC2:TGID_Z_EN: 0
; COMPUTE_PGM_RSRC2:TIDIG_COMP_CNT: 0
	.section	.text._ZN7rocprim17ROCPRIM_400000_NS6detail17trampoline_kernelINS0_14default_configENS1_32segmented_reduce_config_selectorIfEEZNS1_21segmented_reduce_implIS3_PKfPfPKlfN6hipcub16HIPCUB_304000_NS6detail27convert_result_type_wrapperIS8_S9_N2at6native12_GLOBAL__N_110CustomProdEEEEE10hipError_tPvRmT0_T1_jT2_SQ_T4_T3_P12ihipStream_tbEUlT_E_NS1_11comp_targetILNS1_3genE2ELNS1_11target_archE906ELNS1_3gpuE6ELNS1_3repE0EEENS1_30default_config_static_selectorELNS0_4arch9wavefront6targetE0EEEvSP_,"axG",@progbits,_ZN7rocprim17ROCPRIM_400000_NS6detail17trampoline_kernelINS0_14default_configENS1_32segmented_reduce_config_selectorIfEEZNS1_21segmented_reduce_implIS3_PKfPfPKlfN6hipcub16HIPCUB_304000_NS6detail27convert_result_type_wrapperIS8_S9_N2at6native12_GLOBAL__N_110CustomProdEEEEE10hipError_tPvRmT0_T1_jT2_SQ_T4_T3_P12ihipStream_tbEUlT_E_NS1_11comp_targetILNS1_3genE2ELNS1_11target_archE906ELNS1_3gpuE6ELNS1_3repE0EEENS1_30default_config_static_selectorELNS0_4arch9wavefront6targetE0EEEvSP_,comdat
	.globl	_ZN7rocprim17ROCPRIM_400000_NS6detail17trampoline_kernelINS0_14default_configENS1_32segmented_reduce_config_selectorIfEEZNS1_21segmented_reduce_implIS3_PKfPfPKlfN6hipcub16HIPCUB_304000_NS6detail27convert_result_type_wrapperIS8_S9_N2at6native12_GLOBAL__N_110CustomProdEEEEE10hipError_tPvRmT0_T1_jT2_SQ_T4_T3_P12ihipStream_tbEUlT_E_NS1_11comp_targetILNS1_3genE2ELNS1_11target_archE906ELNS1_3gpuE6ELNS1_3repE0EEENS1_30default_config_static_selectorELNS0_4arch9wavefront6targetE0EEEvSP_ ; -- Begin function _ZN7rocprim17ROCPRIM_400000_NS6detail17trampoline_kernelINS0_14default_configENS1_32segmented_reduce_config_selectorIfEEZNS1_21segmented_reduce_implIS3_PKfPfPKlfN6hipcub16HIPCUB_304000_NS6detail27convert_result_type_wrapperIS8_S9_N2at6native12_GLOBAL__N_110CustomProdEEEEE10hipError_tPvRmT0_T1_jT2_SQ_T4_T3_P12ihipStream_tbEUlT_E_NS1_11comp_targetILNS1_3genE2ELNS1_11target_archE906ELNS1_3gpuE6ELNS1_3repE0EEENS1_30default_config_static_selectorELNS0_4arch9wavefront6targetE0EEEvSP_
	.p2align	8
	.type	_ZN7rocprim17ROCPRIM_400000_NS6detail17trampoline_kernelINS0_14default_configENS1_32segmented_reduce_config_selectorIfEEZNS1_21segmented_reduce_implIS3_PKfPfPKlfN6hipcub16HIPCUB_304000_NS6detail27convert_result_type_wrapperIS8_S9_N2at6native12_GLOBAL__N_110CustomProdEEEEE10hipError_tPvRmT0_T1_jT2_SQ_T4_T3_P12ihipStream_tbEUlT_E_NS1_11comp_targetILNS1_3genE2ELNS1_11target_archE906ELNS1_3gpuE6ELNS1_3repE0EEENS1_30default_config_static_selectorELNS0_4arch9wavefront6targetE0EEEvSP_,@function
_ZN7rocprim17ROCPRIM_400000_NS6detail17trampoline_kernelINS0_14default_configENS1_32segmented_reduce_config_selectorIfEEZNS1_21segmented_reduce_implIS3_PKfPfPKlfN6hipcub16HIPCUB_304000_NS6detail27convert_result_type_wrapperIS8_S9_N2at6native12_GLOBAL__N_110CustomProdEEEEE10hipError_tPvRmT0_T1_jT2_SQ_T4_T3_P12ihipStream_tbEUlT_E_NS1_11comp_targetILNS1_3genE2ELNS1_11target_archE906ELNS1_3gpuE6ELNS1_3repE0EEENS1_30default_config_static_selectorELNS0_4arch9wavefront6targetE0EEEvSP_: ; @_ZN7rocprim17ROCPRIM_400000_NS6detail17trampoline_kernelINS0_14default_configENS1_32segmented_reduce_config_selectorIfEEZNS1_21segmented_reduce_implIS3_PKfPfPKlfN6hipcub16HIPCUB_304000_NS6detail27convert_result_type_wrapperIS8_S9_N2at6native12_GLOBAL__N_110CustomProdEEEEE10hipError_tPvRmT0_T1_jT2_SQ_T4_T3_P12ihipStream_tbEUlT_E_NS1_11comp_targetILNS1_3genE2ELNS1_11target_archE906ELNS1_3gpuE6ELNS1_3repE0EEENS1_30default_config_static_selectorELNS0_4arch9wavefront6targetE0EEEvSP_
; %bb.0:
	.section	.rodata,"a",@progbits
	.p2align	6, 0x0
	.amdhsa_kernel _ZN7rocprim17ROCPRIM_400000_NS6detail17trampoline_kernelINS0_14default_configENS1_32segmented_reduce_config_selectorIfEEZNS1_21segmented_reduce_implIS3_PKfPfPKlfN6hipcub16HIPCUB_304000_NS6detail27convert_result_type_wrapperIS8_S9_N2at6native12_GLOBAL__N_110CustomProdEEEEE10hipError_tPvRmT0_T1_jT2_SQ_T4_T3_P12ihipStream_tbEUlT_E_NS1_11comp_targetILNS1_3genE2ELNS1_11target_archE906ELNS1_3gpuE6ELNS1_3repE0EEENS1_30default_config_static_selectorELNS0_4arch9wavefront6targetE0EEEvSP_
		.amdhsa_group_segment_fixed_size 0
		.amdhsa_private_segment_fixed_size 0
		.amdhsa_kernarg_size 48
		.amdhsa_user_sgpr_count 2
		.amdhsa_user_sgpr_dispatch_ptr 0
		.amdhsa_user_sgpr_queue_ptr 0
		.amdhsa_user_sgpr_kernarg_segment_ptr 1
		.amdhsa_user_sgpr_dispatch_id 0
		.amdhsa_user_sgpr_kernarg_preload_length 0
		.amdhsa_user_sgpr_kernarg_preload_offset 0
		.amdhsa_user_sgpr_private_segment_size 0
		.amdhsa_wavefront_size32 1
		.amdhsa_uses_dynamic_stack 0
		.amdhsa_enable_private_segment 0
		.amdhsa_system_sgpr_workgroup_id_x 1
		.amdhsa_system_sgpr_workgroup_id_y 0
		.amdhsa_system_sgpr_workgroup_id_z 0
		.amdhsa_system_sgpr_workgroup_info 0
		.amdhsa_system_vgpr_workitem_id 0
		.amdhsa_next_free_vgpr 1
		.amdhsa_next_free_sgpr 1
		.amdhsa_named_barrier_count 0
		.amdhsa_reserve_vcc 0
		.amdhsa_float_round_mode_32 0
		.amdhsa_float_round_mode_16_64 0
		.amdhsa_float_denorm_mode_32 3
		.amdhsa_float_denorm_mode_16_64 3
		.amdhsa_fp16_overflow 0
		.amdhsa_memory_ordered 1
		.amdhsa_forward_progress 1
		.amdhsa_inst_pref_size 0
		.amdhsa_round_robin_scheduling 0
		.amdhsa_exception_fp_ieee_invalid_op 0
		.amdhsa_exception_fp_denorm_src 0
		.amdhsa_exception_fp_ieee_div_zero 0
		.amdhsa_exception_fp_ieee_overflow 0
		.amdhsa_exception_fp_ieee_underflow 0
		.amdhsa_exception_fp_ieee_inexact 0
		.amdhsa_exception_int_div_zero 0
	.end_amdhsa_kernel
	.section	.text._ZN7rocprim17ROCPRIM_400000_NS6detail17trampoline_kernelINS0_14default_configENS1_32segmented_reduce_config_selectorIfEEZNS1_21segmented_reduce_implIS3_PKfPfPKlfN6hipcub16HIPCUB_304000_NS6detail27convert_result_type_wrapperIS8_S9_N2at6native12_GLOBAL__N_110CustomProdEEEEE10hipError_tPvRmT0_T1_jT2_SQ_T4_T3_P12ihipStream_tbEUlT_E_NS1_11comp_targetILNS1_3genE2ELNS1_11target_archE906ELNS1_3gpuE6ELNS1_3repE0EEENS1_30default_config_static_selectorELNS0_4arch9wavefront6targetE0EEEvSP_,"axG",@progbits,_ZN7rocprim17ROCPRIM_400000_NS6detail17trampoline_kernelINS0_14default_configENS1_32segmented_reduce_config_selectorIfEEZNS1_21segmented_reduce_implIS3_PKfPfPKlfN6hipcub16HIPCUB_304000_NS6detail27convert_result_type_wrapperIS8_S9_N2at6native12_GLOBAL__N_110CustomProdEEEEE10hipError_tPvRmT0_T1_jT2_SQ_T4_T3_P12ihipStream_tbEUlT_E_NS1_11comp_targetILNS1_3genE2ELNS1_11target_archE906ELNS1_3gpuE6ELNS1_3repE0EEENS1_30default_config_static_selectorELNS0_4arch9wavefront6targetE0EEEvSP_,comdat
.Lfunc_end209:
	.size	_ZN7rocprim17ROCPRIM_400000_NS6detail17trampoline_kernelINS0_14default_configENS1_32segmented_reduce_config_selectorIfEEZNS1_21segmented_reduce_implIS3_PKfPfPKlfN6hipcub16HIPCUB_304000_NS6detail27convert_result_type_wrapperIS8_S9_N2at6native12_GLOBAL__N_110CustomProdEEEEE10hipError_tPvRmT0_T1_jT2_SQ_T4_T3_P12ihipStream_tbEUlT_E_NS1_11comp_targetILNS1_3genE2ELNS1_11target_archE906ELNS1_3gpuE6ELNS1_3repE0EEENS1_30default_config_static_selectorELNS0_4arch9wavefront6targetE0EEEvSP_, .Lfunc_end209-_ZN7rocprim17ROCPRIM_400000_NS6detail17trampoline_kernelINS0_14default_configENS1_32segmented_reduce_config_selectorIfEEZNS1_21segmented_reduce_implIS3_PKfPfPKlfN6hipcub16HIPCUB_304000_NS6detail27convert_result_type_wrapperIS8_S9_N2at6native12_GLOBAL__N_110CustomProdEEEEE10hipError_tPvRmT0_T1_jT2_SQ_T4_T3_P12ihipStream_tbEUlT_E_NS1_11comp_targetILNS1_3genE2ELNS1_11target_archE906ELNS1_3gpuE6ELNS1_3repE0EEENS1_30default_config_static_selectorELNS0_4arch9wavefront6targetE0EEEvSP_
                                        ; -- End function
	.set _ZN7rocprim17ROCPRIM_400000_NS6detail17trampoline_kernelINS0_14default_configENS1_32segmented_reduce_config_selectorIfEEZNS1_21segmented_reduce_implIS3_PKfPfPKlfN6hipcub16HIPCUB_304000_NS6detail27convert_result_type_wrapperIS8_S9_N2at6native12_GLOBAL__N_110CustomProdEEEEE10hipError_tPvRmT0_T1_jT2_SQ_T4_T3_P12ihipStream_tbEUlT_E_NS1_11comp_targetILNS1_3genE2ELNS1_11target_archE906ELNS1_3gpuE6ELNS1_3repE0EEENS1_30default_config_static_selectorELNS0_4arch9wavefront6targetE0EEEvSP_.num_vgpr, 0
	.set _ZN7rocprim17ROCPRIM_400000_NS6detail17trampoline_kernelINS0_14default_configENS1_32segmented_reduce_config_selectorIfEEZNS1_21segmented_reduce_implIS3_PKfPfPKlfN6hipcub16HIPCUB_304000_NS6detail27convert_result_type_wrapperIS8_S9_N2at6native12_GLOBAL__N_110CustomProdEEEEE10hipError_tPvRmT0_T1_jT2_SQ_T4_T3_P12ihipStream_tbEUlT_E_NS1_11comp_targetILNS1_3genE2ELNS1_11target_archE906ELNS1_3gpuE6ELNS1_3repE0EEENS1_30default_config_static_selectorELNS0_4arch9wavefront6targetE0EEEvSP_.num_agpr, 0
	.set _ZN7rocprim17ROCPRIM_400000_NS6detail17trampoline_kernelINS0_14default_configENS1_32segmented_reduce_config_selectorIfEEZNS1_21segmented_reduce_implIS3_PKfPfPKlfN6hipcub16HIPCUB_304000_NS6detail27convert_result_type_wrapperIS8_S9_N2at6native12_GLOBAL__N_110CustomProdEEEEE10hipError_tPvRmT0_T1_jT2_SQ_T4_T3_P12ihipStream_tbEUlT_E_NS1_11comp_targetILNS1_3genE2ELNS1_11target_archE906ELNS1_3gpuE6ELNS1_3repE0EEENS1_30default_config_static_selectorELNS0_4arch9wavefront6targetE0EEEvSP_.numbered_sgpr, 0
	.set _ZN7rocprim17ROCPRIM_400000_NS6detail17trampoline_kernelINS0_14default_configENS1_32segmented_reduce_config_selectorIfEEZNS1_21segmented_reduce_implIS3_PKfPfPKlfN6hipcub16HIPCUB_304000_NS6detail27convert_result_type_wrapperIS8_S9_N2at6native12_GLOBAL__N_110CustomProdEEEEE10hipError_tPvRmT0_T1_jT2_SQ_T4_T3_P12ihipStream_tbEUlT_E_NS1_11comp_targetILNS1_3genE2ELNS1_11target_archE906ELNS1_3gpuE6ELNS1_3repE0EEENS1_30default_config_static_selectorELNS0_4arch9wavefront6targetE0EEEvSP_.num_named_barrier, 0
	.set _ZN7rocprim17ROCPRIM_400000_NS6detail17trampoline_kernelINS0_14default_configENS1_32segmented_reduce_config_selectorIfEEZNS1_21segmented_reduce_implIS3_PKfPfPKlfN6hipcub16HIPCUB_304000_NS6detail27convert_result_type_wrapperIS8_S9_N2at6native12_GLOBAL__N_110CustomProdEEEEE10hipError_tPvRmT0_T1_jT2_SQ_T4_T3_P12ihipStream_tbEUlT_E_NS1_11comp_targetILNS1_3genE2ELNS1_11target_archE906ELNS1_3gpuE6ELNS1_3repE0EEENS1_30default_config_static_selectorELNS0_4arch9wavefront6targetE0EEEvSP_.private_seg_size, 0
	.set _ZN7rocprim17ROCPRIM_400000_NS6detail17trampoline_kernelINS0_14default_configENS1_32segmented_reduce_config_selectorIfEEZNS1_21segmented_reduce_implIS3_PKfPfPKlfN6hipcub16HIPCUB_304000_NS6detail27convert_result_type_wrapperIS8_S9_N2at6native12_GLOBAL__N_110CustomProdEEEEE10hipError_tPvRmT0_T1_jT2_SQ_T4_T3_P12ihipStream_tbEUlT_E_NS1_11comp_targetILNS1_3genE2ELNS1_11target_archE906ELNS1_3gpuE6ELNS1_3repE0EEENS1_30default_config_static_selectorELNS0_4arch9wavefront6targetE0EEEvSP_.uses_vcc, 0
	.set _ZN7rocprim17ROCPRIM_400000_NS6detail17trampoline_kernelINS0_14default_configENS1_32segmented_reduce_config_selectorIfEEZNS1_21segmented_reduce_implIS3_PKfPfPKlfN6hipcub16HIPCUB_304000_NS6detail27convert_result_type_wrapperIS8_S9_N2at6native12_GLOBAL__N_110CustomProdEEEEE10hipError_tPvRmT0_T1_jT2_SQ_T4_T3_P12ihipStream_tbEUlT_E_NS1_11comp_targetILNS1_3genE2ELNS1_11target_archE906ELNS1_3gpuE6ELNS1_3repE0EEENS1_30default_config_static_selectorELNS0_4arch9wavefront6targetE0EEEvSP_.uses_flat_scratch, 0
	.set _ZN7rocprim17ROCPRIM_400000_NS6detail17trampoline_kernelINS0_14default_configENS1_32segmented_reduce_config_selectorIfEEZNS1_21segmented_reduce_implIS3_PKfPfPKlfN6hipcub16HIPCUB_304000_NS6detail27convert_result_type_wrapperIS8_S9_N2at6native12_GLOBAL__N_110CustomProdEEEEE10hipError_tPvRmT0_T1_jT2_SQ_T4_T3_P12ihipStream_tbEUlT_E_NS1_11comp_targetILNS1_3genE2ELNS1_11target_archE906ELNS1_3gpuE6ELNS1_3repE0EEENS1_30default_config_static_selectorELNS0_4arch9wavefront6targetE0EEEvSP_.has_dyn_sized_stack, 0
	.set _ZN7rocprim17ROCPRIM_400000_NS6detail17trampoline_kernelINS0_14default_configENS1_32segmented_reduce_config_selectorIfEEZNS1_21segmented_reduce_implIS3_PKfPfPKlfN6hipcub16HIPCUB_304000_NS6detail27convert_result_type_wrapperIS8_S9_N2at6native12_GLOBAL__N_110CustomProdEEEEE10hipError_tPvRmT0_T1_jT2_SQ_T4_T3_P12ihipStream_tbEUlT_E_NS1_11comp_targetILNS1_3genE2ELNS1_11target_archE906ELNS1_3gpuE6ELNS1_3repE0EEENS1_30default_config_static_selectorELNS0_4arch9wavefront6targetE0EEEvSP_.has_recursion, 0
	.set _ZN7rocprim17ROCPRIM_400000_NS6detail17trampoline_kernelINS0_14default_configENS1_32segmented_reduce_config_selectorIfEEZNS1_21segmented_reduce_implIS3_PKfPfPKlfN6hipcub16HIPCUB_304000_NS6detail27convert_result_type_wrapperIS8_S9_N2at6native12_GLOBAL__N_110CustomProdEEEEE10hipError_tPvRmT0_T1_jT2_SQ_T4_T3_P12ihipStream_tbEUlT_E_NS1_11comp_targetILNS1_3genE2ELNS1_11target_archE906ELNS1_3gpuE6ELNS1_3repE0EEENS1_30default_config_static_selectorELNS0_4arch9wavefront6targetE0EEEvSP_.has_indirect_call, 0
	.section	.AMDGPU.csdata,"",@progbits
; Kernel info:
; codeLenInByte = 0
; TotalNumSgprs: 0
; NumVgprs: 0
; ScratchSize: 0
; MemoryBound: 0
; FloatMode: 240
; IeeeMode: 1
; LDSByteSize: 0 bytes/workgroup (compile time only)
; SGPRBlocks: 0
; VGPRBlocks: 0
; NumSGPRsForWavesPerEU: 1
; NumVGPRsForWavesPerEU: 1
; NamedBarCnt: 0
; Occupancy: 16
; WaveLimiterHint : 0
; COMPUTE_PGM_RSRC2:SCRATCH_EN: 0
; COMPUTE_PGM_RSRC2:USER_SGPR: 2
; COMPUTE_PGM_RSRC2:TRAP_HANDLER: 0
; COMPUTE_PGM_RSRC2:TGID_X_EN: 1
; COMPUTE_PGM_RSRC2:TGID_Y_EN: 0
; COMPUTE_PGM_RSRC2:TGID_Z_EN: 0
; COMPUTE_PGM_RSRC2:TIDIG_COMP_CNT: 0
	.section	.text._ZN7rocprim17ROCPRIM_400000_NS6detail17trampoline_kernelINS0_14default_configENS1_32segmented_reduce_config_selectorIfEEZNS1_21segmented_reduce_implIS3_PKfPfPKlfN6hipcub16HIPCUB_304000_NS6detail27convert_result_type_wrapperIS8_S9_N2at6native12_GLOBAL__N_110CustomProdEEEEE10hipError_tPvRmT0_T1_jT2_SQ_T4_T3_P12ihipStream_tbEUlT_E_NS1_11comp_targetILNS1_3genE9ELNS1_11target_archE1100ELNS1_3gpuE3ELNS1_3repE0EEENS1_30default_config_static_selectorELNS0_4arch9wavefront6targetE0EEEvSP_,"axG",@progbits,_ZN7rocprim17ROCPRIM_400000_NS6detail17trampoline_kernelINS0_14default_configENS1_32segmented_reduce_config_selectorIfEEZNS1_21segmented_reduce_implIS3_PKfPfPKlfN6hipcub16HIPCUB_304000_NS6detail27convert_result_type_wrapperIS8_S9_N2at6native12_GLOBAL__N_110CustomProdEEEEE10hipError_tPvRmT0_T1_jT2_SQ_T4_T3_P12ihipStream_tbEUlT_E_NS1_11comp_targetILNS1_3genE9ELNS1_11target_archE1100ELNS1_3gpuE3ELNS1_3repE0EEENS1_30default_config_static_selectorELNS0_4arch9wavefront6targetE0EEEvSP_,comdat
	.globl	_ZN7rocprim17ROCPRIM_400000_NS6detail17trampoline_kernelINS0_14default_configENS1_32segmented_reduce_config_selectorIfEEZNS1_21segmented_reduce_implIS3_PKfPfPKlfN6hipcub16HIPCUB_304000_NS6detail27convert_result_type_wrapperIS8_S9_N2at6native12_GLOBAL__N_110CustomProdEEEEE10hipError_tPvRmT0_T1_jT2_SQ_T4_T3_P12ihipStream_tbEUlT_E_NS1_11comp_targetILNS1_3genE9ELNS1_11target_archE1100ELNS1_3gpuE3ELNS1_3repE0EEENS1_30default_config_static_selectorELNS0_4arch9wavefront6targetE0EEEvSP_ ; -- Begin function _ZN7rocprim17ROCPRIM_400000_NS6detail17trampoline_kernelINS0_14default_configENS1_32segmented_reduce_config_selectorIfEEZNS1_21segmented_reduce_implIS3_PKfPfPKlfN6hipcub16HIPCUB_304000_NS6detail27convert_result_type_wrapperIS8_S9_N2at6native12_GLOBAL__N_110CustomProdEEEEE10hipError_tPvRmT0_T1_jT2_SQ_T4_T3_P12ihipStream_tbEUlT_E_NS1_11comp_targetILNS1_3genE9ELNS1_11target_archE1100ELNS1_3gpuE3ELNS1_3repE0EEENS1_30default_config_static_selectorELNS0_4arch9wavefront6targetE0EEEvSP_
	.p2align	8
	.type	_ZN7rocprim17ROCPRIM_400000_NS6detail17trampoline_kernelINS0_14default_configENS1_32segmented_reduce_config_selectorIfEEZNS1_21segmented_reduce_implIS3_PKfPfPKlfN6hipcub16HIPCUB_304000_NS6detail27convert_result_type_wrapperIS8_S9_N2at6native12_GLOBAL__N_110CustomProdEEEEE10hipError_tPvRmT0_T1_jT2_SQ_T4_T3_P12ihipStream_tbEUlT_E_NS1_11comp_targetILNS1_3genE9ELNS1_11target_archE1100ELNS1_3gpuE3ELNS1_3repE0EEENS1_30default_config_static_selectorELNS0_4arch9wavefront6targetE0EEEvSP_,@function
_ZN7rocprim17ROCPRIM_400000_NS6detail17trampoline_kernelINS0_14default_configENS1_32segmented_reduce_config_selectorIfEEZNS1_21segmented_reduce_implIS3_PKfPfPKlfN6hipcub16HIPCUB_304000_NS6detail27convert_result_type_wrapperIS8_S9_N2at6native12_GLOBAL__N_110CustomProdEEEEE10hipError_tPvRmT0_T1_jT2_SQ_T4_T3_P12ihipStream_tbEUlT_E_NS1_11comp_targetILNS1_3genE9ELNS1_11target_archE1100ELNS1_3gpuE3ELNS1_3repE0EEENS1_30default_config_static_selectorELNS0_4arch9wavefront6targetE0EEEvSP_: ; @_ZN7rocprim17ROCPRIM_400000_NS6detail17trampoline_kernelINS0_14default_configENS1_32segmented_reduce_config_selectorIfEEZNS1_21segmented_reduce_implIS3_PKfPfPKlfN6hipcub16HIPCUB_304000_NS6detail27convert_result_type_wrapperIS8_S9_N2at6native12_GLOBAL__N_110CustomProdEEEEE10hipError_tPvRmT0_T1_jT2_SQ_T4_T3_P12ihipStream_tbEUlT_E_NS1_11comp_targetILNS1_3genE9ELNS1_11target_archE1100ELNS1_3gpuE3ELNS1_3repE0EEENS1_30default_config_static_selectorELNS0_4arch9wavefront6targetE0EEEvSP_
; %bb.0:
	.section	.rodata,"a",@progbits
	.p2align	6, 0x0
	.amdhsa_kernel _ZN7rocprim17ROCPRIM_400000_NS6detail17trampoline_kernelINS0_14default_configENS1_32segmented_reduce_config_selectorIfEEZNS1_21segmented_reduce_implIS3_PKfPfPKlfN6hipcub16HIPCUB_304000_NS6detail27convert_result_type_wrapperIS8_S9_N2at6native12_GLOBAL__N_110CustomProdEEEEE10hipError_tPvRmT0_T1_jT2_SQ_T4_T3_P12ihipStream_tbEUlT_E_NS1_11comp_targetILNS1_3genE9ELNS1_11target_archE1100ELNS1_3gpuE3ELNS1_3repE0EEENS1_30default_config_static_selectorELNS0_4arch9wavefront6targetE0EEEvSP_
		.amdhsa_group_segment_fixed_size 0
		.amdhsa_private_segment_fixed_size 0
		.amdhsa_kernarg_size 48
		.amdhsa_user_sgpr_count 2
		.amdhsa_user_sgpr_dispatch_ptr 0
		.amdhsa_user_sgpr_queue_ptr 0
		.amdhsa_user_sgpr_kernarg_segment_ptr 1
		.amdhsa_user_sgpr_dispatch_id 0
		.amdhsa_user_sgpr_kernarg_preload_length 0
		.amdhsa_user_sgpr_kernarg_preload_offset 0
		.amdhsa_user_sgpr_private_segment_size 0
		.amdhsa_wavefront_size32 1
		.amdhsa_uses_dynamic_stack 0
		.amdhsa_enable_private_segment 0
		.amdhsa_system_sgpr_workgroup_id_x 1
		.amdhsa_system_sgpr_workgroup_id_y 0
		.amdhsa_system_sgpr_workgroup_id_z 0
		.amdhsa_system_sgpr_workgroup_info 0
		.amdhsa_system_vgpr_workitem_id 0
		.amdhsa_next_free_vgpr 1
		.amdhsa_next_free_sgpr 1
		.amdhsa_named_barrier_count 0
		.amdhsa_reserve_vcc 0
		.amdhsa_float_round_mode_32 0
		.amdhsa_float_round_mode_16_64 0
		.amdhsa_float_denorm_mode_32 3
		.amdhsa_float_denorm_mode_16_64 3
		.amdhsa_fp16_overflow 0
		.amdhsa_memory_ordered 1
		.amdhsa_forward_progress 1
		.amdhsa_inst_pref_size 0
		.amdhsa_round_robin_scheduling 0
		.amdhsa_exception_fp_ieee_invalid_op 0
		.amdhsa_exception_fp_denorm_src 0
		.amdhsa_exception_fp_ieee_div_zero 0
		.amdhsa_exception_fp_ieee_overflow 0
		.amdhsa_exception_fp_ieee_underflow 0
		.amdhsa_exception_fp_ieee_inexact 0
		.amdhsa_exception_int_div_zero 0
	.end_amdhsa_kernel
	.section	.text._ZN7rocprim17ROCPRIM_400000_NS6detail17trampoline_kernelINS0_14default_configENS1_32segmented_reduce_config_selectorIfEEZNS1_21segmented_reduce_implIS3_PKfPfPKlfN6hipcub16HIPCUB_304000_NS6detail27convert_result_type_wrapperIS8_S9_N2at6native12_GLOBAL__N_110CustomProdEEEEE10hipError_tPvRmT0_T1_jT2_SQ_T4_T3_P12ihipStream_tbEUlT_E_NS1_11comp_targetILNS1_3genE9ELNS1_11target_archE1100ELNS1_3gpuE3ELNS1_3repE0EEENS1_30default_config_static_selectorELNS0_4arch9wavefront6targetE0EEEvSP_,"axG",@progbits,_ZN7rocprim17ROCPRIM_400000_NS6detail17trampoline_kernelINS0_14default_configENS1_32segmented_reduce_config_selectorIfEEZNS1_21segmented_reduce_implIS3_PKfPfPKlfN6hipcub16HIPCUB_304000_NS6detail27convert_result_type_wrapperIS8_S9_N2at6native12_GLOBAL__N_110CustomProdEEEEE10hipError_tPvRmT0_T1_jT2_SQ_T4_T3_P12ihipStream_tbEUlT_E_NS1_11comp_targetILNS1_3genE9ELNS1_11target_archE1100ELNS1_3gpuE3ELNS1_3repE0EEENS1_30default_config_static_selectorELNS0_4arch9wavefront6targetE0EEEvSP_,comdat
.Lfunc_end210:
	.size	_ZN7rocprim17ROCPRIM_400000_NS6detail17trampoline_kernelINS0_14default_configENS1_32segmented_reduce_config_selectorIfEEZNS1_21segmented_reduce_implIS3_PKfPfPKlfN6hipcub16HIPCUB_304000_NS6detail27convert_result_type_wrapperIS8_S9_N2at6native12_GLOBAL__N_110CustomProdEEEEE10hipError_tPvRmT0_T1_jT2_SQ_T4_T3_P12ihipStream_tbEUlT_E_NS1_11comp_targetILNS1_3genE9ELNS1_11target_archE1100ELNS1_3gpuE3ELNS1_3repE0EEENS1_30default_config_static_selectorELNS0_4arch9wavefront6targetE0EEEvSP_, .Lfunc_end210-_ZN7rocprim17ROCPRIM_400000_NS6detail17trampoline_kernelINS0_14default_configENS1_32segmented_reduce_config_selectorIfEEZNS1_21segmented_reduce_implIS3_PKfPfPKlfN6hipcub16HIPCUB_304000_NS6detail27convert_result_type_wrapperIS8_S9_N2at6native12_GLOBAL__N_110CustomProdEEEEE10hipError_tPvRmT0_T1_jT2_SQ_T4_T3_P12ihipStream_tbEUlT_E_NS1_11comp_targetILNS1_3genE9ELNS1_11target_archE1100ELNS1_3gpuE3ELNS1_3repE0EEENS1_30default_config_static_selectorELNS0_4arch9wavefront6targetE0EEEvSP_
                                        ; -- End function
	.set _ZN7rocprim17ROCPRIM_400000_NS6detail17trampoline_kernelINS0_14default_configENS1_32segmented_reduce_config_selectorIfEEZNS1_21segmented_reduce_implIS3_PKfPfPKlfN6hipcub16HIPCUB_304000_NS6detail27convert_result_type_wrapperIS8_S9_N2at6native12_GLOBAL__N_110CustomProdEEEEE10hipError_tPvRmT0_T1_jT2_SQ_T4_T3_P12ihipStream_tbEUlT_E_NS1_11comp_targetILNS1_3genE9ELNS1_11target_archE1100ELNS1_3gpuE3ELNS1_3repE0EEENS1_30default_config_static_selectorELNS0_4arch9wavefront6targetE0EEEvSP_.num_vgpr, 0
	.set _ZN7rocprim17ROCPRIM_400000_NS6detail17trampoline_kernelINS0_14default_configENS1_32segmented_reduce_config_selectorIfEEZNS1_21segmented_reduce_implIS3_PKfPfPKlfN6hipcub16HIPCUB_304000_NS6detail27convert_result_type_wrapperIS8_S9_N2at6native12_GLOBAL__N_110CustomProdEEEEE10hipError_tPvRmT0_T1_jT2_SQ_T4_T3_P12ihipStream_tbEUlT_E_NS1_11comp_targetILNS1_3genE9ELNS1_11target_archE1100ELNS1_3gpuE3ELNS1_3repE0EEENS1_30default_config_static_selectorELNS0_4arch9wavefront6targetE0EEEvSP_.num_agpr, 0
	.set _ZN7rocprim17ROCPRIM_400000_NS6detail17trampoline_kernelINS0_14default_configENS1_32segmented_reduce_config_selectorIfEEZNS1_21segmented_reduce_implIS3_PKfPfPKlfN6hipcub16HIPCUB_304000_NS6detail27convert_result_type_wrapperIS8_S9_N2at6native12_GLOBAL__N_110CustomProdEEEEE10hipError_tPvRmT0_T1_jT2_SQ_T4_T3_P12ihipStream_tbEUlT_E_NS1_11comp_targetILNS1_3genE9ELNS1_11target_archE1100ELNS1_3gpuE3ELNS1_3repE0EEENS1_30default_config_static_selectorELNS0_4arch9wavefront6targetE0EEEvSP_.numbered_sgpr, 0
	.set _ZN7rocprim17ROCPRIM_400000_NS6detail17trampoline_kernelINS0_14default_configENS1_32segmented_reduce_config_selectorIfEEZNS1_21segmented_reduce_implIS3_PKfPfPKlfN6hipcub16HIPCUB_304000_NS6detail27convert_result_type_wrapperIS8_S9_N2at6native12_GLOBAL__N_110CustomProdEEEEE10hipError_tPvRmT0_T1_jT2_SQ_T4_T3_P12ihipStream_tbEUlT_E_NS1_11comp_targetILNS1_3genE9ELNS1_11target_archE1100ELNS1_3gpuE3ELNS1_3repE0EEENS1_30default_config_static_selectorELNS0_4arch9wavefront6targetE0EEEvSP_.num_named_barrier, 0
	.set _ZN7rocprim17ROCPRIM_400000_NS6detail17trampoline_kernelINS0_14default_configENS1_32segmented_reduce_config_selectorIfEEZNS1_21segmented_reduce_implIS3_PKfPfPKlfN6hipcub16HIPCUB_304000_NS6detail27convert_result_type_wrapperIS8_S9_N2at6native12_GLOBAL__N_110CustomProdEEEEE10hipError_tPvRmT0_T1_jT2_SQ_T4_T3_P12ihipStream_tbEUlT_E_NS1_11comp_targetILNS1_3genE9ELNS1_11target_archE1100ELNS1_3gpuE3ELNS1_3repE0EEENS1_30default_config_static_selectorELNS0_4arch9wavefront6targetE0EEEvSP_.private_seg_size, 0
	.set _ZN7rocprim17ROCPRIM_400000_NS6detail17trampoline_kernelINS0_14default_configENS1_32segmented_reduce_config_selectorIfEEZNS1_21segmented_reduce_implIS3_PKfPfPKlfN6hipcub16HIPCUB_304000_NS6detail27convert_result_type_wrapperIS8_S9_N2at6native12_GLOBAL__N_110CustomProdEEEEE10hipError_tPvRmT0_T1_jT2_SQ_T4_T3_P12ihipStream_tbEUlT_E_NS1_11comp_targetILNS1_3genE9ELNS1_11target_archE1100ELNS1_3gpuE3ELNS1_3repE0EEENS1_30default_config_static_selectorELNS0_4arch9wavefront6targetE0EEEvSP_.uses_vcc, 0
	.set _ZN7rocprim17ROCPRIM_400000_NS6detail17trampoline_kernelINS0_14default_configENS1_32segmented_reduce_config_selectorIfEEZNS1_21segmented_reduce_implIS3_PKfPfPKlfN6hipcub16HIPCUB_304000_NS6detail27convert_result_type_wrapperIS8_S9_N2at6native12_GLOBAL__N_110CustomProdEEEEE10hipError_tPvRmT0_T1_jT2_SQ_T4_T3_P12ihipStream_tbEUlT_E_NS1_11comp_targetILNS1_3genE9ELNS1_11target_archE1100ELNS1_3gpuE3ELNS1_3repE0EEENS1_30default_config_static_selectorELNS0_4arch9wavefront6targetE0EEEvSP_.uses_flat_scratch, 0
	.set _ZN7rocprim17ROCPRIM_400000_NS6detail17trampoline_kernelINS0_14default_configENS1_32segmented_reduce_config_selectorIfEEZNS1_21segmented_reduce_implIS3_PKfPfPKlfN6hipcub16HIPCUB_304000_NS6detail27convert_result_type_wrapperIS8_S9_N2at6native12_GLOBAL__N_110CustomProdEEEEE10hipError_tPvRmT0_T1_jT2_SQ_T4_T3_P12ihipStream_tbEUlT_E_NS1_11comp_targetILNS1_3genE9ELNS1_11target_archE1100ELNS1_3gpuE3ELNS1_3repE0EEENS1_30default_config_static_selectorELNS0_4arch9wavefront6targetE0EEEvSP_.has_dyn_sized_stack, 0
	.set _ZN7rocprim17ROCPRIM_400000_NS6detail17trampoline_kernelINS0_14default_configENS1_32segmented_reduce_config_selectorIfEEZNS1_21segmented_reduce_implIS3_PKfPfPKlfN6hipcub16HIPCUB_304000_NS6detail27convert_result_type_wrapperIS8_S9_N2at6native12_GLOBAL__N_110CustomProdEEEEE10hipError_tPvRmT0_T1_jT2_SQ_T4_T3_P12ihipStream_tbEUlT_E_NS1_11comp_targetILNS1_3genE9ELNS1_11target_archE1100ELNS1_3gpuE3ELNS1_3repE0EEENS1_30default_config_static_selectorELNS0_4arch9wavefront6targetE0EEEvSP_.has_recursion, 0
	.set _ZN7rocprim17ROCPRIM_400000_NS6detail17trampoline_kernelINS0_14default_configENS1_32segmented_reduce_config_selectorIfEEZNS1_21segmented_reduce_implIS3_PKfPfPKlfN6hipcub16HIPCUB_304000_NS6detail27convert_result_type_wrapperIS8_S9_N2at6native12_GLOBAL__N_110CustomProdEEEEE10hipError_tPvRmT0_T1_jT2_SQ_T4_T3_P12ihipStream_tbEUlT_E_NS1_11comp_targetILNS1_3genE9ELNS1_11target_archE1100ELNS1_3gpuE3ELNS1_3repE0EEENS1_30default_config_static_selectorELNS0_4arch9wavefront6targetE0EEEvSP_.has_indirect_call, 0
	.section	.AMDGPU.csdata,"",@progbits
; Kernel info:
; codeLenInByte = 0
; TotalNumSgprs: 0
; NumVgprs: 0
; ScratchSize: 0
; MemoryBound: 0
; FloatMode: 240
; IeeeMode: 1
; LDSByteSize: 0 bytes/workgroup (compile time only)
; SGPRBlocks: 0
; VGPRBlocks: 0
; NumSGPRsForWavesPerEU: 1
; NumVGPRsForWavesPerEU: 1
; NamedBarCnt: 0
; Occupancy: 16
; WaveLimiterHint : 0
; COMPUTE_PGM_RSRC2:SCRATCH_EN: 0
; COMPUTE_PGM_RSRC2:USER_SGPR: 2
; COMPUTE_PGM_RSRC2:TRAP_HANDLER: 0
; COMPUTE_PGM_RSRC2:TGID_X_EN: 1
; COMPUTE_PGM_RSRC2:TGID_Y_EN: 0
; COMPUTE_PGM_RSRC2:TGID_Z_EN: 0
; COMPUTE_PGM_RSRC2:TIDIG_COMP_CNT: 0
	.section	.text._ZN7rocprim17ROCPRIM_400000_NS6detail17trampoline_kernelINS0_14default_configENS1_32segmented_reduce_config_selectorIfEEZNS1_21segmented_reduce_implIS3_PKfPfPKlfN6hipcub16HIPCUB_304000_NS6detail27convert_result_type_wrapperIS8_S9_N2at6native12_GLOBAL__N_110CustomProdEEEEE10hipError_tPvRmT0_T1_jT2_SQ_T4_T3_P12ihipStream_tbEUlT_E_NS1_11comp_targetILNS1_3genE8ELNS1_11target_archE1030ELNS1_3gpuE2ELNS1_3repE0EEENS1_30default_config_static_selectorELNS0_4arch9wavefront6targetE0EEEvSP_,"axG",@progbits,_ZN7rocprim17ROCPRIM_400000_NS6detail17trampoline_kernelINS0_14default_configENS1_32segmented_reduce_config_selectorIfEEZNS1_21segmented_reduce_implIS3_PKfPfPKlfN6hipcub16HIPCUB_304000_NS6detail27convert_result_type_wrapperIS8_S9_N2at6native12_GLOBAL__N_110CustomProdEEEEE10hipError_tPvRmT0_T1_jT2_SQ_T4_T3_P12ihipStream_tbEUlT_E_NS1_11comp_targetILNS1_3genE8ELNS1_11target_archE1030ELNS1_3gpuE2ELNS1_3repE0EEENS1_30default_config_static_selectorELNS0_4arch9wavefront6targetE0EEEvSP_,comdat
	.globl	_ZN7rocprim17ROCPRIM_400000_NS6detail17trampoline_kernelINS0_14default_configENS1_32segmented_reduce_config_selectorIfEEZNS1_21segmented_reduce_implIS3_PKfPfPKlfN6hipcub16HIPCUB_304000_NS6detail27convert_result_type_wrapperIS8_S9_N2at6native12_GLOBAL__N_110CustomProdEEEEE10hipError_tPvRmT0_T1_jT2_SQ_T4_T3_P12ihipStream_tbEUlT_E_NS1_11comp_targetILNS1_3genE8ELNS1_11target_archE1030ELNS1_3gpuE2ELNS1_3repE0EEENS1_30default_config_static_selectorELNS0_4arch9wavefront6targetE0EEEvSP_ ; -- Begin function _ZN7rocprim17ROCPRIM_400000_NS6detail17trampoline_kernelINS0_14default_configENS1_32segmented_reduce_config_selectorIfEEZNS1_21segmented_reduce_implIS3_PKfPfPKlfN6hipcub16HIPCUB_304000_NS6detail27convert_result_type_wrapperIS8_S9_N2at6native12_GLOBAL__N_110CustomProdEEEEE10hipError_tPvRmT0_T1_jT2_SQ_T4_T3_P12ihipStream_tbEUlT_E_NS1_11comp_targetILNS1_3genE8ELNS1_11target_archE1030ELNS1_3gpuE2ELNS1_3repE0EEENS1_30default_config_static_selectorELNS0_4arch9wavefront6targetE0EEEvSP_
	.p2align	8
	.type	_ZN7rocprim17ROCPRIM_400000_NS6detail17trampoline_kernelINS0_14default_configENS1_32segmented_reduce_config_selectorIfEEZNS1_21segmented_reduce_implIS3_PKfPfPKlfN6hipcub16HIPCUB_304000_NS6detail27convert_result_type_wrapperIS8_S9_N2at6native12_GLOBAL__N_110CustomProdEEEEE10hipError_tPvRmT0_T1_jT2_SQ_T4_T3_P12ihipStream_tbEUlT_E_NS1_11comp_targetILNS1_3genE8ELNS1_11target_archE1030ELNS1_3gpuE2ELNS1_3repE0EEENS1_30default_config_static_selectorELNS0_4arch9wavefront6targetE0EEEvSP_,@function
_ZN7rocprim17ROCPRIM_400000_NS6detail17trampoline_kernelINS0_14default_configENS1_32segmented_reduce_config_selectorIfEEZNS1_21segmented_reduce_implIS3_PKfPfPKlfN6hipcub16HIPCUB_304000_NS6detail27convert_result_type_wrapperIS8_S9_N2at6native12_GLOBAL__N_110CustomProdEEEEE10hipError_tPvRmT0_T1_jT2_SQ_T4_T3_P12ihipStream_tbEUlT_E_NS1_11comp_targetILNS1_3genE8ELNS1_11target_archE1030ELNS1_3gpuE2ELNS1_3repE0EEENS1_30default_config_static_selectorELNS0_4arch9wavefront6targetE0EEEvSP_: ; @_ZN7rocprim17ROCPRIM_400000_NS6detail17trampoline_kernelINS0_14default_configENS1_32segmented_reduce_config_selectorIfEEZNS1_21segmented_reduce_implIS3_PKfPfPKlfN6hipcub16HIPCUB_304000_NS6detail27convert_result_type_wrapperIS8_S9_N2at6native12_GLOBAL__N_110CustomProdEEEEE10hipError_tPvRmT0_T1_jT2_SQ_T4_T3_P12ihipStream_tbEUlT_E_NS1_11comp_targetILNS1_3genE8ELNS1_11target_archE1030ELNS1_3gpuE2ELNS1_3repE0EEENS1_30default_config_static_selectorELNS0_4arch9wavefront6targetE0EEEvSP_
; %bb.0:
	.section	.rodata,"a",@progbits
	.p2align	6, 0x0
	.amdhsa_kernel _ZN7rocprim17ROCPRIM_400000_NS6detail17trampoline_kernelINS0_14default_configENS1_32segmented_reduce_config_selectorIfEEZNS1_21segmented_reduce_implIS3_PKfPfPKlfN6hipcub16HIPCUB_304000_NS6detail27convert_result_type_wrapperIS8_S9_N2at6native12_GLOBAL__N_110CustomProdEEEEE10hipError_tPvRmT0_T1_jT2_SQ_T4_T3_P12ihipStream_tbEUlT_E_NS1_11comp_targetILNS1_3genE8ELNS1_11target_archE1030ELNS1_3gpuE2ELNS1_3repE0EEENS1_30default_config_static_selectorELNS0_4arch9wavefront6targetE0EEEvSP_
		.amdhsa_group_segment_fixed_size 0
		.amdhsa_private_segment_fixed_size 0
		.amdhsa_kernarg_size 48
		.amdhsa_user_sgpr_count 2
		.amdhsa_user_sgpr_dispatch_ptr 0
		.amdhsa_user_sgpr_queue_ptr 0
		.amdhsa_user_sgpr_kernarg_segment_ptr 1
		.amdhsa_user_sgpr_dispatch_id 0
		.amdhsa_user_sgpr_kernarg_preload_length 0
		.amdhsa_user_sgpr_kernarg_preload_offset 0
		.amdhsa_user_sgpr_private_segment_size 0
		.amdhsa_wavefront_size32 1
		.amdhsa_uses_dynamic_stack 0
		.amdhsa_enable_private_segment 0
		.amdhsa_system_sgpr_workgroup_id_x 1
		.amdhsa_system_sgpr_workgroup_id_y 0
		.amdhsa_system_sgpr_workgroup_id_z 0
		.amdhsa_system_sgpr_workgroup_info 0
		.amdhsa_system_vgpr_workitem_id 0
		.amdhsa_next_free_vgpr 1
		.amdhsa_next_free_sgpr 1
		.amdhsa_named_barrier_count 0
		.amdhsa_reserve_vcc 0
		.amdhsa_float_round_mode_32 0
		.amdhsa_float_round_mode_16_64 0
		.amdhsa_float_denorm_mode_32 3
		.amdhsa_float_denorm_mode_16_64 3
		.amdhsa_fp16_overflow 0
		.amdhsa_memory_ordered 1
		.amdhsa_forward_progress 1
		.amdhsa_inst_pref_size 0
		.amdhsa_round_robin_scheduling 0
		.amdhsa_exception_fp_ieee_invalid_op 0
		.amdhsa_exception_fp_denorm_src 0
		.amdhsa_exception_fp_ieee_div_zero 0
		.amdhsa_exception_fp_ieee_overflow 0
		.amdhsa_exception_fp_ieee_underflow 0
		.amdhsa_exception_fp_ieee_inexact 0
		.amdhsa_exception_int_div_zero 0
	.end_amdhsa_kernel
	.section	.text._ZN7rocprim17ROCPRIM_400000_NS6detail17trampoline_kernelINS0_14default_configENS1_32segmented_reduce_config_selectorIfEEZNS1_21segmented_reduce_implIS3_PKfPfPKlfN6hipcub16HIPCUB_304000_NS6detail27convert_result_type_wrapperIS8_S9_N2at6native12_GLOBAL__N_110CustomProdEEEEE10hipError_tPvRmT0_T1_jT2_SQ_T4_T3_P12ihipStream_tbEUlT_E_NS1_11comp_targetILNS1_3genE8ELNS1_11target_archE1030ELNS1_3gpuE2ELNS1_3repE0EEENS1_30default_config_static_selectorELNS0_4arch9wavefront6targetE0EEEvSP_,"axG",@progbits,_ZN7rocprim17ROCPRIM_400000_NS6detail17trampoline_kernelINS0_14default_configENS1_32segmented_reduce_config_selectorIfEEZNS1_21segmented_reduce_implIS3_PKfPfPKlfN6hipcub16HIPCUB_304000_NS6detail27convert_result_type_wrapperIS8_S9_N2at6native12_GLOBAL__N_110CustomProdEEEEE10hipError_tPvRmT0_T1_jT2_SQ_T4_T3_P12ihipStream_tbEUlT_E_NS1_11comp_targetILNS1_3genE8ELNS1_11target_archE1030ELNS1_3gpuE2ELNS1_3repE0EEENS1_30default_config_static_selectorELNS0_4arch9wavefront6targetE0EEEvSP_,comdat
.Lfunc_end211:
	.size	_ZN7rocprim17ROCPRIM_400000_NS6detail17trampoline_kernelINS0_14default_configENS1_32segmented_reduce_config_selectorIfEEZNS1_21segmented_reduce_implIS3_PKfPfPKlfN6hipcub16HIPCUB_304000_NS6detail27convert_result_type_wrapperIS8_S9_N2at6native12_GLOBAL__N_110CustomProdEEEEE10hipError_tPvRmT0_T1_jT2_SQ_T4_T3_P12ihipStream_tbEUlT_E_NS1_11comp_targetILNS1_3genE8ELNS1_11target_archE1030ELNS1_3gpuE2ELNS1_3repE0EEENS1_30default_config_static_selectorELNS0_4arch9wavefront6targetE0EEEvSP_, .Lfunc_end211-_ZN7rocprim17ROCPRIM_400000_NS6detail17trampoline_kernelINS0_14default_configENS1_32segmented_reduce_config_selectorIfEEZNS1_21segmented_reduce_implIS3_PKfPfPKlfN6hipcub16HIPCUB_304000_NS6detail27convert_result_type_wrapperIS8_S9_N2at6native12_GLOBAL__N_110CustomProdEEEEE10hipError_tPvRmT0_T1_jT2_SQ_T4_T3_P12ihipStream_tbEUlT_E_NS1_11comp_targetILNS1_3genE8ELNS1_11target_archE1030ELNS1_3gpuE2ELNS1_3repE0EEENS1_30default_config_static_selectorELNS0_4arch9wavefront6targetE0EEEvSP_
                                        ; -- End function
	.set _ZN7rocprim17ROCPRIM_400000_NS6detail17trampoline_kernelINS0_14default_configENS1_32segmented_reduce_config_selectorIfEEZNS1_21segmented_reduce_implIS3_PKfPfPKlfN6hipcub16HIPCUB_304000_NS6detail27convert_result_type_wrapperIS8_S9_N2at6native12_GLOBAL__N_110CustomProdEEEEE10hipError_tPvRmT0_T1_jT2_SQ_T4_T3_P12ihipStream_tbEUlT_E_NS1_11comp_targetILNS1_3genE8ELNS1_11target_archE1030ELNS1_3gpuE2ELNS1_3repE0EEENS1_30default_config_static_selectorELNS0_4arch9wavefront6targetE0EEEvSP_.num_vgpr, 0
	.set _ZN7rocprim17ROCPRIM_400000_NS6detail17trampoline_kernelINS0_14default_configENS1_32segmented_reduce_config_selectorIfEEZNS1_21segmented_reduce_implIS3_PKfPfPKlfN6hipcub16HIPCUB_304000_NS6detail27convert_result_type_wrapperIS8_S9_N2at6native12_GLOBAL__N_110CustomProdEEEEE10hipError_tPvRmT0_T1_jT2_SQ_T4_T3_P12ihipStream_tbEUlT_E_NS1_11comp_targetILNS1_3genE8ELNS1_11target_archE1030ELNS1_3gpuE2ELNS1_3repE0EEENS1_30default_config_static_selectorELNS0_4arch9wavefront6targetE0EEEvSP_.num_agpr, 0
	.set _ZN7rocprim17ROCPRIM_400000_NS6detail17trampoline_kernelINS0_14default_configENS1_32segmented_reduce_config_selectorIfEEZNS1_21segmented_reduce_implIS3_PKfPfPKlfN6hipcub16HIPCUB_304000_NS6detail27convert_result_type_wrapperIS8_S9_N2at6native12_GLOBAL__N_110CustomProdEEEEE10hipError_tPvRmT0_T1_jT2_SQ_T4_T3_P12ihipStream_tbEUlT_E_NS1_11comp_targetILNS1_3genE8ELNS1_11target_archE1030ELNS1_3gpuE2ELNS1_3repE0EEENS1_30default_config_static_selectorELNS0_4arch9wavefront6targetE0EEEvSP_.numbered_sgpr, 0
	.set _ZN7rocprim17ROCPRIM_400000_NS6detail17trampoline_kernelINS0_14default_configENS1_32segmented_reduce_config_selectorIfEEZNS1_21segmented_reduce_implIS3_PKfPfPKlfN6hipcub16HIPCUB_304000_NS6detail27convert_result_type_wrapperIS8_S9_N2at6native12_GLOBAL__N_110CustomProdEEEEE10hipError_tPvRmT0_T1_jT2_SQ_T4_T3_P12ihipStream_tbEUlT_E_NS1_11comp_targetILNS1_3genE8ELNS1_11target_archE1030ELNS1_3gpuE2ELNS1_3repE0EEENS1_30default_config_static_selectorELNS0_4arch9wavefront6targetE0EEEvSP_.num_named_barrier, 0
	.set _ZN7rocprim17ROCPRIM_400000_NS6detail17trampoline_kernelINS0_14default_configENS1_32segmented_reduce_config_selectorIfEEZNS1_21segmented_reduce_implIS3_PKfPfPKlfN6hipcub16HIPCUB_304000_NS6detail27convert_result_type_wrapperIS8_S9_N2at6native12_GLOBAL__N_110CustomProdEEEEE10hipError_tPvRmT0_T1_jT2_SQ_T4_T3_P12ihipStream_tbEUlT_E_NS1_11comp_targetILNS1_3genE8ELNS1_11target_archE1030ELNS1_3gpuE2ELNS1_3repE0EEENS1_30default_config_static_selectorELNS0_4arch9wavefront6targetE0EEEvSP_.private_seg_size, 0
	.set _ZN7rocprim17ROCPRIM_400000_NS6detail17trampoline_kernelINS0_14default_configENS1_32segmented_reduce_config_selectorIfEEZNS1_21segmented_reduce_implIS3_PKfPfPKlfN6hipcub16HIPCUB_304000_NS6detail27convert_result_type_wrapperIS8_S9_N2at6native12_GLOBAL__N_110CustomProdEEEEE10hipError_tPvRmT0_T1_jT2_SQ_T4_T3_P12ihipStream_tbEUlT_E_NS1_11comp_targetILNS1_3genE8ELNS1_11target_archE1030ELNS1_3gpuE2ELNS1_3repE0EEENS1_30default_config_static_selectorELNS0_4arch9wavefront6targetE0EEEvSP_.uses_vcc, 0
	.set _ZN7rocprim17ROCPRIM_400000_NS6detail17trampoline_kernelINS0_14default_configENS1_32segmented_reduce_config_selectorIfEEZNS1_21segmented_reduce_implIS3_PKfPfPKlfN6hipcub16HIPCUB_304000_NS6detail27convert_result_type_wrapperIS8_S9_N2at6native12_GLOBAL__N_110CustomProdEEEEE10hipError_tPvRmT0_T1_jT2_SQ_T4_T3_P12ihipStream_tbEUlT_E_NS1_11comp_targetILNS1_3genE8ELNS1_11target_archE1030ELNS1_3gpuE2ELNS1_3repE0EEENS1_30default_config_static_selectorELNS0_4arch9wavefront6targetE0EEEvSP_.uses_flat_scratch, 0
	.set _ZN7rocprim17ROCPRIM_400000_NS6detail17trampoline_kernelINS0_14default_configENS1_32segmented_reduce_config_selectorIfEEZNS1_21segmented_reduce_implIS3_PKfPfPKlfN6hipcub16HIPCUB_304000_NS6detail27convert_result_type_wrapperIS8_S9_N2at6native12_GLOBAL__N_110CustomProdEEEEE10hipError_tPvRmT0_T1_jT2_SQ_T4_T3_P12ihipStream_tbEUlT_E_NS1_11comp_targetILNS1_3genE8ELNS1_11target_archE1030ELNS1_3gpuE2ELNS1_3repE0EEENS1_30default_config_static_selectorELNS0_4arch9wavefront6targetE0EEEvSP_.has_dyn_sized_stack, 0
	.set _ZN7rocprim17ROCPRIM_400000_NS6detail17trampoline_kernelINS0_14default_configENS1_32segmented_reduce_config_selectorIfEEZNS1_21segmented_reduce_implIS3_PKfPfPKlfN6hipcub16HIPCUB_304000_NS6detail27convert_result_type_wrapperIS8_S9_N2at6native12_GLOBAL__N_110CustomProdEEEEE10hipError_tPvRmT0_T1_jT2_SQ_T4_T3_P12ihipStream_tbEUlT_E_NS1_11comp_targetILNS1_3genE8ELNS1_11target_archE1030ELNS1_3gpuE2ELNS1_3repE0EEENS1_30default_config_static_selectorELNS0_4arch9wavefront6targetE0EEEvSP_.has_recursion, 0
	.set _ZN7rocprim17ROCPRIM_400000_NS6detail17trampoline_kernelINS0_14default_configENS1_32segmented_reduce_config_selectorIfEEZNS1_21segmented_reduce_implIS3_PKfPfPKlfN6hipcub16HIPCUB_304000_NS6detail27convert_result_type_wrapperIS8_S9_N2at6native12_GLOBAL__N_110CustomProdEEEEE10hipError_tPvRmT0_T1_jT2_SQ_T4_T3_P12ihipStream_tbEUlT_E_NS1_11comp_targetILNS1_3genE8ELNS1_11target_archE1030ELNS1_3gpuE2ELNS1_3repE0EEENS1_30default_config_static_selectorELNS0_4arch9wavefront6targetE0EEEvSP_.has_indirect_call, 0
	.section	.AMDGPU.csdata,"",@progbits
; Kernel info:
; codeLenInByte = 0
; TotalNumSgprs: 0
; NumVgprs: 0
; ScratchSize: 0
; MemoryBound: 0
; FloatMode: 240
; IeeeMode: 1
; LDSByteSize: 0 bytes/workgroup (compile time only)
; SGPRBlocks: 0
; VGPRBlocks: 0
; NumSGPRsForWavesPerEU: 1
; NumVGPRsForWavesPerEU: 1
; NamedBarCnt: 0
; Occupancy: 16
; WaveLimiterHint : 0
; COMPUTE_PGM_RSRC2:SCRATCH_EN: 0
; COMPUTE_PGM_RSRC2:USER_SGPR: 2
; COMPUTE_PGM_RSRC2:TRAP_HANDLER: 0
; COMPUTE_PGM_RSRC2:TGID_X_EN: 1
; COMPUTE_PGM_RSRC2:TGID_Y_EN: 0
; COMPUTE_PGM_RSRC2:TGID_Z_EN: 0
; COMPUTE_PGM_RSRC2:TIDIG_COMP_CNT: 0
	.section	.text._ZN2at6native12_GLOBAL__N_129segment_reduce_forward_kernelIN3c104HalfElEEvNS0_13ReductionTypeEPT_PKS6_PKT0_SC_llbS6_lllllll,"axG",@progbits,_ZN2at6native12_GLOBAL__N_129segment_reduce_forward_kernelIN3c104HalfElEEvNS0_13ReductionTypeEPT_PKS6_PKT0_SC_llbS6_lllllll,comdat
	.globl	_ZN2at6native12_GLOBAL__N_129segment_reduce_forward_kernelIN3c104HalfElEEvNS0_13ReductionTypeEPT_PKS6_PKT0_SC_llbS6_lllllll ; -- Begin function _ZN2at6native12_GLOBAL__N_129segment_reduce_forward_kernelIN3c104HalfElEEvNS0_13ReductionTypeEPT_PKS6_PKT0_SC_llbS6_lllllll
	.p2align	8
	.type	_ZN2at6native12_GLOBAL__N_129segment_reduce_forward_kernelIN3c104HalfElEEvNS0_13ReductionTypeEPT_PKS6_PKT0_SC_llbS6_lllllll,@function
_ZN2at6native12_GLOBAL__N_129segment_reduce_forward_kernelIN3c104HalfElEEvNS0_13ReductionTypeEPT_PKS6_PKT0_SC_llbS6_lllllll: ; @_ZN2at6native12_GLOBAL__N_129segment_reduce_forward_kernelIN3c104HalfElEEvNS0_13ReductionTypeEPT_PKS6_PKT0_SC_llbS6_lllllll
; %bb.0:
	s_clause 0x2
	s_load_b32 s2, s[0:1], 0x84
	s_load_b128 s[28:31], s[0:1], 0x28
	s_load_b256 s[4:11], s[0:1], 0x40
	s_bfe_u32 s3, ttmp6, 0x4000c
	v_mov_b32_e32 v2, 0
	s_add_co_i32 s3, s3, 1
	s_and_b32 s12, ttmp6, 15
	s_mul_i32 s3, ttmp9, s3
	s_getreg_b32 s13, hwreg(HW_REG_IB_STS2, 6, 4)
	v_mov_b32_e32 v1, v2
	s_add_co_i32 s12, s12, s3
	s_wait_kmcnt 0x0
	s_and_b32 s2, s2, 0xffff
	s_cmp_eq_u32 s13, 0
	s_cselect_b32 s3, ttmp9, s12
	s_delay_alu instid0(SALU_CYCLE_1) | instskip(SKIP_1) | instid1(SALU_CYCLE_1)
	v_mad_nc_u64_u32 v[4:5], s2, s3, v[0:1]
	s_mul_u64 s[2:3], s[4:5], s[28:29]
	s_mul_u64 s[2:3], s[2:3], s[6:7]
	s_delay_alu instid0(VALU_DEP_1) | instid1(SALU_CYCLE_1)
	v_cmp_gt_i64_e32 vcc_lo, s[2:3], v[4:5]
	s_and_saveexec_b32 s2, vcc_lo
	s_cbranch_execz .LBB212_37
; %bb.1:
	v_or_b32_e32 v3, s7, v5
                                        ; implicit-def: $vgpr8_vgpr9
	s_mov_b32 s2, exec_lo
	s_delay_alu instid0(VALU_DEP_1)
	v_cmpx_ne_u64_e32 0, v[2:3]
	s_xor_b32 s3, exec_lo, s2
	s_cbranch_execz .LBB212_3
; %bb.2:
	s_ashr_i32 s4, s7, 31
	s_mov_b32 s21, 0
	s_mov_b32 s5, s4
	v_dual_mov_b32 v7, 0 :: v_dual_ashrrev_i32 v0, 31, v5
	s_add_nc_u64 s[12:13], s[6:7], s[4:5]
	s_delay_alu instid0(SALU_CYCLE_1) | instskip(NEXT) | instid1(VALU_DEP_1)
	s_xor_b64 s[12:13], s[12:13], s[4:5]
	v_mov_b32_e32 v1, v0
	s_cvt_f32_u32 s2, s12
	s_cvt_f32_u32 s5, s13
	s_sub_nc_u64 s[16:17], 0, s[12:13]
	v_dual_mov_b32 v9, v7 :: v_dual_mov_b32 v15, v7
	s_delay_alu instid0(SALU_CYCLE_1) | instskip(SKIP_1) | instid1(SALU_CYCLE_2)
	s_fmamk_f32 s2, s5, 0x4f800000, s2
	v_add_nc_u64_e32 v[2:3], v[4:5], v[0:1]
	v_s_rcp_f32 s2, s2
	s_delay_alu instid0(VALU_DEP_1) | instskip(NEXT) | instid1(VALU_DEP_2)
	v_xor_b32_e32 v6, v2, v0
	v_xor_b32_e32 v8, v3, v0
	;; [unrolled: 1-line block ×3, first 2 shown]
	s_delay_alu instid0(TRANS32_DEP_1) | instskip(NEXT) | instid1(SALU_CYCLE_3)
	s_mul_f32 s2, s2, 0x5f7ffffc
	s_mul_f32 s5, s2, 0x2f800000
	s_delay_alu instid0(SALU_CYCLE_3) | instskip(NEXT) | instid1(SALU_CYCLE_3)
	s_trunc_f32 s5, s5
	s_fmamk_f32 s2, s5, 0xcf800000, s2
	s_cvt_u32_f32 s15, s5
	s_delay_alu instid0(SALU_CYCLE_2) | instskip(NEXT) | instid1(SALU_CYCLE_3)
	s_cvt_u32_f32 s14, s2
	s_mul_u64 s[18:19], s[16:17], s[14:15]
	s_delay_alu instid0(SALU_CYCLE_1)
	s_mul_hi_u32 s23, s14, s19
	s_mul_i32 s22, s14, s19
	s_mul_hi_u32 s20, s14, s18
	s_mul_i32 s5, s15, s18
	s_add_nc_u64 s[22:23], s[20:21], s[22:23]
	s_mul_hi_u32 s2, s15, s18
	s_mul_hi_u32 s24, s15, s19
	s_add_co_u32 s5, s22, s5
	s_add_co_ci_u32 s20, s23, s2
	s_mul_i32 s18, s15, s19
	s_add_co_ci_u32 s19, s24, 0
	s_delay_alu instid0(SALU_CYCLE_1) | instskip(NEXT) | instid1(SALU_CYCLE_1)
	s_add_nc_u64 s[18:19], s[20:21], s[18:19]
	s_add_co_u32 s14, s14, s18
	s_cselect_b32 s2, -1, 0
	s_delay_alu instid0(SALU_CYCLE_1) | instskip(SKIP_1) | instid1(SALU_CYCLE_1)
	s_cmp_lg_u32 s2, 0
	s_add_co_ci_u32 s15, s15, s19
	s_mul_u64 s[16:17], s[16:17], s[14:15]
	s_delay_alu instid0(SALU_CYCLE_1)
	s_mul_hi_u32 s19, s14, s17
	s_mul_i32 s18, s14, s17
	s_mul_hi_u32 s20, s14, s16
	s_mul_i32 s5, s15, s16
	s_add_nc_u64 s[18:19], s[20:21], s[18:19]
	s_mul_hi_u32 s2, s15, s16
	s_mul_hi_u32 s22, s15, s17
	s_add_co_u32 s5, s18, s5
	s_add_co_ci_u32 s20, s19, s2
	s_mul_i32 s16, s15, s17
	s_add_co_ci_u32 s17, s22, 0
	s_delay_alu instid0(SALU_CYCLE_1) | instskip(NEXT) | instid1(SALU_CYCLE_1)
	s_add_nc_u64 s[16:17], s[20:21], s[16:17]
	s_add_co_u32 s2, s14, s16
	s_cselect_b32 s5, -1, 0
	v_mul_hi_u32 v14, v6, s2
	s_cmp_lg_u32 s5, 0
	s_add_co_ci_u32 s20, s15, s17
	s_mov_b64 s[14:15], 0xffffffff
	v_mul_u64_e32 v[10:11], s[20:21], v[6:7]
	s_and_b64 s[14:15], s[2:3], s[14:15]
	v_mul_u64_e32 v[12:13], s[20:21], v[8:9]
	v_mul_u64_e32 v[2:3], s[14:15], v[8:9]
	s_delay_alu instid0(VALU_DEP_3) | instskip(NEXT) | instid1(VALU_DEP_1)
	v_add_nc_u64_e32 v[10:11], v[14:15], v[10:11]
	v_add_co_u32 v1, vcc_lo, v10, v2
	s_delay_alu instid0(VALU_DEP_2) | instskip(SKIP_1) | instid1(VALU_DEP_1)
	v_add_co_ci_u32_e32 v14, vcc_lo, v11, v3, vcc_lo
	v_add_co_ci_u32_e32 v13, vcc_lo, 0, v13, vcc_lo
	v_add_nc_u64_e32 v[2:3], v[14:15], v[12:13]
	s_delay_alu instid0(VALU_DEP_1) | instskip(NEXT) | instid1(VALU_DEP_1)
	v_mul_u64_e32 v[10:11], s[12:13], v[2:3]
	v_sub_nc_u32_e32 v1, v8, v11
	s_delay_alu instid0(VALU_DEP_2) | instskip(NEXT) | instid1(VALU_DEP_1)
	v_sub_co_u32 v6, vcc_lo, v6, v10
	v_sub_co_ci_u32_e64 v10, null, v8, v11, vcc_lo
	s_delay_alu instid0(VALU_DEP_3) | instskip(NEXT) | instid1(VALU_DEP_3)
	v_subrev_co_ci_u32_e64 v1, null, s13, v1, vcc_lo
	v_sub_co_u32 v7, s2, v6, s12
	s_delay_alu instid0(VALU_DEP_1) | instskip(NEXT) | instid1(VALU_DEP_2)
	v_subrev_co_ci_u32_e64 v1, null, 0, v1, s2
	v_cmp_le_u32_e32 vcc_lo, s12, v7
	v_cndmask_b32_e64 v7, 0, -1, vcc_lo
	s_delay_alu instid0(VALU_DEP_3)
	v_cmp_le_u32_e32 vcc_lo, s13, v1
	v_cndmask_b32_e64 v8, 0, -1, vcc_lo
	v_cmp_le_u32_e32 vcc_lo, s12, v6
	v_cndmask_b32_e64 v11, 0, -1, vcc_lo
	;; [unrolled: 2-line block ×3, first 2 shown]
	v_cmp_eq_u32_e32 vcc_lo, s13, v1
	v_cndmask_b32_e32 v1, v8, v7, vcc_lo
	v_cmp_eq_u32_e32 vcc_lo, s13, v10
	v_add_nc_u64_e32 v[6:7], 2, v[2:3]
	v_add_nc_u64_e32 v[8:9], 1, v[2:3]
	v_cndmask_b32_e32 v10, v12, v11, vcc_lo
	v_cmp_ne_u32_e32 vcc_lo, 0, v1
	s_delay_alu instid0(VALU_DEP_2) | instskip(NEXT) | instid1(VALU_DEP_4)
	v_cmp_ne_u32_e64 s2, 0, v10
	v_dual_cndmask_b32 v6, v8, v6 :: v_dual_cndmask_b32 v1, v9, v7
	s_delay_alu instid0(VALU_DEP_1) | instskip(NEXT) | instid1(VALU_DEP_1)
	v_dual_cndmask_b32 v2, v2, v6, s2 :: v_dual_cndmask_b32 v3, v3, v1, s2
	v_dual_mov_b32 v1, v0 :: v_dual_bitop2_b32 v2, v2, v0 bitop3:0x14
	s_delay_alu instid0(VALU_DEP_2) | instskip(NEXT) | instid1(VALU_DEP_1)
	v_xor_b32_e32 v3, v3, v0
	v_sub_nc_u64_e32 v[8:9], v[2:3], v[0:1]
.LBB212_3:
	s_or_saveexec_b32 s2, s3
	s_clause 0x1
	s_load_b256 s[12:19], s[0:1], 0x8
	s_load_b256 s[20:27], s[0:1], 0x60
	s_xor_b32 exec_lo, exec_lo, s2
	s_cbranch_execz .LBB212_5
; %bb.4:
	v_cvt_f32_u32_e32 v0, s6
	s_sub_co_i32 s3, 0, s6
	v_mov_b32_e32 v9, 0
	s_delay_alu instid0(VALU_DEP_2) | instskip(SKIP_1) | instid1(TRANS32_DEP_1)
	v_rcp_iflag_f32_e32 v0, v0
	v_nop
	v_mul_f32_e32 v0, 0x4f7ffffe, v0
	s_delay_alu instid0(VALU_DEP_1) | instskip(NEXT) | instid1(VALU_DEP_1)
	v_cvt_u32_f32_e32 v0, v0
	v_mul_lo_u32 v1, s3, v0
	s_delay_alu instid0(VALU_DEP_1) | instskip(NEXT) | instid1(VALU_DEP_1)
	v_mul_hi_u32 v1, v0, v1
	v_add_nc_u32_e32 v0, v0, v1
	s_delay_alu instid0(VALU_DEP_1) | instskip(NEXT) | instid1(VALU_DEP_1)
	v_mul_hi_u32 v0, v4, v0
	v_mul_lo_u32 v1, v0, s6
	s_delay_alu instid0(VALU_DEP_1) | instskip(NEXT) | instid1(VALU_DEP_1)
	v_dual_add_nc_u32 v2, 1, v0 :: v_dual_sub_nc_u32 v1, v4, v1
	v_subrev_nc_u32_e32 v3, s6, v1
	v_cmp_le_u32_e32 vcc_lo, s6, v1
	s_delay_alu instid0(VALU_DEP_2) | instskip(NEXT) | instid1(VALU_DEP_1)
	v_dual_cndmask_b32 v1, v1, v3 :: v_dual_cndmask_b32 v0, v0, v2
	v_cmp_le_u32_e32 vcc_lo, s6, v1
	s_delay_alu instid0(VALU_DEP_2) | instskip(NEXT) | instid1(VALU_DEP_1)
	v_add_nc_u32_e32 v2, 1, v0
	v_cndmask_b32_e32 v8, v0, v2, vcc_lo
.LBB212_5:
	s_or_b32 exec_lo, exec_lo, s2
	v_dual_mov_b32 v0, 0 :: v_dual_bitop2_b32 v1, s29, v9 bitop3:0x54
                                        ; implicit-def: $vgpr6_vgpr7
	s_mov_b32 s2, exec_lo
	s_delay_alu instid0(VALU_DEP_1)
	v_cmpx_ne_u64_e32 0, v[0:1]
	s_xor_b32 s3, exec_lo, s2
	s_cbranch_execz .LBB212_7
; %bb.6:
	s_ashr_i32 s4, s29, 31
	s_mov_b32 s41, 0
	s_mov_b32 s5, s4
	v_dual_mov_b32 v11, v0 :: v_dual_ashrrev_i32 v2, 31, v9
	s_wait_kmcnt 0x0
	s_add_nc_u64 s[26:27], s[28:29], s[4:5]
	v_mov_b32_e32 v13, v0
	s_xor_b64 s[26:27], s[26:27], s[4:5]
	v_mov_b32_e32 v3, v2
	s_cvt_f32_u32 s2, s26
	s_cvt_f32_u32 s5, s27
	s_sub_nc_u64 s[36:37], 0, s[26:27]
	v_mov_b32_e32 v19, v0
	v_add_nc_u64_e32 v[6:7], v[8:9], v[2:3]
	s_fmamk_f32 s2, s5, 0x4f800000, s2
	v_mov_b32_e32 v1, v0
	s_delay_alu instid0(SALU_CYCLE_2) | instskip(NEXT) | instid1(VALU_DEP_2)
	v_s_rcp_f32 s2, s2
	v_xor_b32_e32 v10, v6, v2
	s_delay_alu instid0(VALU_DEP_3) | instskip(SKIP_1) | instid1(TRANS32_DEP_1)
	v_xor_b32_e32 v12, v7, v2
	v_xor_b32_e32 v2, s4, v2
	s_mul_f32 s2, s2, 0x5f7ffffc
	s_delay_alu instid0(SALU_CYCLE_3) | instskip(NEXT) | instid1(SALU_CYCLE_3)
	s_mul_f32 s5, s2, 0x2f800000
	s_trunc_f32 s5, s5
	s_delay_alu instid0(SALU_CYCLE_3) | instskip(SKIP_1) | instid1(SALU_CYCLE_2)
	s_fmamk_f32 s2, s5, 0xcf800000, s2
	s_cvt_u32_f32 s35, s5
	s_cvt_u32_f32 s34, s2
	s_delay_alu instid0(SALU_CYCLE_3) | instskip(NEXT) | instid1(SALU_CYCLE_1)
	s_mul_u64 s[38:39], s[36:37], s[34:35]
	s_mul_hi_u32 s43, s34, s39
	s_mul_i32 s42, s34, s39
	s_mul_hi_u32 s40, s34, s38
	s_mul_i32 s5, s35, s38
	s_add_nc_u64 s[42:43], s[40:41], s[42:43]
	s_mul_hi_u32 s2, s35, s38
	s_mul_hi_u32 s33, s35, s39
	s_add_co_u32 s5, s42, s5
	s_add_co_ci_u32 s40, s43, s2
	s_mul_i32 s38, s35, s39
	s_add_co_ci_u32 s39, s33, 0
	s_delay_alu instid0(SALU_CYCLE_1) | instskip(NEXT) | instid1(SALU_CYCLE_1)
	s_add_nc_u64 s[38:39], s[40:41], s[38:39]
	s_add_co_u32 s34, s34, s38
	s_cselect_b32 s2, -1, 0
	s_delay_alu instid0(SALU_CYCLE_1) | instskip(SKIP_1) | instid1(SALU_CYCLE_1)
	s_cmp_lg_u32 s2, 0
	s_add_co_ci_u32 s35, s35, s39
	s_mul_u64 s[36:37], s[36:37], s[34:35]
	s_delay_alu instid0(SALU_CYCLE_1)
	s_mul_hi_u32 s39, s34, s37
	s_mul_i32 s38, s34, s37
	s_mul_hi_u32 s40, s34, s36
	s_mul_i32 s5, s35, s36
	s_add_nc_u64 s[38:39], s[40:41], s[38:39]
	s_mul_hi_u32 s2, s35, s36
	s_mul_hi_u32 s33, s35, s37
	s_add_co_u32 s5, s38, s5
	s_add_co_ci_u32 s40, s39, s2
	s_mul_i32 s36, s35, s37
	s_add_co_ci_u32 s37, s33, 0
	s_delay_alu instid0(SALU_CYCLE_1) | instskip(NEXT) | instid1(SALU_CYCLE_1)
	s_add_nc_u64 s[36:37], s[40:41], s[36:37]
	s_add_co_u32 s2, s34, s36
	s_cselect_b32 s5, -1, 0
	v_mul_hi_u32 v18, v10, s2
	s_cmp_lg_u32 s5, 0
	s_add_co_ci_u32 s40, s35, s37
	s_mov_b64 s[34:35], 0xffffffff
	v_mul_u64_e32 v[14:15], s[40:41], v[10:11]
	s_and_b64 s[34:35], s[2:3], s[34:35]
	v_mul_u64_e32 v[16:17], s[40:41], v[12:13]
	v_mul_u64_e32 v[6:7], s[34:35], v[12:13]
	s_delay_alu instid0(VALU_DEP_3) | instskip(NEXT) | instid1(VALU_DEP_1)
	v_add_nc_u64_e32 v[14:15], v[18:19], v[14:15]
	v_add_co_u32 v0, vcc_lo, v14, v6
	s_delay_alu instid0(VALU_DEP_2) | instskip(SKIP_1) | instid1(VALU_DEP_1)
	v_add_co_ci_u32_e32 v0, vcc_lo, v15, v7, vcc_lo
	v_add_co_ci_u32_e32 v17, vcc_lo, 0, v17, vcc_lo
	v_add_nc_u64_e32 v[0:1], v[0:1], v[16:17]
	s_delay_alu instid0(VALU_DEP_1) | instskip(NEXT) | instid1(VALU_DEP_1)
	v_mul_u64_e32 v[6:7], s[26:27], v[0:1]
	v_sub_nc_u32_e32 v3, v12, v7
	s_delay_alu instid0(VALU_DEP_2) | instskip(NEXT) | instid1(VALU_DEP_1)
	v_sub_co_u32 v6, vcc_lo, v10, v6
	v_sub_co_ci_u32_e64 v12, null, v12, v7, vcc_lo
	s_delay_alu instid0(VALU_DEP_3) | instskip(NEXT) | instid1(VALU_DEP_3)
	v_subrev_co_ci_u32_e64 v3, null, s27, v3, vcc_lo
	v_sub_co_u32 v10, s2, v6, s26
	s_delay_alu instid0(VALU_DEP_1) | instskip(NEXT) | instid1(VALU_DEP_2)
	v_subrev_co_ci_u32_e64 v3, null, 0, v3, s2
	v_cmp_le_u32_e32 vcc_lo, s26, v10
	v_cndmask_b32_e64 v7, 0, -1, vcc_lo
	s_delay_alu instid0(VALU_DEP_3)
	v_cmp_le_u32_e32 vcc_lo, s27, v3
	v_cndmask_b32_e64 v10, 0, -1, vcc_lo
	v_cmp_le_u32_e32 vcc_lo, s26, v6
	v_cndmask_b32_e64 v13, 0, -1, vcc_lo
	;; [unrolled: 2-line block ×3, first 2 shown]
	v_cmp_eq_u32_e32 vcc_lo, s27, v3
	v_cndmask_b32_e32 v3, v10, v7, vcc_lo
	v_cmp_eq_u32_e32 vcc_lo, s27, v12
	v_add_nc_u64_e32 v[6:7], 2, v[0:1]
	v_add_nc_u64_e32 v[10:11], 1, v[0:1]
	v_cndmask_b32_e32 v12, v14, v13, vcc_lo
	v_cmp_ne_u32_e32 vcc_lo, 0, v3
	s_delay_alu instid0(VALU_DEP_2) | instskip(NEXT) | instid1(VALU_DEP_4)
	v_cmp_ne_u32_e64 s2, 0, v12
	v_dual_cndmask_b32 v3, v11, v7 :: v_dual_cndmask_b32 v6, v10, v6
	s_delay_alu instid0(VALU_DEP_1) | instskip(NEXT) | instid1(VALU_DEP_1)
	v_dual_cndmask_b32 v1, v1, v3, s2 :: v_dual_cndmask_b32 v0, v0, v6, s2
	v_dual_mov_b32 v3, v2 :: v_dual_bitop2_b32 v1, v1, v2 bitop3:0x14
	s_delay_alu instid0(VALU_DEP_2) | instskip(NEXT) | instid1(VALU_DEP_1)
	v_xor_b32_e32 v0, v0, v2
	v_sub_nc_u64_e32 v[6:7], v[0:1], v[2:3]
.LBB212_7:
	s_and_not1_saveexec_b32 s2, s3
	s_cbranch_execz .LBB212_9
; %bb.8:
	v_cvt_f32_u32_e32 v0, s28
	s_sub_co_i32 s3, 0, s28
	v_mov_b32_e32 v7, 0
	s_delay_alu instid0(VALU_DEP_2) | instskip(SKIP_1) | instid1(TRANS32_DEP_1)
	v_rcp_iflag_f32_e32 v0, v0
	v_nop
	v_mul_f32_e32 v0, 0x4f7ffffe, v0
	s_delay_alu instid0(VALU_DEP_1) | instskip(NEXT) | instid1(VALU_DEP_1)
	v_cvt_u32_f32_e32 v0, v0
	v_mul_lo_u32 v1, s3, v0
	s_delay_alu instid0(VALU_DEP_1) | instskip(NEXT) | instid1(VALU_DEP_1)
	v_mul_hi_u32 v1, v0, v1
	v_add_nc_u32_e32 v0, v0, v1
	s_delay_alu instid0(VALU_DEP_1) | instskip(NEXT) | instid1(VALU_DEP_1)
	v_mul_hi_u32 v0, v8, v0
	v_mul_lo_u32 v1, v0, s28
	s_delay_alu instid0(VALU_DEP_1) | instskip(NEXT) | instid1(VALU_DEP_1)
	v_dual_add_nc_u32 v2, 1, v0 :: v_dual_sub_nc_u32 v1, v8, v1
	v_subrev_nc_u32_e32 v3, s28, v1
	v_cmp_le_u32_e32 vcc_lo, s28, v1
	s_delay_alu instid0(VALU_DEP_2) | instskip(NEXT) | instid1(VALU_DEP_1)
	v_dual_cndmask_b32 v1, v1, v3 :: v_dual_cndmask_b32 v0, v0, v2
	v_cmp_le_u32_e32 vcc_lo, s28, v1
	s_delay_alu instid0(VALU_DEP_2) | instskip(NEXT) | instid1(VALU_DEP_1)
	v_add_nc_u32_e32 v2, 1, v0
	v_cndmask_b32_e32 v6, v0, v2, vcc_lo
.LBB212_9:
	s_or_b32 exec_lo, exec_lo, s2
	s_add_nc_u64 s[2:3], s[28:29], 1
	s_delay_alu instid0(VALU_DEP_1) | instskip(SKIP_2) | instid1(SALU_CYCLE_1)
	v_mul_u64_e32 v[12:13], s[28:29], v[6:7]
	s_wait_kmcnt 0x0
	s_mul_u64 s[2:3], s[24:25], s[2:3]
	v_mul_u64_e32 v[0:1], s[2:3], v[6:7]
	s_delay_alu instid0(VALU_DEP_2) | instskip(SKIP_1) | instid1(VALU_DEP_3)
	v_sub_nc_u64_e32 v[10:11], v[8:9], v[12:13]
	v_mul_u64_e32 v[8:9], s[6:7], v[8:9]
	v_lshl_add_u64 v[0:1], v[0:1], 3, s[18:19]
	s_delay_alu instid0(VALU_DEP_1)
	v_lshl_add_u64 v[0:1], v[10:11], 3, v[0:1]
	global_load_b128 v[0:3], v[0:1], off
	s_clause 0x1
	s_load_b32 s5, s[0:1], 0x38
	s_load_b32 s4, s[0:1], 0x0
	s_wait_xcnt 0x0
	s_mov_b32 s1, exec_lo
	s_wait_kmcnt 0x0
	s_lshr_b32 s0, s5, 16
	s_delay_alu instid0(SALU_CYCLE_1)
	v_mov_b32_e32 v16, s0
	s_wait_loadcnt 0x0
	v_cmpx_lt_i64_e64 v[0:1], v[2:3]
	s_cbranch_execz .LBB212_28
; %bb.10:
	v_mul_u64_e32 v[14:15], s[10:11], v[6:7]
	v_lshlrev_b64_e32 v[16:17], 1, v[0:1]
	v_lshlrev_b64_e32 v[18:19], 1, v[4:5]
	s_cmp_lg_u32 s4, 0
	s_mov_b32 s7, 0
	s_cselect_b32 s6, -1, 0
	s_and_b32 s2, s4, -3
	s_delay_alu instid0(SALU_CYCLE_1) | instskip(SKIP_2) | instid1(VALU_DEP_3)
	s_cmp_lg_u32 s2, 1
	s_cselect_b32 s10, -1, 0
	s_lshl_b64 s[2:3], s[8:9], 1
	v_lshl_add_u64 v[14:15], v[14:15], 1, v[16:17]
	s_delay_alu instid0(VALU_DEP_1) | instskip(NEXT) | instid1(VALU_DEP_1)
	v_mad_nc_u64_u32 v[16:17], s8, v14, v[18:19]
	v_mad_u32 v14, s9, v14, v17
	s_delay_alu instid0(VALU_DEP_1) | instskip(SKIP_1) | instid1(VALU_DEP_1)
	v_mad_u32 v17, s8, v15, v14
	v_lshlrev_b64_e32 v[14:15], 1, v[8:9]
	v_sub_nc_u64_e32 v[14:15], v[16:17], v[14:15]
	v_mov_b32_e32 v17, s0
	s_delay_alu instid0(VALU_DEP_2)
	v_add_nc_u64_e32 v[14:15], s[14:15], v[14:15]
	s_branch .LBB212_12
.LBB212_11:                             ;   in Loop: Header=BB212_12 Depth=1
	v_add_nc_u64_e32 v[0:1], 1, v[0:1]
	s_wait_xcnt 0x0
	v_add_nc_u64_e32 v[14:15], s[2:3], v[14:15]
	v_mov_b32_e32 v17, v16
	s_delay_alu instid0(VALU_DEP_3) | instskip(SKIP_1) | instid1(SALU_CYCLE_1)
	v_cmp_ge_i64_e32 vcc_lo, v[0:1], v[2:3]
	s_or_b32 s7, vcc_lo, s7
	s_and_not1_b32 exec_lo, exec_lo, s7
	s_cbranch_execz .LBB212_27
.LBB212_12:                             ; =>This Inner Loop Header: Depth=1
	s_wait_loadcnt 0x0
	global_load_u16 v18, v[14:15], off
	s_and_b32 vcc_lo, exec_lo, s6
	s_cbranch_vccz .LBB212_25
; %bb.13:                               ;   in Loop: Header=BB212_12 Depth=1
	s_and_b32 vcc_lo, exec_lo, s10
	s_mov_b32 s0, -1
                                        ; implicit-def: $vgpr16
	s_cbranch_vccz .LBB212_22
; %bb.14:                               ;   in Loop: Header=BB212_12 Depth=1
	s_cmp_lt_i32 s4, 4
                                        ; implicit-def: $vgpr16
	s_cbranch_scc1 .LBB212_18
; %bb.15:                               ;   in Loop: Header=BB212_12 Depth=1
	v_mov_b32_e32 v16, v17
	s_cmp_eq_u32 s4, 4
	s_cbranch_scc0 .LBB212_17
; %bb.16:                               ;   in Loop: Header=BB212_12 Depth=1
	s_wait_loadcnt 0x0
	v_mul_f16_e32 v16, v17, v18
.LBB212_17:                             ;   in Loop: Header=BB212_12 Depth=1
	s_mov_b32 s0, 0
.LBB212_18:                             ;   in Loop: Header=BB212_12 Depth=1
	s_delay_alu instid0(SALU_CYCLE_1)
	s_and_not1_b32 vcc_lo, exec_lo, s0
	s_cbranch_vccnz .LBB212_21
; %bb.19:                               ;   in Loop: Header=BB212_12 Depth=1
	v_mov_b32_e32 v16, v17
	s_cmp_lg_u32 s4, 2
	s_cbranch_scc1 .LBB212_21
; %bb.20:                               ;   in Loop: Header=BB212_12 Depth=1
	s_wait_loadcnt 0x0
	v_cmp_u_f16_e32 vcc_lo, v18, v18
	v_cmp_gt_f16_e64 s0, v17, v18
	s_or_b32 vcc_lo, vcc_lo, s0
	v_cndmask_b32_e32 v16, v17, v18, vcc_lo
.LBB212_21:                             ;   in Loop: Header=BB212_12 Depth=1
	s_mov_b32 s0, 0
.LBB212_22:                             ;   in Loop: Header=BB212_12 Depth=1
	s_delay_alu instid0(SALU_CYCLE_1)
	s_and_b32 vcc_lo, exec_lo, s0
	s_cbranch_vccz .LBB212_24
; %bb.23:                               ;   in Loop: Header=BB212_12 Depth=1
	s_wait_loadcnt 0x0
	v_add_f16_e32 v16, v17, v18
.LBB212_24:                             ;   in Loop: Header=BB212_12 Depth=1
	s_cbranch_execnz .LBB212_11
	s_branch .LBB212_26
.LBB212_25:                             ;   in Loop: Header=BB212_12 Depth=1
                                        ; implicit-def: $vgpr16
.LBB212_26:                             ;   in Loop: Header=BB212_12 Depth=1
	s_wait_loadcnt 0x0
	v_cmp_u_f16_e32 vcc_lo, v18, v18
	v_cmp_lt_f16_e64 s0, v17, v18
	s_or_b32 vcc_lo, vcc_lo, s0
	v_cndmask_b32_e32 v16, v17, v18, vcc_lo
	s_branch .LBB212_11
.LBB212_27:
	s_or_b32 exec_lo, exec_lo, s7
.LBB212_28:
	s_delay_alu instid0(SALU_CYCLE_1) | instskip(SKIP_2) | instid1(VALU_DEP_1)
	s_or_b32 exec_lo, exec_lo, s1
	v_mul_u64_e32 v[0:1], s[30:31], v[12:13]
	s_mov_b32 s0, exec_lo
	v_lshl_add_u64 v[0:1], v[0:1], 3, s[16:17]
	s_delay_alu instid0(VALU_DEP_1)
	v_lshl_add_u64 v[0:1], v[10:11], 3, v[0:1]
	global_load_b64 v[0:1], v[0:1], off
	s_wait_loadcnt 0x0
	v_cmpx_lt_i64_e32 -1, v[0:1]
	s_xor_b32 s0, exec_lo, s0
	s_cbranch_execz .LBB212_36
; %bb.29:
	v_cmp_ne_u64_e32 vcc_lo, 0, v[0:1]
	s_bitcmp1_b32 s5, 0
	v_mov_b32_e32 v2, 0x7e00
	s_cselect_b32 s1, -1, 0
	s_delay_alu instid0(SALU_CYCLE_1) | instskip(SKIP_2) | instid1(SALU_CYCLE_1)
	s_or_b32 s1, s1, vcc_lo
	s_cmp_lg_u32 s4, 1
	s_cselect_b32 s2, -1, 0
	s_or_b32 s3, s2, s1
	s_delay_alu instid0(SALU_CYCLE_1)
	s_and_saveexec_b32 s1, s3
	s_cbranch_execz .LBB212_35
; %bb.30:
	v_cmp_ne_u64_e32 vcc_lo, 0, v[0:1]
	s_xor_b32 s2, s2, -1
	s_delay_alu instid0(SALU_CYCLE_1) | instskip(NEXT) | instid1(SALU_CYCLE_1)
	s_and_b32 s3, s2, vcc_lo
	s_and_saveexec_b32 s2, s3
	s_cbranch_execz .LBB212_34
; %bb.31:
	s_mov_b32 s3, exec_lo
	v_cmpx_o_f16_e32 v16, v16
	s_cbranch_execz .LBB212_33
; %bb.32:
	v_clz_i32_u32_e32 v2, v1
	s_delay_alu instid0(VALU_DEP_1) | instskip(NEXT) | instid1(VALU_DEP_1)
	v_min_u32_e32 v2, 32, v2
	v_lshlrev_b64_e32 v[0:1], v2, v[0:1]
	s_delay_alu instid0(VALU_DEP_1) | instskip(NEXT) | instid1(VALU_DEP_1)
	v_min_u32_e32 v0, 1, v0
	v_dual_sub_nc_u32 v1, 32, v2 :: v_dual_bitop2_b32 v0, v1, v0 bitop3:0x54
	v_cvt_f32_f16_e32 v2, v16
	s_delay_alu instid0(VALU_DEP_2) | instskip(NEXT) | instid1(VALU_DEP_1)
	v_cvt_f32_u32_e32 v0, v0
	v_ldexp_f32 v0, v0, v1
	s_delay_alu instid0(VALU_DEP_1) | instskip(NEXT) | instid1(VALU_DEP_1)
	v_cvt_f16_f32_e32 v0, v0
	v_cvt_f32_f16_e32 v1, v0
	s_delay_alu instid0(VALU_DEP_1) | instskip(SKIP_1) | instid1(TRANS32_DEP_1)
	v_rcp_f32_e32 v1, v1
	v_nop
	v_mul_f32_e32 v2, v2, v1
	s_delay_alu instid0(VALU_DEP_1) | instskip(NEXT) | instid1(VALU_DEP_1)
	v_fma_mix_f32 v3, -v0, v2, v16 op_sel_hi:[1,0,1]
	v_fmac_f32_e32 v2, v3, v1
	s_delay_alu instid0(VALU_DEP_1) | instskip(NEXT) | instid1(VALU_DEP_1)
	v_fma_mix_f32 v3, -v0, v2, v16 op_sel_hi:[1,0,1]
	v_mul_f32_e32 v1, v3, v1
	s_delay_alu instid0(VALU_DEP_1) | instskip(NEXT) | instid1(VALU_DEP_1)
	v_and_b32_e32 v1, 0xff800000, v1
	v_add_f32_e32 v1, v1, v2
	s_delay_alu instid0(VALU_DEP_1) | instskip(NEXT) | instid1(VALU_DEP_1)
	v_cvt_f16_f32_e32 v1, v1
	v_div_fixup_f16 v16, v1, v0, v16
.LBB212_33:
	s_or_b32 exec_lo, exec_lo, s3
.LBB212_34:
	s_delay_alu instid0(SALU_CYCLE_1) | instskip(NEXT) | instid1(VALU_DEP_1)
	s_or_b32 exec_lo, exec_lo, s2
	v_mov_b32_e32 v2, v16
.LBB212_35:
	s_or_b32 exec_lo, exec_lo, s1
	s_mul_u64 s[2:3], s[22:23], s[20:21]
	v_sub_nc_u64_e32 v[4:5], v[4:5], v[8:9]
	v_mul_u64_e32 v[0:1], s[2:3], v[6:7]
	v_mul_u64_e32 v[6:7], s[20:21], v[10:11]
	s_delay_alu instid0(VALU_DEP_2) | instskip(NEXT) | instid1(VALU_DEP_1)
	v_lshl_add_u64 v[0:1], v[0:1], 1, s[12:13]
	v_lshl_add_u64 v[0:1], v[6:7], 1, v[0:1]
	s_delay_alu instid0(VALU_DEP_1)
	v_lshl_add_u64 v[0:1], v[4:5], 1, v[0:1]
	global_store_b16 v[0:1], v2, off
.LBB212_36:
	s_wait_xcnt 0x0
	s_and_not1_saveexec_b32 s0, s0
	s_cbranch_execnz .LBB212_38
.LBB212_37:
	s_endpgm
.LBB212_38:
	s_trap 2
	; divergent unreachable
	s_endpgm
	.section	.rodata,"a",@progbits
	.p2align	6, 0x0
	.amdhsa_kernel _ZN2at6native12_GLOBAL__N_129segment_reduce_forward_kernelIN3c104HalfElEEvNS0_13ReductionTypeEPT_PKS6_PKT0_SC_llbS6_lllllll
		.amdhsa_group_segment_fixed_size 0
		.amdhsa_private_segment_fixed_size 0
		.amdhsa_kernarg_size 376
		.amdhsa_user_sgpr_count 2
		.amdhsa_user_sgpr_dispatch_ptr 0
		.amdhsa_user_sgpr_queue_ptr 0
		.amdhsa_user_sgpr_kernarg_segment_ptr 1
		.amdhsa_user_sgpr_dispatch_id 0
		.amdhsa_user_sgpr_kernarg_preload_length 0
		.amdhsa_user_sgpr_kernarg_preload_offset 0
		.amdhsa_user_sgpr_private_segment_size 0
		.amdhsa_wavefront_size32 1
		.amdhsa_uses_dynamic_stack 0
		.amdhsa_enable_private_segment 0
		.amdhsa_system_sgpr_workgroup_id_x 1
		.amdhsa_system_sgpr_workgroup_id_y 0
		.amdhsa_system_sgpr_workgroup_id_z 0
		.amdhsa_system_sgpr_workgroup_info 0
		.amdhsa_system_vgpr_workitem_id 0
		.amdhsa_next_free_vgpr 20
		.amdhsa_next_free_sgpr 44
		.amdhsa_named_barrier_count 0
		.amdhsa_reserve_vcc 1
		.amdhsa_float_round_mode_32 0
		.amdhsa_float_round_mode_16_64 0
		.amdhsa_float_denorm_mode_32 3
		.amdhsa_float_denorm_mode_16_64 3
		.amdhsa_fp16_overflow 0
		.amdhsa_memory_ordered 1
		.amdhsa_forward_progress 1
		.amdhsa_inst_pref_size 20
		.amdhsa_round_robin_scheduling 0
		.amdhsa_exception_fp_ieee_invalid_op 0
		.amdhsa_exception_fp_denorm_src 0
		.amdhsa_exception_fp_ieee_div_zero 0
		.amdhsa_exception_fp_ieee_overflow 0
		.amdhsa_exception_fp_ieee_underflow 0
		.amdhsa_exception_fp_ieee_inexact 0
		.amdhsa_exception_int_div_zero 0
	.end_amdhsa_kernel
	.section	.text._ZN2at6native12_GLOBAL__N_129segment_reduce_forward_kernelIN3c104HalfElEEvNS0_13ReductionTypeEPT_PKS6_PKT0_SC_llbS6_lllllll,"axG",@progbits,_ZN2at6native12_GLOBAL__N_129segment_reduce_forward_kernelIN3c104HalfElEEvNS0_13ReductionTypeEPT_PKS6_PKT0_SC_llbS6_lllllll,comdat
.Lfunc_end212:
	.size	_ZN2at6native12_GLOBAL__N_129segment_reduce_forward_kernelIN3c104HalfElEEvNS0_13ReductionTypeEPT_PKS6_PKT0_SC_llbS6_lllllll, .Lfunc_end212-_ZN2at6native12_GLOBAL__N_129segment_reduce_forward_kernelIN3c104HalfElEEvNS0_13ReductionTypeEPT_PKS6_PKT0_SC_llbS6_lllllll
                                        ; -- End function
	.set _ZN2at6native12_GLOBAL__N_129segment_reduce_forward_kernelIN3c104HalfElEEvNS0_13ReductionTypeEPT_PKS6_PKT0_SC_llbS6_lllllll.num_vgpr, 20
	.set _ZN2at6native12_GLOBAL__N_129segment_reduce_forward_kernelIN3c104HalfElEEvNS0_13ReductionTypeEPT_PKS6_PKT0_SC_llbS6_lllllll.num_agpr, 0
	.set _ZN2at6native12_GLOBAL__N_129segment_reduce_forward_kernelIN3c104HalfElEEvNS0_13ReductionTypeEPT_PKS6_PKT0_SC_llbS6_lllllll.numbered_sgpr, 44
	.set _ZN2at6native12_GLOBAL__N_129segment_reduce_forward_kernelIN3c104HalfElEEvNS0_13ReductionTypeEPT_PKS6_PKT0_SC_llbS6_lllllll.num_named_barrier, 0
	.set _ZN2at6native12_GLOBAL__N_129segment_reduce_forward_kernelIN3c104HalfElEEvNS0_13ReductionTypeEPT_PKS6_PKT0_SC_llbS6_lllllll.private_seg_size, 0
	.set _ZN2at6native12_GLOBAL__N_129segment_reduce_forward_kernelIN3c104HalfElEEvNS0_13ReductionTypeEPT_PKS6_PKT0_SC_llbS6_lllllll.uses_vcc, 1
	.set _ZN2at6native12_GLOBAL__N_129segment_reduce_forward_kernelIN3c104HalfElEEvNS0_13ReductionTypeEPT_PKS6_PKT0_SC_llbS6_lllllll.uses_flat_scratch, 0
	.set _ZN2at6native12_GLOBAL__N_129segment_reduce_forward_kernelIN3c104HalfElEEvNS0_13ReductionTypeEPT_PKS6_PKT0_SC_llbS6_lllllll.has_dyn_sized_stack, 0
	.set _ZN2at6native12_GLOBAL__N_129segment_reduce_forward_kernelIN3c104HalfElEEvNS0_13ReductionTypeEPT_PKS6_PKT0_SC_llbS6_lllllll.has_recursion, 0
	.set _ZN2at6native12_GLOBAL__N_129segment_reduce_forward_kernelIN3c104HalfElEEvNS0_13ReductionTypeEPT_PKS6_PKT0_SC_llbS6_lllllll.has_indirect_call, 0
	.section	.AMDGPU.csdata,"",@progbits
; Kernel info:
; codeLenInByte = 2492
; TotalNumSgprs: 46
; NumVgprs: 20
; ScratchSize: 0
; MemoryBound: 0
; FloatMode: 240
; IeeeMode: 1
; LDSByteSize: 0 bytes/workgroup (compile time only)
; SGPRBlocks: 0
; VGPRBlocks: 1
; NumSGPRsForWavesPerEU: 46
; NumVGPRsForWavesPerEU: 20
; NamedBarCnt: 0
; Occupancy: 16
; WaveLimiterHint : 0
; COMPUTE_PGM_RSRC2:SCRATCH_EN: 0
; COMPUTE_PGM_RSRC2:USER_SGPR: 2
; COMPUTE_PGM_RSRC2:TRAP_HANDLER: 0
; COMPUTE_PGM_RSRC2:TGID_X_EN: 1
; COMPUTE_PGM_RSRC2:TGID_Y_EN: 0
; COMPUTE_PGM_RSRC2:TGID_Z_EN: 0
; COMPUTE_PGM_RSRC2:TIDIG_COMP_CNT: 0
	.section	.text._ZN7rocprim17ROCPRIM_400000_NS6detail17trampoline_kernelINS0_14default_configENS1_32segmented_reduce_config_selectorIN3c104HalfEEEZNS1_21segmented_reduce_implIS3_PKS6_PS6_PKlS6_N6hipcub16HIPCUB_304000_NS6detail27convert_result_type_wrapperISA_SB_N2at6native12_GLOBAL__N_19CustomMaxEEEEE10hipError_tPvRmT0_T1_jT2_SS_T4_T3_P12ihipStream_tbEUlT_E_NS1_11comp_targetILNS1_3genE0ELNS1_11target_archE4294967295ELNS1_3gpuE0ELNS1_3repE0EEENS1_30default_config_static_selectorELNS0_4arch9wavefront6targetE0EEEvSR_,"axG",@progbits,_ZN7rocprim17ROCPRIM_400000_NS6detail17trampoline_kernelINS0_14default_configENS1_32segmented_reduce_config_selectorIN3c104HalfEEEZNS1_21segmented_reduce_implIS3_PKS6_PS6_PKlS6_N6hipcub16HIPCUB_304000_NS6detail27convert_result_type_wrapperISA_SB_N2at6native12_GLOBAL__N_19CustomMaxEEEEE10hipError_tPvRmT0_T1_jT2_SS_T4_T3_P12ihipStream_tbEUlT_E_NS1_11comp_targetILNS1_3genE0ELNS1_11target_archE4294967295ELNS1_3gpuE0ELNS1_3repE0EEENS1_30default_config_static_selectorELNS0_4arch9wavefront6targetE0EEEvSR_,comdat
	.globl	_ZN7rocprim17ROCPRIM_400000_NS6detail17trampoline_kernelINS0_14default_configENS1_32segmented_reduce_config_selectorIN3c104HalfEEEZNS1_21segmented_reduce_implIS3_PKS6_PS6_PKlS6_N6hipcub16HIPCUB_304000_NS6detail27convert_result_type_wrapperISA_SB_N2at6native12_GLOBAL__N_19CustomMaxEEEEE10hipError_tPvRmT0_T1_jT2_SS_T4_T3_P12ihipStream_tbEUlT_E_NS1_11comp_targetILNS1_3genE0ELNS1_11target_archE4294967295ELNS1_3gpuE0ELNS1_3repE0EEENS1_30default_config_static_selectorELNS0_4arch9wavefront6targetE0EEEvSR_ ; -- Begin function _ZN7rocprim17ROCPRIM_400000_NS6detail17trampoline_kernelINS0_14default_configENS1_32segmented_reduce_config_selectorIN3c104HalfEEEZNS1_21segmented_reduce_implIS3_PKS6_PS6_PKlS6_N6hipcub16HIPCUB_304000_NS6detail27convert_result_type_wrapperISA_SB_N2at6native12_GLOBAL__N_19CustomMaxEEEEE10hipError_tPvRmT0_T1_jT2_SS_T4_T3_P12ihipStream_tbEUlT_E_NS1_11comp_targetILNS1_3genE0ELNS1_11target_archE4294967295ELNS1_3gpuE0ELNS1_3repE0EEENS1_30default_config_static_selectorELNS0_4arch9wavefront6targetE0EEEvSR_
	.p2align	8
	.type	_ZN7rocprim17ROCPRIM_400000_NS6detail17trampoline_kernelINS0_14default_configENS1_32segmented_reduce_config_selectorIN3c104HalfEEEZNS1_21segmented_reduce_implIS3_PKS6_PS6_PKlS6_N6hipcub16HIPCUB_304000_NS6detail27convert_result_type_wrapperISA_SB_N2at6native12_GLOBAL__N_19CustomMaxEEEEE10hipError_tPvRmT0_T1_jT2_SS_T4_T3_P12ihipStream_tbEUlT_E_NS1_11comp_targetILNS1_3genE0ELNS1_11target_archE4294967295ELNS1_3gpuE0ELNS1_3repE0EEENS1_30default_config_static_selectorELNS0_4arch9wavefront6targetE0EEEvSR_,@function
_ZN7rocprim17ROCPRIM_400000_NS6detail17trampoline_kernelINS0_14default_configENS1_32segmented_reduce_config_selectorIN3c104HalfEEEZNS1_21segmented_reduce_implIS3_PKS6_PS6_PKlS6_N6hipcub16HIPCUB_304000_NS6detail27convert_result_type_wrapperISA_SB_N2at6native12_GLOBAL__N_19CustomMaxEEEEE10hipError_tPvRmT0_T1_jT2_SS_T4_T3_P12ihipStream_tbEUlT_E_NS1_11comp_targetILNS1_3genE0ELNS1_11target_archE4294967295ELNS1_3gpuE0ELNS1_3repE0EEENS1_30default_config_static_selectorELNS0_4arch9wavefront6targetE0EEEvSR_: ; @_ZN7rocprim17ROCPRIM_400000_NS6detail17trampoline_kernelINS0_14default_configENS1_32segmented_reduce_config_selectorIN3c104HalfEEEZNS1_21segmented_reduce_implIS3_PKS6_PS6_PKlS6_N6hipcub16HIPCUB_304000_NS6detail27convert_result_type_wrapperISA_SB_N2at6native12_GLOBAL__N_19CustomMaxEEEEE10hipError_tPvRmT0_T1_jT2_SS_T4_T3_P12ihipStream_tbEUlT_E_NS1_11comp_targetILNS1_3genE0ELNS1_11target_archE4294967295ELNS1_3gpuE0ELNS1_3repE0EEENS1_30default_config_static_selectorELNS0_4arch9wavefront6targetE0EEEvSR_
; %bb.0:
	v_mov_b32_e32 v1, 0
	s_clause 0x1
	s_load_b256 s[16:23], s[0:1], 0x0
	s_load_b64 s[2:3], s[0:1], 0x20
	s_bfe_u32 s4, ttmp6, 0x4000c
	s_and_b32 s5, ttmp6, 15
	s_add_co_i32 s4, s4, 1
	global_load_u16 v6, v1, s[0:1] offset:42
	s_mul_i32 s4, ttmp9, s4
	s_getreg_b32 s6, hwreg(HW_REG_IB_STS2, 6, 4)
	s_add_co_i32 s7, s5, s4
	s_mov_b32 s15, 0
	s_wait_kmcnt 0x0
	s_lshl_b64 s[0:1], s[20:21], 3
	s_cmp_eq_u32 s6, 0
	s_add_nc_u64 s[4:5], s[22:23], s[0:1]
	s_cselect_b32 s22, ttmp9, s7
	s_add_nc_u64 s[0:1], s[2:3], s[0:1]
	s_load_b64 s[26:27], s[4:5], s22 offset:0x0 scale_offset
	s_load_b64 s[24:25], s[0:1], s22 offset:0x0 scale_offset
	s_mov_b32 s23, 0
	s_wait_xcnt 0x0
	s_mov_b32 s1, -1
	s_wait_kmcnt 0x0
	v_cmp_gt_i64_e64 s0, s[24:25], s[26:27]
	s_and_b32 vcc_lo, exec_lo, s0
	v_cmp_eq_u32_e64 s0, 0, v0
	s_cbranch_vccz .LBB213_4
; %bb.1:
	s_and_not1_b32 vcc_lo, exec_lo, s1
	s_cbranch_vccz .LBB213_5
.LBB213_2:
	s_and_saveexec_b32 s0, s15
	s_cbranch_execnz .LBB213_408
.LBB213_3:
	s_endpgm
.LBB213_4:
	s_and_b32 s15, s0, exec_lo
	s_cbranch_execnz .LBB213_2
.LBB213_5:
	s_add_nc_u64 s[0:1], s[26:27], 0x1000
	s_delay_alu instid0(SALU_CYCLE_1)
	v_cmp_le_i64_e64 s2, s[0:1], s[24:25]
	s_and_b32 vcc_lo, exec_lo, s2
	s_cbranch_vccz .LBB213_133
; %bb.6:
	s_lshl_b64 s[2:3], s[26:27], 1
	s_mov_b32 s4, exec_lo
	s_add_nc_u64 s[2:3], s[16:17], s[2:3]
	s_clause 0xf
	global_load_u16 v20, v0, s[2:3] scale_offset
	global_load_u16 v19, v0, s[2:3] offset:512 scale_offset
	global_load_u16 v18, v0, s[2:3] offset:1024 scale_offset
	;; [unrolled: 1-line block ×15, first 2 shown]
	s_wait_loadcnt 0xf
	v_mov_b32_e32 v12, v20
	s_wait_xcnt 0x0
	v_cmpx_o_f16_e32 v20, v20
	s_cbranch_execz .LBB213_10
; %bb.7:
	s_wait_loadcnt 0xe
	v_mov_b32_e32 v12, v19
	s_mov_b32 s5, exec_lo
	v_cmpx_o_f16_e32 v19, v19
; %bb.8:
	v_cmp_gt_f16_e32 vcc_lo, v19, v20
	v_cndmask_b32_e32 v12, v20, v19, vcc_lo
; %bb.9:
	s_or_b32 exec_lo, exec_lo, s5
.LBB213_10:
	s_delay_alu instid0(SALU_CYCLE_1) | instskip(NEXT) | instid1(SALU_CYCLE_1)
	s_or_b32 exec_lo, exec_lo, s4
	s_mov_b32 s4, exec_lo
	s_delay_alu instid0(VALU_DEP_1)
	v_cmpx_o_f16_e32 v12, v12
	s_cbranch_execz .LBB213_14
; %bb.11:
	s_wait_loadcnt 0xd
	v_mov_b32_e32 v2, v18
	s_mov_b32 s5, exec_lo
	v_cmpx_o_f16_e32 v18, v18
; %bb.12:
	v_cmp_lt_f16_e32 vcc_lo, v12, v18
	v_cndmask_b32_e32 v2, v12, v18, vcc_lo
; %bb.13:
	s_or_b32 exec_lo, exec_lo, s5
	s_delay_alu instid0(VALU_DEP_1)
	v_mov_b32_e32 v12, v2
.LBB213_14:
	s_or_b32 exec_lo, exec_lo, s4
	s_delay_alu instid0(SALU_CYCLE_1) | instskip(NEXT) | instid1(VALU_DEP_1)
	s_mov_b32 s4, exec_lo
	v_cmpx_o_f16_e32 v12, v12
	s_cbranch_execz .LBB213_18
; %bb.15:
	s_wait_loadcnt 0xc
	v_mov_b32_e32 v2, v17
	s_mov_b32 s5, exec_lo
	v_cmpx_o_f16_e32 v17, v17
; %bb.16:
	v_cmp_lt_f16_e32 vcc_lo, v12, v17
	v_cndmask_b32_e32 v2, v12, v17, vcc_lo
; %bb.17:
	s_or_b32 exec_lo, exec_lo, s5
	s_delay_alu instid0(VALU_DEP_1)
	v_mov_b32_e32 v12, v2
.LBB213_18:
	s_or_b32 exec_lo, exec_lo, s4
	s_delay_alu instid0(SALU_CYCLE_1) | instskip(NEXT) | instid1(VALU_DEP_1)
	s_mov_b32 s4, exec_lo
	v_cmpx_o_f16_e32 v12, v12
	s_cbranch_execz .LBB213_22
; %bb.19:
	s_wait_loadcnt 0xb
	v_mov_b32_e32 v2, v16
	s_mov_b32 s5, exec_lo
	v_cmpx_o_f16_e32 v16, v16
; %bb.20:
	v_cmp_lt_f16_e32 vcc_lo, v12, v16
	v_cndmask_b32_e32 v2, v12, v16, vcc_lo
; %bb.21:
	s_or_b32 exec_lo, exec_lo, s5
	s_delay_alu instid0(VALU_DEP_1)
	v_mov_b32_e32 v12, v2
.LBB213_22:
	s_or_b32 exec_lo, exec_lo, s4
	s_delay_alu instid0(SALU_CYCLE_1) | instskip(NEXT) | instid1(VALU_DEP_1)
	s_mov_b32 s4, exec_lo
	v_cmpx_o_f16_e32 v12, v12
	s_cbranch_execz .LBB213_26
; %bb.23:
	s_wait_loadcnt 0xa
	v_mov_b32_e32 v2, v15
	s_mov_b32 s5, exec_lo
	v_cmpx_o_f16_e32 v15, v15
; %bb.24:
	v_cmp_lt_f16_e32 vcc_lo, v12, v15
	v_cndmask_b32_e32 v2, v12, v15, vcc_lo
; %bb.25:
	s_or_b32 exec_lo, exec_lo, s5
	s_delay_alu instid0(VALU_DEP_1)
	v_mov_b32_e32 v12, v2
.LBB213_26:
	s_or_b32 exec_lo, exec_lo, s4
	s_delay_alu instid0(SALU_CYCLE_1) | instskip(NEXT) | instid1(VALU_DEP_1)
	s_mov_b32 s4, exec_lo
	v_cmpx_o_f16_e32 v12, v12
	s_cbranch_execz .LBB213_30
; %bb.27:
	s_wait_loadcnt 0x9
	v_mov_b32_e32 v2, v14
	s_mov_b32 s5, exec_lo
	v_cmpx_o_f16_e32 v14, v14
; %bb.28:
	v_cmp_lt_f16_e32 vcc_lo, v12, v14
	v_cndmask_b32_e32 v2, v12, v14, vcc_lo
; %bb.29:
	s_or_b32 exec_lo, exec_lo, s5
	s_delay_alu instid0(VALU_DEP_1)
	v_mov_b32_e32 v12, v2
.LBB213_30:
	s_or_b32 exec_lo, exec_lo, s4
	s_delay_alu instid0(SALU_CYCLE_1) | instskip(NEXT) | instid1(VALU_DEP_1)
	s_mov_b32 s4, exec_lo
	v_cmpx_o_f16_e32 v12, v12
	s_cbranch_execz .LBB213_34
; %bb.31:
	s_wait_loadcnt 0x8
	v_mov_b32_e32 v2, v13
	s_mov_b32 s5, exec_lo
	v_cmpx_o_f16_e32 v13, v13
; %bb.32:
	v_cmp_lt_f16_e32 vcc_lo, v12, v13
	v_cndmask_b32_e32 v2, v12, v13, vcc_lo
; %bb.33:
	s_or_b32 exec_lo, exec_lo, s5
	s_delay_alu instid0(VALU_DEP_1)
	v_mov_b32_e32 v12, v2
.LBB213_34:
	s_or_b32 exec_lo, exec_lo, s4
	s_delay_alu instid0(SALU_CYCLE_1) | instskip(NEXT) | instid1(VALU_DEP_1)
	s_mov_b32 s4, exec_lo
	v_cmpx_o_f16_e32 v12, v12
	s_cbranch_execz .LBB213_38
; %bb.35:
	s_wait_loadcnt 0x7
	v_mov_b32_e32 v2, v11
	s_mov_b32 s5, exec_lo
	v_cmpx_o_f16_e32 v11, v11
; %bb.36:
	v_cmp_lt_f16_e32 vcc_lo, v12, v11
	v_cndmask_b32_e32 v2, v12, v11, vcc_lo
; %bb.37:
	s_or_b32 exec_lo, exec_lo, s5
	s_delay_alu instid0(VALU_DEP_1)
	v_mov_b32_e32 v12, v2
.LBB213_38:
	s_or_b32 exec_lo, exec_lo, s4
	s_delay_alu instid0(SALU_CYCLE_1) | instskip(NEXT) | instid1(VALU_DEP_1)
	s_mov_b32 s4, exec_lo
	v_cmpx_o_f16_e32 v12, v12
	s_cbranch_execz .LBB213_42
; %bb.39:
	s_wait_loadcnt 0x6
	v_mov_b32_e32 v2, v10
	s_mov_b32 s5, exec_lo
	v_cmpx_o_f16_e32 v10, v10
; %bb.40:
	v_cmp_lt_f16_e32 vcc_lo, v12, v10
	v_cndmask_b32_e32 v2, v12, v10, vcc_lo
; %bb.41:
	s_or_b32 exec_lo, exec_lo, s5
	s_delay_alu instid0(VALU_DEP_1)
	v_mov_b32_e32 v12, v2
.LBB213_42:
	s_or_b32 exec_lo, exec_lo, s4
	s_delay_alu instid0(SALU_CYCLE_1) | instskip(NEXT) | instid1(VALU_DEP_1)
	s_mov_b32 s4, exec_lo
	v_cmpx_o_f16_e32 v12, v12
	s_cbranch_execz .LBB213_46
; %bb.43:
	s_wait_loadcnt 0x5
	v_mov_b32_e32 v2, v9
	s_mov_b32 s5, exec_lo
	v_cmpx_o_f16_e32 v9, v9
; %bb.44:
	v_cmp_lt_f16_e32 vcc_lo, v12, v9
	v_cndmask_b32_e32 v2, v12, v9, vcc_lo
; %bb.45:
	s_or_b32 exec_lo, exec_lo, s5
	s_delay_alu instid0(VALU_DEP_1)
	v_mov_b32_e32 v12, v2
.LBB213_46:
	s_or_b32 exec_lo, exec_lo, s4
	s_delay_alu instid0(SALU_CYCLE_1) | instskip(NEXT) | instid1(VALU_DEP_1)
	s_mov_b32 s4, exec_lo
	v_cmpx_o_f16_e32 v12, v12
	s_cbranch_execz .LBB213_50
; %bb.47:
	s_wait_loadcnt 0x4
	v_mov_b32_e32 v2, v8
	s_mov_b32 s5, exec_lo
	v_cmpx_o_f16_e32 v8, v8
; %bb.48:
	v_cmp_lt_f16_e32 vcc_lo, v12, v8
	v_cndmask_b32_e32 v2, v12, v8, vcc_lo
; %bb.49:
	s_or_b32 exec_lo, exec_lo, s5
	s_delay_alu instid0(VALU_DEP_1)
	v_mov_b32_e32 v12, v2
.LBB213_50:
	s_or_b32 exec_lo, exec_lo, s4
	s_delay_alu instid0(SALU_CYCLE_1) | instskip(NEXT) | instid1(VALU_DEP_1)
	s_mov_b32 s4, exec_lo
	v_cmpx_o_f16_e32 v12, v12
	s_cbranch_execz .LBB213_54
; %bb.51:
	s_wait_loadcnt 0x3
	v_mov_b32_e32 v2, v7
	s_mov_b32 s5, exec_lo
	v_cmpx_o_f16_e32 v7, v7
; %bb.52:
	v_cmp_lt_f16_e32 vcc_lo, v12, v7
	v_cndmask_b32_e32 v2, v12, v7, vcc_lo
; %bb.53:
	s_or_b32 exec_lo, exec_lo, s5
	s_delay_alu instid0(VALU_DEP_1)
	v_mov_b32_e32 v12, v2
.LBB213_54:
	s_or_b32 exec_lo, exec_lo, s4
	s_delay_alu instid0(SALU_CYCLE_1) | instskip(NEXT) | instid1(VALU_DEP_1)
	s_mov_b32 s4, exec_lo
	v_cmpx_o_f16_e32 v12, v12
	s_cbranch_execz .LBB213_58
; %bb.55:
	s_wait_loadcnt 0x2
	v_mov_b32_e32 v2, v5
	s_mov_b32 s5, exec_lo
	v_cmpx_o_f16_e32 v5, v5
; %bb.56:
	v_cmp_lt_f16_e32 vcc_lo, v12, v5
	v_cndmask_b32_e32 v2, v12, v5, vcc_lo
; %bb.57:
	s_or_b32 exec_lo, exec_lo, s5
	s_delay_alu instid0(VALU_DEP_1)
	v_mov_b32_e32 v12, v2
.LBB213_58:
	s_or_b32 exec_lo, exec_lo, s4
	s_delay_alu instid0(SALU_CYCLE_1) | instskip(NEXT) | instid1(VALU_DEP_1)
	s_mov_b32 s4, exec_lo
	v_cmpx_o_f16_e32 v12, v12
	s_cbranch_execz .LBB213_62
; %bb.59:
	s_wait_loadcnt 0x1
	v_mov_b32_e32 v2, v4
	s_mov_b32 s5, exec_lo
	v_cmpx_o_f16_e32 v4, v4
; %bb.60:
	v_cmp_lt_f16_e32 vcc_lo, v12, v4
	v_cndmask_b32_e32 v2, v12, v4, vcc_lo
; %bb.61:
	s_or_b32 exec_lo, exec_lo, s5
	s_delay_alu instid0(VALU_DEP_1)
	v_mov_b32_e32 v12, v2
.LBB213_62:
	s_or_b32 exec_lo, exec_lo, s4
	s_delay_alu instid0(SALU_CYCLE_1) | instskip(NEXT) | instid1(VALU_DEP_1)
	s_mov_b32 s4, exec_lo
	v_cmpx_o_f16_e32 v12, v12
	s_cbranch_execz .LBB213_66
; %bb.63:
	s_wait_loadcnt 0x0
	v_mov_b32_e32 v2, v1
	s_mov_b32 s5, exec_lo
	v_cmpx_o_f16_e32 v1, v1
; %bb.64:
	v_cmp_lt_f16_e32 vcc_lo, v12, v1
	v_cndmask_b32_e32 v2, v12, v1, vcc_lo
; %bb.65:
	s_or_b32 exec_lo, exec_lo, s5
	s_delay_alu instid0(VALU_DEP_1)
	v_mov_b32_e32 v12, v2
.LBB213_66:
	s_or_b32 exec_lo, exec_lo, s4
	s_add_nc_u64 s[4:5], s[26:27], 0x2000
	s_delay_alu instid0(SALU_CYCLE_1)
	v_cmp_ge_i64_e64 s4, s[4:5], s[24:25]
	s_and_b32 vcc_lo, exec_lo, s4
	s_cbranch_vccnz .LBB213_134
; %bb.67:
	v_dual_mov_b32 v3, 0 :: v_dual_lshlrev_b32 v2, 1, v0
	s_delay_alu instid0(VALU_DEP_1) | instskip(NEXT) | instid1(VALU_DEP_1)
	v_add_nc_u64_e32 v[2:3], s[2:3], v[2:3]
	v_add_nc_u64_e32 v[2:3], 0x2000, v[2:3]
	s_branch .LBB213_70
.LBB213_68:                             ;   in Loop: Header=BB213_70 Depth=1
	s_or_b32 exec_lo, exec_lo, s3
	s_delay_alu instid0(VALU_DEP_1)
	v_mov_b32_e32 v12, v22
.LBB213_69:                             ;   in Loop: Header=BB213_70 Depth=1
	s_or_b32 exec_lo, exec_lo, s2
	s_add_nc_u64 s[2:3], s[0:1], 0x2000
	v_add_nc_u64_e32 v[2:3], 0x2000, v[2:3]
	v_cmp_lt_i64_e64 s2, s[2:3], s[24:25]
	s_add_nc_u64 s[0:1], s[0:1], 0x1000
	s_and_b32 vcc_lo, exec_lo, s2
	s_cbranch_vccz .LBB213_134
.LBB213_70:                             ; =>This Inner Loop Header: Depth=1
	s_wait_loadcnt 0xf
	global_load_u16 v20, v[2:3], off
	s_wait_loadcnt 0xf
	global_load_u16 v19, v[2:3], off offset:512
	s_wait_loadcnt 0xf
	global_load_u16 v18, v[2:3], off offset:1024
	;; [unrolled: 2-line block ×15, first 2 shown]
	v_mov_b32_e32 v21, v12
	s_mov_b32 s2, exec_lo
	s_wait_xcnt 0x0
	v_cmpx_o_f16_e32 v12, v12
	s_cbranch_execz .LBB213_74
; %bb.71:                               ;   in Loop: Header=BB213_70 Depth=1
	s_wait_loadcnt 0xf
	v_mov_b32_e32 v21, v20
	s_mov_b32 s3, exec_lo
	v_cmpx_o_f16_e32 v20, v20
; %bb.72:                               ;   in Loop: Header=BB213_70 Depth=1
	v_cmp_gt_f16_e32 vcc_lo, v20, v12
	v_cndmask_b32_e32 v21, v12, v20, vcc_lo
; %bb.73:                               ;   in Loop: Header=BB213_70 Depth=1
	s_or_b32 exec_lo, exec_lo, s3
	s_delay_alu instid0(VALU_DEP_1)
	v_mov_b32_e32 v12, v21
.LBB213_74:                             ;   in Loop: Header=BB213_70 Depth=1
	s_or_b32 exec_lo, exec_lo, s2
	s_delay_alu instid0(SALU_CYCLE_1)
	s_mov_b32 s2, exec_lo
	v_cmpx_o_f16_e32 v21, v21
	s_cbranch_execz .LBB213_78
; %bb.75:                               ;   in Loop: Header=BB213_70 Depth=1
	s_wait_loadcnt 0xe
	v_mov_b32_e32 v22, v19
	s_mov_b32 s3, exec_lo
	v_cmpx_o_f16_e32 v19, v19
; %bb.76:                               ;   in Loop: Header=BB213_70 Depth=1
	v_cmp_lt_f16_e32 vcc_lo, v21, v19
	v_cndmask_b32_e32 v22, v12, v19, vcc_lo
; %bb.77:                               ;   in Loop: Header=BB213_70 Depth=1
	s_or_b32 exec_lo, exec_lo, s3
	s_delay_alu instid0(VALU_DEP_1)
	v_dual_mov_b32 v21, v22 :: v_dual_mov_b32 v12, v22
.LBB213_78:                             ;   in Loop: Header=BB213_70 Depth=1
	s_or_b32 exec_lo, exec_lo, s2
	s_delay_alu instid0(SALU_CYCLE_1) | instskip(NEXT) | instid1(VALU_DEP_1)
	s_mov_b32 s2, exec_lo
	v_cmpx_o_f16_e32 v21, v21
	s_cbranch_execz .LBB213_82
; %bb.79:                               ;   in Loop: Header=BB213_70 Depth=1
	s_wait_loadcnt 0xd
	v_mov_b32_e32 v22, v18
	s_mov_b32 s3, exec_lo
	v_cmpx_o_f16_e32 v18, v18
; %bb.80:                               ;   in Loop: Header=BB213_70 Depth=1
	v_cmp_lt_f16_e32 vcc_lo, v21, v18
	v_cndmask_b32_e32 v22, v12, v18, vcc_lo
; %bb.81:                               ;   in Loop: Header=BB213_70 Depth=1
	s_or_b32 exec_lo, exec_lo, s3
	s_delay_alu instid0(VALU_DEP_1)
	v_dual_mov_b32 v21, v22 :: v_dual_mov_b32 v12, v22
.LBB213_82:                             ;   in Loop: Header=BB213_70 Depth=1
	s_or_b32 exec_lo, exec_lo, s2
	s_delay_alu instid0(SALU_CYCLE_1) | instskip(NEXT) | instid1(VALU_DEP_1)
	;; [unrolled: 18-line block ×6, first 2 shown]
	s_mov_b32 s2, exec_lo
	v_cmpx_o_f16_e32 v21, v21
	s_cbranch_execz .LBB213_102
; %bb.99:                               ;   in Loop: Header=BB213_70 Depth=1
	s_wait_loadcnt 0x8
	v_mov_b32_e32 v22, v13
	s_mov_b32 s3, exec_lo
	v_cmpx_o_f16_e32 v13, v13
; %bb.100:                              ;   in Loop: Header=BB213_70 Depth=1
	v_cmp_lt_f16_e32 vcc_lo, v21, v13
	v_cndmask_b32_e32 v22, v12, v13, vcc_lo
; %bb.101:                              ;   in Loop: Header=BB213_70 Depth=1
	s_or_b32 exec_lo, exec_lo, s3
	s_delay_alu instid0(VALU_DEP_1)
	v_dual_mov_b32 v21, v22 :: v_dual_mov_b32 v12, v22
.LBB213_102:                            ;   in Loop: Header=BB213_70 Depth=1
	s_or_b32 exec_lo, exec_lo, s2
	s_delay_alu instid0(SALU_CYCLE_1) | instskip(NEXT) | instid1(VALU_DEP_1)
	s_mov_b32 s2, exec_lo
	v_cmpx_o_f16_e32 v21, v21
	s_cbranch_execz .LBB213_106
; %bb.103:                              ;   in Loop: Header=BB213_70 Depth=1
	s_wait_loadcnt 0x7
	v_mov_b32_e32 v22, v11
	s_mov_b32 s3, exec_lo
	v_cmpx_o_f16_e32 v11, v11
; %bb.104:                              ;   in Loop: Header=BB213_70 Depth=1
	v_cmp_lt_f16_e32 vcc_lo, v21, v11
	v_cndmask_b32_e32 v22, v12, v11, vcc_lo
; %bb.105:                              ;   in Loop: Header=BB213_70 Depth=1
	s_or_b32 exec_lo, exec_lo, s3
	s_delay_alu instid0(VALU_DEP_1)
	v_dual_mov_b32 v21, v22 :: v_dual_mov_b32 v12, v22
.LBB213_106:                            ;   in Loop: Header=BB213_70 Depth=1
	s_or_b32 exec_lo, exec_lo, s2
	s_delay_alu instid0(SALU_CYCLE_1) | instskip(NEXT) | instid1(VALU_DEP_1)
	s_mov_b32 s2, exec_lo
	v_cmpx_o_f16_e32 v21, v21
	s_cbranch_execz .LBB213_110
; %bb.107:                              ;   in Loop: Header=BB213_70 Depth=1
	s_wait_loadcnt 0x6
	v_mov_b32_e32 v22, v10
	s_mov_b32 s3, exec_lo
	v_cmpx_o_f16_e32 v10, v10
; %bb.108:                              ;   in Loop: Header=BB213_70 Depth=1
	v_cmp_lt_f16_e32 vcc_lo, v21, v10
	v_cndmask_b32_e32 v22, v12, v10, vcc_lo
; %bb.109:                              ;   in Loop: Header=BB213_70 Depth=1
	s_or_b32 exec_lo, exec_lo, s3
	s_delay_alu instid0(VALU_DEP_1)
	v_dual_mov_b32 v21, v22 :: v_dual_mov_b32 v12, v22
.LBB213_110:                            ;   in Loop: Header=BB213_70 Depth=1
	;; [unrolled: 18-line block ×7, first 2 shown]
	s_or_b32 exec_lo, exec_lo, s2
	s_delay_alu instid0(SALU_CYCLE_1) | instskip(NEXT) | instid1(VALU_DEP_1)
	s_mov_b32 s2, exec_lo
	v_cmpx_o_f16_e32 v21, v21
	s_cbranch_execz .LBB213_69
; %bb.131:                              ;   in Loop: Header=BB213_70 Depth=1
	s_wait_loadcnt 0x0
	v_mov_b32_e32 v22, v1
	s_mov_b32 s3, exec_lo
	v_cmpx_o_f16_e32 v1, v1
	s_cbranch_execz .LBB213_68
; %bb.132:                              ;   in Loop: Header=BB213_70 Depth=1
	v_cmp_lt_f16_e32 vcc_lo, v21, v1
	v_cndmask_b32_e32 v22, v12, v1, vcc_lo
	s_branch .LBB213_68
.LBB213_133:
                                        ; implicit-def: $vgpr2
	s_cbranch_execnz .LBB213_299
	s_branch .LBB213_401
.LBB213_134:
	s_sub_co_i32 s30, s24, s0
	s_lshl_b64 s[0:1], s[0:1], 1
	v_cmp_gt_u32_e64 s14, s30, v0
	s_add_nc_u64 s[28:29], s[16:17], s[0:1]
	s_and_saveexec_b32 s0, s14
	s_cbranch_execz .LBB213_136
; %bb.135:
	s_wait_loadcnt 0xf
	global_load_u16 v20, v0, s[28:29] scale_offset
.LBB213_136:
	s_wait_xcnt 0x0
	s_or_b32 exec_lo, exec_lo, s0
	v_or_b32_e32 v2, 0x100, v0
	s_delay_alu instid0(VALU_DEP_1)
	v_cmp_gt_u32_e64 s13, s30, v2
	s_and_saveexec_b32 s0, s13
	s_cbranch_execz .LBB213_138
; %bb.137:
	s_wait_loadcnt 0xe
	global_load_u16 v19, v0, s[28:29] offset:512 scale_offset
.LBB213_138:
	s_wait_xcnt 0x0
	s_or_b32 exec_lo, exec_lo, s0
	v_or_b32_e32 v2, 0x200, v0
	s_delay_alu instid0(VALU_DEP_1)
	v_cmp_gt_u32_e64 s12, s30, v2
	s_and_saveexec_b32 s0, s12
	s_cbranch_execz .LBB213_140
; %bb.139:
	s_wait_loadcnt 0xd
	global_load_u16 v18, v0, s[28:29] offset:1024 scale_offset
.LBB213_140:
	;; [unrolled: 11-line block ×14, first 2 shown]
	s_wait_xcnt 0x0
	s_or_b32 exec_lo, exec_lo, s31
	v_or_b32_e32 v2, 0xf00, v0
	s_delay_alu instid0(VALU_DEP_1)
	v_cmp_gt_u32_e32 vcc_lo, s30, v2
	s_and_saveexec_b32 s30, vcc_lo
	s_cbranch_execnz .LBB213_181
; %bb.165:
	s_or_b32 exec_lo, exec_lo, s30
	s_and_saveexec_b32 s28, s14
	s_cbranch_execnz .LBB213_182
.LBB213_166:
	s_or_b32 exec_lo, exec_lo, s28
	s_and_saveexec_b32 s14, s13
	s_cbranch_execnz .LBB213_187
.LBB213_167:
	s_or_b32 exec_lo, exec_lo, s14
	s_and_saveexec_b32 s13, s12
	s_cbranch_execnz .LBB213_192
.LBB213_168:
	s_or_b32 exec_lo, exec_lo, s13
	s_and_saveexec_b32 s12, s11
	s_cbranch_execnz .LBB213_197
.LBB213_169:
	s_or_b32 exec_lo, exec_lo, s12
	s_and_saveexec_b32 s11, s10
	s_cbranch_execnz .LBB213_202
.LBB213_170:
	s_or_b32 exec_lo, exec_lo, s11
	s_and_saveexec_b32 s10, s9
	s_cbranch_execnz .LBB213_207
.LBB213_171:
	s_or_b32 exec_lo, exec_lo, s10
	s_and_saveexec_b32 s9, s8
	s_cbranch_execnz .LBB213_212
.LBB213_172:
	s_or_b32 exec_lo, exec_lo, s9
	s_and_saveexec_b32 s8, s7
	s_cbranch_execnz .LBB213_217
.LBB213_173:
	s_or_b32 exec_lo, exec_lo, s8
	s_and_saveexec_b32 s7, s6
	s_cbranch_execnz .LBB213_222
.LBB213_174:
	s_or_b32 exec_lo, exec_lo, s7
	s_and_saveexec_b32 s6, s5
	s_cbranch_execnz .LBB213_227
.LBB213_175:
	s_or_b32 exec_lo, exec_lo, s6
	s_and_saveexec_b32 s5, s4
	s_cbranch_execnz .LBB213_232
.LBB213_176:
	s_or_b32 exec_lo, exec_lo, s5
	s_and_saveexec_b32 s4, s3
	s_cbranch_execnz .LBB213_237
.LBB213_177:
	s_or_b32 exec_lo, exec_lo, s4
	s_and_saveexec_b32 s3, s2
	s_cbranch_execnz .LBB213_242
.LBB213_178:
	s_or_b32 exec_lo, exec_lo, s3
	s_and_saveexec_b32 s2, s1
	s_cbranch_execnz .LBB213_247
.LBB213_179:
	s_or_b32 exec_lo, exec_lo, s2
	s_and_saveexec_b32 s1, s0
	s_cbranch_execnz .LBB213_252
.LBB213_180:
	s_or_b32 exec_lo, exec_lo, s1
	s_and_saveexec_b32 s0, vcc_lo
	s_cbranch_execnz .LBB213_257
	s_branch .LBB213_262
.LBB213_181:
	s_wait_loadcnt 0x0
	global_load_u16 v1, v0, s[28:29] offset:7680 scale_offset
	s_wait_xcnt 0x0
	s_or_b32 exec_lo, exec_lo, s30
	s_and_saveexec_b32 s28, s14
	s_cbranch_execz .LBB213_166
.LBB213_182:
	s_mov_b32 s29, exec_lo
	v_cmpx_o_f16_e32 v12, v12
	s_cbranch_execz .LBB213_186
; %bb.183:
	s_mov_b32 s30, exec_lo
	s_wait_loadcnt 0x0
	v_cmpx_o_f16_e32 v20, v20
; %bb.184:
	v_cmp_gt_f16_e64 s14, v20, v12
	s_delay_alu instid0(VALU_DEP_1)
	v_cndmask_b32_e64 v20, v12, v20, s14
; %bb.185:
	s_or_b32 exec_lo, exec_lo, s30
	s_delay_alu instid0(VALU_DEP_1)
	v_mov_b32_e32 v12, v20
.LBB213_186:
	s_or_b32 exec_lo, exec_lo, s29
	s_delay_alu instid0(SALU_CYCLE_1)
	s_or_b32 exec_lo, exec_lo, s28
	s_and_saveexec_b32 s14, s13
	s_cbranch_execz .LBB213_167
.LBB213_187:
	s_mov_b32 s28, exec_lo
	v_cmpx_o_f16_e32 v12, v12
	s_cbranch_execz .LBB213_191
; %bb.188:
	s_mov_b32 s29, exec_lo
	s_wait_loadcnt 0x0
	v_cmpx_o_f16_e32 v19, v19
; %bb.189:
	v_cmp_gt_f16_e64 s13, v19, v12
	s_delay_alu instid0(VALU_DEP_1)
	v_cndmask_b32_e64 v19, v12, v19, s13
; %bb.190:
	s_or_b32 exec_lo, exec_lo, s29
	s_delay_alu instid0(VALU_DEP_1)
	v_mov_b32_e32 v12, v19
.LBB213_191:
	s_or_b32 exec_lo, exec_lo, s28
	s_delay_alu instid0(SALU_CYCLE_1)
	s_or_b32 exec_lo, exec_lo, s14
	s_and_saveexec_b32 s13, s12
	s_cbranch_execz .LBB213_168
.LBB213_192:
	s_mov_b32 s14, exec_lo
	v_cmpx_o_f16_e32 v12, v12
	s_cbranch_execz .LBB213_196
; %bb.193:
	s_mov_b32 s28, exec_lo
	s_wait_loadcnt 0x0
	v_cmpx_o_f16_e32 v18, v18
; %bb.194:
	v_cmp_gt_f16_e64 s12, v18, v12
	s_delay_alu instid0(VALU_DEP_1)
	v_cndmask_b32_e64 v18, v12, v18, s12
; %bb.195:
	s_or_b32 exec_lo, exec_lo, s28
	s_delay_alu instid0(VALU_DEP_1)
	v_mov_b32_e32 v12, v18
.LBB213_196:
	s_or_b32 exec_lo, exec_lo, s14
	s_delay_alu instid0(SALU_CYCLE_1)
	s_or_b32 exec_lo, exec_lo, s13
	s_and_saveexec_b32 s12, s11
	s_cbranch_execz .LBB213_169
.LBB213_197:
	s_mov_b32 s13, exec_lo
	v_cmpx_o_f16_e32 v12, v12
	s_cbranch_execz .LBB213_201
; %bb.198:
	s_mov_b32 s14, exec_lo
	s_wait_loadcnt 0x0
	v_cmpx_o_f16_e32 v17, v17
; %bb.199:
	v_cmp_gt_f16_e64 s11, v17, v12
	s_delay_alu instid0(VALU_DEP_1)
	v_cndmask_b32_e64 v17, v12, v17, s11
; %bb.200:
	s_or_b32 exec_lo, exec_lo, s14
	s_delay_alu instid0(VALU_DEP_1)
	v_mov_b32_e32 v12, v17
.LBB213_201:
	s_or_b32 exec_lo, exec_lo, s13
	s_delay_alu instid0(SALU_CYCLE_1)
	s_or_b32 exec_lo, exec_lo, s12
	s_and_saveexec_b32 s11, s10
	s_cbranch_execz .LBB213_170
.LBB213_202:
	s_mov_b32 s12, exec_lo
	v_cmpx_o_f16_e32 v12, v12
	s_cbranch_execz .LBB213_206
; %bb.203:
	s_mov_b32 s13, exec_lo
	s_wait_loadcnt 0x0
	v_cmpx_o_f16_e32 v16, v16
; %bb.204:
	v_cmp_gt_f16_e64 s10, v16, v12
	s_delay_alu instid0(VALU_DEP_1)
	v_cndmask_b32_e64 v16, v12, v16, s10
; %bb.205:
	s_or_b32 exec_lo, exec_lo, s13
	s_delay_alu instid0(VALU_DEP_1)
	v_mov_b32_e32 v12, v16
.LBB213_206:
	s_or_b32 exec_lo, exec_lo, s12
	s_delay_alu instid0(SALU_CYCLE_1)
	s_or_b32 exec_lo, exec_lo, s11
	s_and_saveexec_b32 s10, s9
	s_cbranch_execz .LBB213_171
.LBB213_207:
	s_mov_b32 s11, exec_lo
	v_cmpx_o_f16_e32 v12, v12
	s_cbranch_execz .LBB213_211
; %bb.208:
	s_mov_b32 s12, exec_lo
	s_wait_loadcnt 0x0
	v_cmpx_o_f16_e32 v15, v15
; %bb.209:
	v_cmp_gt_f16_e64 s9, v15, v12
	s_delay_alu instid0(VALU_DEP_1)
	v_cndmask_b32_e64 v15, v12, v15, s9
; %bb.210:
	s_or_b32 exec_lo, exec_lo, s12
	s_delay_alu instid0(VALU_DEP_1)
	v_mov_b32_e32 v12, v15
.LBB213_211:
	s_or_b32 exec_lo, exec_lo, s11
	s_delay_alu instid0(SALU_CYCLE_1)
	s_or_b32 exec_lo, exec_lo, s10
	s_and_saveexec_b32 s9, s8
	s_cbranch_execz .LBB213_172
.LBB213_212:
	s_mov_b32 s10, exec_lo
	v_cmpx_o_f16_e32 v12, v12
	s_cbranch_execz .LBB213_216
; %bb.213:
	s_mov_b32 s11, exec_lo
	s_wait_loadcnt 0x0
	v_cmpx_o_f16_e32 v14, v14
; %bb.214:
	v_cmp_gt_f16_e64 s8, v14, v12
	s_delay_alu instid0(VALU_DEP_1)
	v_cndmask_b32_e64 v14, v12, v14, s8
; %bb.215:
	s_or_b32 exec_lo, exec_lo, s11
	s_delay_alu instid0(VALU_DEP_1)
	v_mov_b32_e32 v12, v14
.LBB213_216:
	s_or_b32 exec_lo, exec_lo, s10
	s_delay_alu instid0(SALU_CYCLE_1)
	s_or_b32 exec_lo, exec_lo, s9
	s_and_saveexec_b32 s8, s7
	s_cbranch_execz .LBB213_173
.LBB213_217:
	s_mov_b32 s9, exec_lo
	v_cmpx_o_f16_e32 v12, v12
	s_cbranch_execz .LBB213_221
; %bb.218:
	s_mov_b32 s10, exec_lo
	s_wait_loadcnt 0x0
	v_cmpx_o_f16_e32 v13, v13
; %bb.219:
	v_cmp_gt_f16_e64 s7, v13, v12
	s_delay_alu instid0(VALU_DEP_1)
	v_cndmask_b32_e64 v13, v12, v13, s7
; %bb.220:
	s_or_b32 exec_lo, exec_lo, s10
	s_delay_alu instid0(VALU_DEP_1)
	v_mov_b32_e32 v12, v13
.LBB213_221:
	s_or_b32 exec_lo, exec_lo, s9
	s_delay_alu instid0(SALU_CYCLE_1)
	s_or_b32 exec_lo, exec_lo, s8
	s_and_saveexec_b32 s7, s6
	s_cbranch_execz .LBB213_174
.LBB213_222:
	s_mov_b32 s8, exec_lo
	v_cmpx_o_f16_e32 v12, v12
	s_cbranch_execz .LBB213_226
; %bb.223:
	s_mov_b32 s9, exec_lo
	s_wait_loadcnt 0x0
	v_cmpx_o_f16_e32 v11, v11
; %bb.224:
	v_cmp_gt_f16_e64 s6, v11, v12
	s_delay_alu instid0(VALU_DEP_1)
	v_cndmask_b32_e64 v11, v12, v11, s6
; %bb.225:
	s_or_b32 exec_lo, exec_lo, s9
	s_delay_alu instid0(VALU_DEP_1)
	v_mov_b32_e32 v12, v11
.LBB213_226:
	s_or_b32 exec_lo, exec_lo, s8
	s_delay_alu instid0(SALU_CYCLE_1)
	s_or_b32 exec_lo, exec_lo, s7
	s_and_saveexec_b32 s6, s5
	s_cbranch_execz .LBB213_175
.LBB213_227:
	s_mov_b32 s7, exec_lo
	v_cmpx_o_f16_e32 v12, v12
	s_cbranch_execz .LBB213_231
; %bb.228:
	s_mov_b32 s8, exec_lo
	s_wait_loadcnt 0x0
	v_cmpx_o_f16_e32 v10, v10
; %bb.229:
	v_cmp_gt_f16_e64 s5, v10, v12
	s_delay_alu instid0(VALU_DEP_1)
	v_cndmask_b32_e64 v10, v12, v10, s5
; %bb.230:
	s_or_b32 exec_lo, exec_lo, s8
	s_delay_alu instid0(VALU_DEP_1)
	v_mov_b32_e32 v12, v10
.LBB213_231:
	s_or_b32 exec_lo, exec_lo, s7
	s_delay_alu instid0(SALU_CYCLE_1)
	s_or_b32 exec_lo, exec_lo, s6
	s_and_saveexec_b32 s5, s4
	s_cbranch_execz .LBB213_176
.LBB213_232:
	s_mov_b32 s6, exec_lo
	v_cmpx_o_f16_e32 v12, v12
	s_cbranch_execz .LBB213_236
; %bb.233:
	s_mov_b32 s7, exec_lo
	s_wait_loadcnt 0x0
	v_cmpx_o_f16_e32 v9, v9
; %bb.234:
	v_cmp_gt_f16_e64 s4, v9, v12
	s_delay_alu instid0(VALU_DEP_1)
	v_cndmask_b32_e64 v9, v12, v9, s4
; %bb.235:
	s_or_b32 exec_lo, exec_lo, s7
	s_delay_alu instid0(VALU_DEP_1)
	v_mov_b32_e32 v12, v9
.LBB213_236:
	s_or_b32 exec_lo, exec_lo, s6
	s_delay_alu instid0(SALU_CYCLE_1)
	s_or_b32 exec_lo, exec_lo, s5
	s_and_saveexec_b32 s4, s3
	s_cbranch_execz .LBB213_177
.LBB213_237:
	s_mov_b32 s5, exec_lo
	v_cmpx_o_f16_e32 v12, v12
	s_cbranch_execz .LBB213_241
; %bb.238:
	s_mov_b32 s6, exec_lo
	s_wait_loadcnt 0x0
	v_cmpx_o_f16_e32 v8, v8
; %bb.239:
	v_cmp_gt_f16_e64 s3, v8, v12
	s_delay_alu instid0(VALU_DEP_1)
	v_cndmask_b32_e64 v8, v12, v8, s3
; %bb.240:
	s_or_b32 exec_lo, exec_lo, s6
	s_delay_alu instid0(VALU_DEP_1)
	v_mov_b32_e32 v12, v8
.LBB213_241:
	s_or_b32 exec_lo, exec_lo, s5
	s_delay_alu instid0(SALU_CYCLE_1)
	s_or_b32 exec_lo, exec_lo, s4
	s_and_saveexec_b32 s3, s2
	s_cbranch_execz .LBB213_178
.LBB213_242:
	s_mov_b32 s4, exec_lo
	v_cmpx_o_f16_e32 v12, v12
	s_cbranch_execz .LBB213_246
; %bb.243:
	s_mov_b32 s5, exec_lo
	s_wait_loadcnt 0x0
	v_cmpx_o_f16_e32 v7, v7
; %bb.244:
	v_cmp_gt_f16_e64 s2, v7, v12
	s_delay_alu instid0(VALU_DEP_1)
	v_cndmask_b32_e64 v7, v12, v7, s2
; %bb.245:
	s_or_b32 exec_lo, exec_lo, s5
	s_delay_alu instid0(VALU_DEP_1)
	v_mov_b32_e32 v12, v7
.LBB213_246:
	s_or_b32 exec_lo, exec_lo, s4
	s_delay_alu instid0(SALU_CYCLE_1)
	s_or_b32 exec_lo, exec_lo, s3
	s_and_saveexec_b32 s2, s1
	s_cbranch_execz .LBB213_179
.LBB213_247:
	s_mov_b32 s3, exec_lo
	v_cmpx_o_f16_e32 v12, v12
	s_cbranch_execz .LBB213_251
; %bb.248:
	s_mov_b32 s4, exec_lo
	s_wait_loadcnt 0x0
	v_cmpx_o_f16_e32 v5, v5
; %bb.249:
	v_cmp_gt_f16_e64 s1, v5, v12
	s_delay_alu instid0(VALU_DEP_1)
	v_cndmask_b32_e64 v5, v12, v5, s1
; %bb.250:
	s_or_b32 exec_lo, exec_lo, s4
	s_delay_alu instid0(VALU_DEP_1)
	v_mov_b32_e32 v12, v5
.LBB213_251:
	s_or_b32 exec_lo, exec_lo, s3
	s_delay_alu instid0(SALU_CYCLE_1)
	s_or_b32 exec_lo, exec_lo, s2
	s_and_saveexec_b32 s1, s0
	s_cbranch_execz .LBB213_180
.LBB213_252:
	s_mov_b32 s2, exec_lo
	v_cmpx_o_f16_e32 v12, v12
	s_cbranch_execz .LBB213_256
; %bb.253:
	s_mov_b32 s3, exec_lo
	s_wait_loadcnt 0x0
	v_cmpx_o_f16_e32 v4, v4
; %bb.254:
	v_cmp_gt_f16_e64 s0, v4, v12
	s_delay_alu instid0(VALU_DEP_1)
	v_cndmask_b32_e64 v4, v12, v4, s0
; %bb.255:
	s_or_b32 exec_lo, exec_lo, s3
	s_delay_alu instid0(VALU_DEP_1)
	v_mov_b32_e32 v12, v4
.LBB213_256:
	s_or_b32 exec_lo, exec_lo, s2
	s_delay_alu instid0(SALU_CYCLE_1)
	s_or_b32 exec_lo, exec_lo, s1
	s_and_saveexec_b32 s0, vcc_lo
	s_cbranch_execz .LBB213_262
.LBB213_257:
	s_mov_b32 s1, exec_lo
	v_cmpx_o_f16_e32 v12, v12
	s_cbranch_execz .LBB213_261
; %bb.258:
	s_mov_b32 s2, exec_lo
	s_wait_loadcnt 0x0
	v_cmpx_o_f16_e32 v1, v1
; %bb.259:
	v_cmp_gt_f16_e32 vcc_lo, v1, v12
	v_cndmask_b32_e32 v1, v12, v1, vcc_lo
; %bb.260:
	s_or_b32 exec_lo, exec_lo, s2
	s_delay_alu instid0(VALU_DEP_1)
	v_mov_b32_e32 v12, v1
.LBB213_261:
	s_or_b32 exec_lo, exec_lo, s1
.LBB213_262:
	s_delay_alu instid0(SALU_CYCLE_1) | instskip(SKIP_1) | instid1(VALU_DEP_1)
	s_or_b32 exec_lo, exec_lo, s0
	s_wait_loadcnt 0x0
	v_and_b32_e32 v1, 0xffff, v12
	s_mov_b32 s0, exec_lo
	s_delay_alu instid0(VALU_DEP_1) | instskip(NEXT) | instid1(VALU_DEP_1)
	v_mov_b32_dpp v1, v1 quad_perm:[1,0,3,2] row_mask:0xf bank_mask:0xf
	v_cmpx_o_f16_e32 v1, v1
	s_xor_b32 s0, exec_lo, s0
	s_cbranch_execz .LBB213_266
; %bb.263:
	s_mov_b32 s1, exec_lo
	v_cmpx_o_f16_e32 v12, v12
; %bb.264:
	v_cmp_gt_f16_e32 vcc_lo, v12, v1
	v_cndmask_b32_e32 v12, v1, v12, vcc_lo
; %bb.265:
	s_or_b32 exec_lo, exec_lo, s1
	s_delay_alu instid0(VALU_DEP_1)
	v_mov_b32_e32 v1, v12
.LBB213_266:
	s_or_b32 exec_lo, exec_lo, s0
	s_delay_alu instid0(VALU_DEP_1) | instskip(SKIP_1) | instid1(VALU_DEP_1)
	v_and_b32_e32 v2, 0xffff, v1
	s_mov_b32 s0, exec_lo
	v_mov_b32_dpp v2, v2 quad_perm:[2,3,0,1] row_mask:0xf bank_mask:0xf
	s_delay_alu instid0(VALU_DEP_1)
	v_cmpx_o_f16_e32 v2, v2
	s_cbranch_execz .LBB213_270
; %bb.267:
	s_mov_b32 s1, exec_lo
	v_cmpx_o_f16_e32 v1, v1
; %bb.268:
	v_cmp_gt_f16_e32 vcc_lo, v1, v2
	v_cndmask_b32_e32 v1, v2, v1, vcc_lo
; %bb.269:
	s_or_b32 exec_lo, exec_lo, s1
	s_delay_alu instid0(VALU_DEP_1)
	v_mov_b32_e32 v2, v1
.LBB213_270:
	s_or_b32 exec_lo, exec_lo, s0
	s_delay_alu instid0(VALU_DEP_1) | instskip(SKIP_1) | instid1(VALU_DEP_1)
	v_and_b32_e32 v1, 0xffff, v2
	s_mov_b32 s0, exec_lo
	v_mov_b32_dpp v1, v1 row_ror:4 row_mask:0xf bank_mask:0xf
	s_delay_alu instid0(VALU_DEP_1)
	v_cmpx_o_f16_e32 v1, v1
	s_cbranch_execz .LBB213_274
; %bb.271:
	s_mov_b32 s1, exec_lo
	v_cmpx_o_f16_e32 v2, v2
; %bb.272:
	v_cmp_gt_f16_e32 vcc_lo, v2, v1
	v_cndmask_b32_e32 v2, v1, v2, vcc_lo
; %bb.273:
	s_or_b32 exec_lo, exec_lo, s1
	s_delay_alu instid0(VALU_DEP_1)
	v_mov_b32_e32 v1, v2
.LBB213_274:
	s_or_b32 exec_lo, exec_lo, s0
	s_delay_alu instid0(VALU_DEP_1) | instskip(SKIP_1) | instid1(VALU_DEP_1)
	v_and_b32_e32 v2, 0xffff, v1
	s_mov_b32 s0, exec_lo
	v_mov_b32_dpp v2, v2 row_ror:8 row_mask:0xf bank_mask:0xf
	s_delay_alu instid0(VALU_DEP_1)
	v_cmpx_o_f16_e32 v2, v2
	s_cbranch_execz .LBB213_278
; %bb.275:
	s_mov_b32 s1, exec_lo
	v_cmpx_o_f16_e32 v1, v1
; %bb.276:
	v_cmp_gt_f16_e32 vcc_lo, v1, v2
	v_cndmask_b32_e32 v1, v2, v1, vcc_lo
; %bb.277:
	s_or_b32 exec_lo, exec_lo, s1
	s_delay_alu instid0(VALU_DEP_1)
	v_mov_b32_e32 v2, v1
.LBB213_278:
	s_or_b32 exec_lo, exec_lo, s0
	s_delay_alu instid0(VALU_DEP_1)
	v_and_b32_e32 v1, 0xffff, v2
	s_mov_b32 s0, exec_lo
	ds_swizzle_b32 v1, v1 offset:swizzle(BROADCAST,32,15)
	s_wait_dscnt 0x0
	v_cmpx_o_f16_e32 v1, v1
	s_cbranch_execz .LBB213_282
; %bb.279:
	s_mov_b32 s1, exec_lo
	v_cmpx_o_f16_e32 v2, v2
; %bb.280:
	v_cmp_gt_f16_e32 vcc_lo, v2, v1
	v_cndmask_b32_e32 v2, v1, v2, vcc_lo
; %bb.281:
	s_or_b32 exec_lo, exec_lo, s1
	s_delay_alu instid0(VALU_DEP_1)
	v_mov_b32_e32 v1, v2
.LBB213_282:
	s_or_b32 exec_lo, exec_lo, s0
	s_delay_alu instid0(VALU_DEP_1) | instskip(SKIP_4) | instid1(VALU_DEP_1)
	v_and_b32_e32 v1, 0xffff, v1
	v_mov_b32_e32 v2, 0
	s_mov_b32 s0, exec_lo
	ds_bpermute_b32 v2, v2, v1 offset:124
	v_mbcnt_lo_u32_b32 v1, -1, 0
	v_cmpx_eq_u32_e32 0, v1
	s_cbranch_execz .LBB213_284
; %bb.283:
	v_lshrrev_b32_e32 v3, 4, v0
	s_delay_alu instid0(VALU_DEP_1)
	v_and_b32_e32 v3, 14, v3
	s_wait_dscnt 0x0
	ds_store_b16 v3, v2
.LBB213_284:
	s_or_b32 exec_lo, exec_lo, s0
	s_delay_alu instid0(SALU_CYCLE_1)
	s_mov_b32 s0, exec_lo
	s_wait_dscnt 0x0
	s_barrier_signal -1
	s_barrier_wait -1
	v_cmpx_gt_u32_e32 32, v0
	s_cbranch_execz .LBB213_298
; %bb.285:
	v_and_b32_e32 v3, 7, v1
	s_mov_b32 s1, exec_lo
	s_delay_alu instid0(VALU_DEP_1) | instskip(SKIP_1) | instid1(VALU_DEP_1)
	v_cmp_ne_u32_e32 vcc_lo, 7, v3
	v_add_co_ci_u32_e64 v4, null, 0, v1, vcc_lo
	v_dual_lshlrev_b32 v4, 2, v4 :: v_dual_lshlrev_b32 v2, 1, v3
	ds_load_u16 v2, v2
	s_wait_dscnt 0x0
	v_and_b32_e32 v5, 0xffff, v2
	ds_bpermute_b32 v4, v4, v5
	v_cmpx_o_f16_e32 v2, v2
	s_cbranch_execz .LBB213_289
; %bb.286:
	s_mov_b32 s2, exec_lo
	s_wait_dscnt 0x0
	v_cmpx_o_f16_e32 v4, v4
; %bb.287:
	v_cmp_lt_f16_e32 vcc_lo, v2, v4
	v_cndmask_b32_e32 v4, v2, v4, vcc_lo
; %bb.288:
	s_or_b32 exec_lo, exec_lo, s2
	s_delay_alu instid0(VALU_DEP_1)
	v_mov_b32_e32 v2, v4
.LBB213_289:
	s_or_b32 exec_lo, exec_lo, s1
	v_cmp_gt_u32_e32 vcc_lo, 6, v3
	s_wait_dscnt 0x0
	s_delay_alu instid0(VALU_DEP_2) | instskip(SKIP_2) | instid1(VALU_DEP_1)
	v_and_b32_e32 v4, 0xffff, v2
	s_mov_b32 s1, exec_lo
	v_cndmask_b32_e64 v3, 0, 2, vcc_lo
	v_add_lshl_u32 v3, v3, v1, 2
	v_lshlrev_b32_e32 v1, 2, v1
	ds_bpermute_b32 v3, v3, v4
	v_cmpx_o_f16_e32 v2, v2
	s_cbranch_execz .LBB213_293
; %bb.290:
	s_mov_b32 s2, exec_lo
	s_wait_dscnt 0x0
	v_cmpx_o_f16_e32 v3, v3
; %bb.291:
	v_cmp_lt_f16_e32 vcc_lo, v2, v3
	v_cndmask_b32_e32 v3, v2, v3, vcc_lo
; %bb.292:
	s_or_b32 exec_lo, exec_lo, s2
	s_delay_alu instid0(VALU_DEP_1)
	v_mov_b32_e32 v2, v3
.LBB213_293:
	s_or_b32 exec_lo, exec_lo, s1
	v_or_b32_e32 v1, 16, v1
	s_wait_dscnt 0x0
	s_delay_alu instid0(VALU_DEP_2)
	v_and_b32_e32 v3, 0xffff, v2
	s_mov_b32 s1, exec_lo
	ds_bpermute_b32 v1, v1, v3
	v_cmpx_o_f16_e32 v2, v2
	s_cbranch_execz .LBB213_297
; %bb.294:
	s_mov_b32 s2, exec_lo
	s_wait_dscnt 0x0
	v_cmpx_o_f16_e32 v1, v1
; %bb.295:
	v_cmp_lt_f16_e32 vcc_lo, v2, v1
	v_cndmask_b32_e32 v1, v2, v1, vcc_lo
; %bb.296:
	s_or_b32 exec_lo, exec_lo, s2
	s_delay_alu instid0(VALU_DEP_1)
	v_mov_b32_e32 v2, v1
.LBB213_297:
	s_or_b32 exec_lo, exec_lo, s1
.LBB213_298:
	s_delay_alu instid0(SALU_CYCLE_1)
	s_or_b32 exec_lo, exec_lo, s0
	s_branch .LBB213_401
.LBB213_299:
	s_sub_co_i32 s0, s24, s26
	s_mov_b32 s1, exec_lo
                                        ; implicit-def: $vgpr7
	v_cmpx_gt_u32_e64 s0, v0
	s_cbranch_execz .LBB213_309
; %bb.300:
	s_wait_dscnt 0x0
	v_mov_b32_e32 v1, 0
	s_mov_b32 s2, exec_lo
	s_delay_alu instid0(VALU_DEP_1) | instskip(NEXT) | instid1(VALU_DEP_1)
	v_add_nc_u64_e32 v[2:3], s[26:27], v[0:1]
	v_lshl_add_u64 v[4:5], v[2:3], 1, s[16:17]
	v_add_nc_u64_e32 v[2:3], 0x100, v[2:3]
	global_load_u16 v7, v[4:5], off
	s_wait_xcnt 0x0
	v_cmpx_gt_i64_e64 s[24:25], v[2:3]
	s_cbranch_execz .LBB213_308
; %bb.301:
	v_add_nc_u64_e32 v[4:5], 0x200, v[4:5]
	s_mov_b32 s3, 0
	s_branch .LBB213_304
.LBB213_302:                            ;   in Loop: Header=BB213_304 Depth=1
	s_or_b32 exec_lo, exec_lo, s5
	s_delay_alu instid0(VALU_DEP_1)
	v_mov_b32_e32 v7, v1
.LBB213_303:                            ;   in Loop: Header=BB213_304 Depth=1
	s_or_b32 exec_lo, exec_lo, s4
	v_add_nc_u64_e32 v[2:3], 0x100, v[2:3]
	v_add_nc_u64_e32 v[4:5], 0x200, v[4:5]
	s_delay_alu instid0(VALU_DEP_2) | instskip(SKIP_1) | instid1(SALU_CYCLE_1)
	v_cmp_le_i64_e32 vcc_lo, s[24:25], v[2:3]
	s_or_b32 s3, vcc_lo, s3
	s_and_not1_b32 exec_lo, exec_lo, s3
	s_cbranch_execz .LBB213_307
.LBB213_304:                            ; =>This Inner Loop Header: Depth=1
	s_mov_b32 s4, exec_lo
	s_wait_loadcnt 0x0
	v_cmpx_o_f16_e32 v7, v7
	s_cbranch_execz .LBB213_303
; %bb.305:                              ;   in Loop: Header=BB213_304 Depth=1
	global_load_u16 v1, v[4:5], off
	s_mov_b32 s5, exec_lo
	s_wait_loadcnt 0x0
	v_cmpx_o_f16_e32 v1, v1
	s_cbranch_execz .LBB213_302
; %bb.306:                              ;   in Loop: Header=BB213_304 Depth=1
	v_cmp_lt_f16_e32 vcc_lo, v7, v1
	v_cndmask_b32_e32 v1, v7, v1, vcc_lo
	s_branch .LBB213_302
.LBB213_307:
	s_or_b32 exec_lo, exec_lo, s3
.LBB213_308:
	s_delay_alu instid0(SALU_CYCLE_1)
	s_or_b32 exec_lo, exec_lo, s2
.LBB213_309:
	s_delay_alu instid0(SALU_CYCLE_1)
	s_or_b32 exec_lo, exec_lo, s1
	v_lshrrev_b32_e32 v3, 5, v0
	s_wait_dscnt 0x0
	v_mbcnt_lo_u32_b32 v1, -1, 0
	s_wait_loadcnt 0x0
	v_and_b32_e32 v4, 0xffff, v7
	s_cmp_lt_u32 s0, 0x100
	s_mov_b32 s1, -1
                                        ; implicit-def: $vgpr2
	s_cbranch_scc0 .LBB213_363
; %bb.310:
	v_cmp_ne_u32_e32 vcc_lo, 31, v1
	v_mov_b32_e32 v9, v4
	v_add_co_ci_u32_e64 v2, null, 0, v1, vcc_lo
	s_delay_alu instid0(VALU_DEP_1) | instskip(SKIP_2) | instid1(VALU_DEP_1)
	v_lshlrev_b32_e32 v2, 2, v2
	ds_bpermute_b32 v8, v2, v4
	v_and_b32_e32 v2, 0xe0, v0
	v_sub_nc_u32_e64 v5, s0, v2 clamp
	v_add_nc_u32_e32 v2, 1, v1
	s_delay_alu instid0(VALU_DEP_1)
	v_cmp_lt_u32_e32 vcc_lo, v2, v5
	v_mov_b32_e32 v2, v7
	s_and_saveexec_b32 s1, vcc_lo
	s_cbranch_execz .LBB213_316
; %bb.311:
	v_mov_b32_e32 v2, v7
	s_mov_b32 s2, exec_lo
	v_cmpx_o_f16_e32 v7, v7
	s_cbranch_execz .LBB213_315
; %bb.312:
	s_mov_b32 s3, exec_lo
	s_wait_dscnt 0x0
	v_cmpx_o_f16_e32 v8, v8
; %bb.313:
	v_cmp_lt_f16_e32 vcc_lo, v7, v8
	v_cndmask_b32_e32 v8, v7, v8, vcc_lo
; %bb.314:
	s_or_b32 exec_lo, exec_lo, s3
	s_delay_alu instid0(VALU_DEP_1)
	v_mov_b32_e32 v2, v8
.LBB213_315:
	s_or_b32 exec_lo, exec_lo, s2
	s_delay_alu instid0(VALU_DEP_1)
	v_and_b32_e32 v9, 0xffff, v2
.LBB213_316:
	s_or_b32 exec_lo, exec_lo, s1
	v_cmp_gt_u32_e32 vcc_lo, 30, v1
	v_add_nc_u32_e32 v10, 2, v1
	s_mov_b32 s1, exec_lo
	s_wait_dscnt 0x0
	v_cndmask_b32_e64 v8, 0, 2, vcc_lo
	s_delay_alu instid0(VALU_DEP_1)
	v_add_lshl_u32 v8, v8, v1, 2
	ds_bpermute_b32 v8, v8, v9
	v_cmpx_lt_u32_e64 v10, v5
	s_cbranch_execz .LBB213_322
; %bb.317:
	s_mov_b32 s2, exec_lo
	v_cmpx_o_f16_e32 v2, v2
	s_cbranch_execz .LBB213_321
; %bb.318:
	s_mov_b32 s3, exec_lo
	s_wait_dscnt 0x0
	v_cmpx_o_f16_e32 v8, v8
; %bb.319:
	v_cmp_lt_f16_e32 vcc_lo, v2, v8
	v_cndmask_b32_e32 v8, v2, v8, vcc_lo
; %bb.320:
	s_or_b32 exec_lo, exec_lo, s3
	s_delay_alu instid0(VALU_DEP_1)
	v_mov_b32_e32 v2, v8
.LBB213_321:
	s_or_b32 exec_lo, exec_lo, s2
	s_delay_alu instid0(VALU_DEP_1)
	v_and_b32_e32 v9, 0xffff, v2
.LBB213_322:
	s_or_b32 exec_lo, exec_lo, s1
	v_cmp_gt_u32_e32 vcc_lo, 28, v1
	v_add_nc_u32_e32 v10, 4, v1
	s_mov_b32 s1, exec_lo
	s_wait_dscnt 0x0
	v_cndmask_b32_e64 v8, 0, 4, vcc_lo
	s_delay_alu instid0(VALU_DEP_1)
	v_add_lshl_u32 v8, v8, v1, 2
	ds_bpermute_b32 v8, v8, v9
	v_cmpx_lt_u32_e64 v10, v5
	s_cbranch_execz .LBB213_328
; %bb.323:
	s_mov_b32 s2, exec_lo
	v_cmpx_o_f16_e32 v2, v2
	s_cbranch_execz .LBB213_327
; %bb.324:
	s_mov_b32 s3, exec_lo
	s_wait_dscnt 0x0
	v_cmpx_o_f16_e32 v8, v8
; %bb.325:
	v_cmp_lt_f16_e32 vcc_lo, v2, v8
	v_cndmask_b32_e32 v8, v2, v8, vcc_lo
; %bb.326:
	s_or_b32 exec_lo, exec_lo, s3
	s_delay_alu instid0(VALU_DEP_1)
	v_mov_b32_e32 v2, v8
.LBB213_327:
	s_or_b32 exec_lo, exec_lo, s2
	s_delay_alu instid0(VALU_DEP_1)
	v_and_b32_e32 v9, 0xffff, v2
.LBB213_328:
	;; [unrolled: 31-line block ×3, first 2 shown]
	s_or_b32 exec_lo, exec_lo, s1
	s_wait_dscnt 0x0
	v_lshlrev_b32_e32 v8, 2, v1
	s_mov_b32 s1, exec_lo
	s_delay_alu instid0(VALU_DEP_1) | instskip(SKIP_2) | instid1(VALU_DEP_1)
	v_or_b32_e32 v10, 64, v8
	ds_bpermute_b32 v9, v10, v9
	v_add_nc_u32_e32 v10, 16, v1
	v_cmpx_lt_u32_e64 v10, v5
	s_cbranch_execz .LBB213_340
; %bb.335:
	s_mov_b32 s2, exec_lo
	v_cmpx_o_f16_e32 v2, v2
	s_cbranch_execz .LBB213_339
; %bb.336:
	s_mov_b32 s3, exec_lo
	s_wait_dscnt 0x0
	v_cmpx_o_f16_e32 v9, v9
; %bb.337:
	v_cmp_lt_f16_e32 vcc_lo, v2, v9
	v_cndmask_b32_e32 v9, v2, v9, vcc_lo
; %bb.338:
	s_or_b32 exec_lo, exec_lo, s3
	s_delay_alu instid0(VALU_DEP_1)
	v_mov_b32_e32 v2, v9
.LBB213_339:
	s_or_b32 exec_lo, exec_lo, s2
.LBB213_340:
	s_delay_alu instid0(SALU_CYCLE_1) | instskip(NEXT) | instid1(SALU_CYCLE_1)
	s_or_b32 exec_lo, exec_lo, s1
	s_mov_b32 s1, exec_lo
	v_cmpx_eq_u32_e32 0, v1
; %bb.341:
	v_lshlrev_b32_e32 v5, 1, v3
	ds_store_b16 v5, v2
; %bb.342:
	s_or_b32 exec_lo, exec_lo, s1
	s_delay_alu instid0(SALU_CYCLE_1)
	s_mov_b32 s1, exec_lo
	s_wait_dscnt 0x0
	s_barrier_signal -1
	s_barrier_wait -1
	v_cmpx_gt_u32_e32 8, v0
	s_cbranch_execz .LBB213_362
; %bb.343:
	v_dual_lshlrev_b32 v2, 1, v1 :: v_dual_bitop2_b32 v5, 7, v1 bitop3:0x40
	s_add_co_i32 s0, s0, 31
	s_mov_b32 s2, exec_lo
	s_lshr_b32 s0, s0, 5
	ds_load_u16 v2, v2
	v_cmp_ne_u32_e32 vcc_lo, 7, v5
	v_add_nc_u32_e32 v11, 1, v5
	v_add_co_ci_u32_e64 v9, null, 0, v1, vcc_lo
	s_delay_alu instid0(VALU_DEP_1)
	v_lshlrev_b32_e32 v10, 2, v9
	s_wait_dscnt 0x0
	v_and_b32_e32 v9, 0xffff, v2
	ds_bpermute_b32 v10, v10, v9
	v_cmpx_gt_u32_e64 s0, v11
	s_cbranch_execz .LBB213_349
; %bb.344:
	s_mov_b32 s3, exec_lo
	v_cmpx_o_f16_e32 v2, v2
	s_cbranch_execz .LBB213_348
; %bb.345:
	s_mov_b32 s4, exec_lo
	s_wait_dscnt 0x0
	v_cmpx_o_f16_e32 v10, v10
; %bb.346:
	v_cmp_lt_f16_e32 vcc_lo, v2, v10
	v_cndmask_b32_e32 v10, v2, v10, vcc_lo
; %bb.347:
	s_or_b32 exec_lo, exec_lo, s4
	s_delay_alu instid0(VALU_DEP_1)
	v_mov_b32_e32 v2, v10
.LBB213_348:
	s_or_b32 exec_lo, exec_lo, s3
	s_delay_alu instid0(VALU_DEP_1)
	v_and_b32_e32 v9, 0xffff, v2
.LBB213_349:
	s_or_b32 exec_lo, exec_lo, s2
	v_cmp_gt_u32_e32 vcc_lo, 6, v5
	v_add_nc_u32_e32 v11, 2, v5
	s_mov_b32 s2, exec_lo
	s_wait_dscnt 0x0
	v_cndmask_b32_e64 v10, 0, 2, vcc_lo
	s_delay_alu instid0(VALU_DEP_1)
	v_add_lshl_u32 v10, v10, v1, 2
	ds_bpermute_b32 v10, v10, v9
	v_cmpx_gt_u32_e64 s0, v11
	s_cbranch_execz .LBB213_355
; %bb.350:
	s_mov_b32 s3, exec_lo
	v_cmpx_o_f16_e32 v2, v2
	s_cbranch_execz .LBB213_354
; %bb.351:
	s_mov_b32 s4, exec_lo
	s_wait_dscnt 0x0
	v_cmpx_o_f16_e32 v10, v10
; %bb.352:
	v_cmp_lt_f16_e32 vcc_lo, v2, v10
	v_cndmask_b32_e32 v10, v2, v10, vcc_lo
; %bb.353:
	s_or_b32 exec_lo, exec_lo, s4
	s_delay_alu instid0(VALU_DEP_1)
	v_mov_b32_e32 v2, v10
.LBB213_354:
	s_or_b32 exec_lo, exec_lo, s3
	s_delay_alu instid0(VALU_DEP_1)
	v_and_b32_e32 v9, 0xffff, v2
.LBB213_355:
	s_or_b32 exec_lo, exec_lo, s2
	v_dual_add_nc_u32 v5, 4, v5 :: v_dual_bitop2_b32 v8, 16, v8 bitop3:0x54
	ds_bpermute_b32 v8, v8, v9
	v_cmp_gt_u32_e32 vcc_lo, s0, v5
	s_and_saveexec_b32 s0, vcc_lo
	s_cbranch_execz .LBB213_361
; %bb.356:
	s_mov_b32 s2, exec_lo
	v_cmpx_o_f16_e32 v2, v2
	s_cbranch_execz .LBB213_360
; %bb.357:
	s_mov_b32 s3, exec_lo
	s_wait_dscnt 0x0
	v_cmpx_o_f16_e32 v8, v8
; %bb.358:
	v_cmp_lt_f16_e32 vcc_lo, v2, v8
	v_cndmask_b32_e32 v8, v2, v8, vcc_lo
; %bb.359:
	s_or_b32 exec_lo, exec_lo, s3
	s_delay_alu instid0(VALU_DEP_1)
	v_mov_b32_e32 v2, v8
.LBB213_360:
	s_or_b32 exec_lo, exec_lo, s2
.LBB213_361:
	s_delay_alu instid0(SALU_CYCLE_1)
	s_or_b32 exec_lo, exec_lo, s0
.LBB213_362:
	s_delay_alu instid0(SALU_CYCLE_1)
	s_or_b32 exec_lo, exec_lo, s1
	s_mov_b32 s1, 0
.LBB213_363:
	s_delay_alu instid0(SALU_CYCLE_1)
	s_and_b32 vcc_lo, exec_lo, s1
	s_cbranch_vccz .LBB213_401
; %bb.364:
	v_mov_b32_dpp v2, v4 quad_perm:[1,0,3,2] row_mask:0xf bank_mask:0xf
	s_mov_b32 s0, exec_lo
	s_delay_alu instid0(VALU_DEP_1)
	v_cmpx_o_f16_e32 v2, v2
	s_cbranch_execz .LBB213_368
; %bb.365:
	s_mov_b32 s1, exec_lo
	v_cmpx_o_f16_e32 v7, v7
; %bb.366:
	v_cmp_gt_f16_e32 vcc_lo, v7, v2
	v_cndmask_b32_e32 v7, v2, v7, vcc_lo
; %bb.367:
	s_or_b32 exec_lo, exec_lo, s1
	s_delay_alu instid0(VALU_DEP_1)
	v_mov_b32_e32 v2, v7
.LBB213_368:
	s_or_b32 exec_lo, exec_lo, s0
	s_delay_alu instid0(VALU_DEP_1) | instskip(SKIP_1) | instid1(VALU_DEP_1)
	v_and_b32_e32 v4, 0xffff, v2
	s_mov_b32 s0, exec_lo
	v_mov_b32_dpp v4, v4 quad_perm:[2,3,0,1] row_mask:0xf bank_mask:0xf
	s_delay_alu instid0(VALU_DEP_1)
	v_cmpx_o_f16_e32 v4, v4
	s_cbranch_execz .LBB213_372
; %bb.369:
	s_mov_b32 s1, exec_lo
	v_cmpx_o_f16_e32 v2, v2
; %bb.370:
	v_cmp_gt_f16_e32 vcc_lo, v2, v4
	v_cndmask_b32_e32 v2, v4, v2, vcc_lo
; %bb.371:
	s_or_b32 exec_lo, exec_lo, s1
	s_delay_alu instid0(VALU_DEP_1)
	v_mov_b32_e32 v4, v2
.LBB213_372:
	s_or_b32 exec_lo, exec_lo, s0
	s_delay_alu instid0(VALU_DEP_1) | instskip(SKIP_1) | instid1(VALU_DEP_1)
	v_and_b32_e32 v2, 0xffff, v4
	s_mov_b32 s0, exec_lo
	v_mov_b32_dpp v2, v2 row_ror:4 row_mask:0xf bank_mask:0xf
	s_delay_alu instid0(VALU_DEP_1)
	v_cmpx_o_f16_e32 v2, v2
	s_cbranch_execz .LBB213_376
; %bb.373:
	s_mov_b32 s1, exec_lo
	v_cmpx_o_f16_e32 v4, v4
; %bb.374:
	v_cmp_gt_f16_e32 vcc_lo, v4, v2
	v_cndmask_b32_e32 v4, v2, v4, vcc_lo
; %bb.375:
	s_or_b32 exec_lo, exec_lo, s1
	s_delay_alu instid0(VALU_DEP_1)
	v_mov_b32_e32 v2, v4
.LBB213_376:
	s_or_b32 exec_lo, exec_lo, s0
	s_delay_alu instid0(VALU_DEP_1) | instskip(SKIP_1) | instid1(VALU_DEP_1)
	v_and_b32_e32 v4, 0xffff, v2
	s_mov_b32 s0, exec_lo
	v_mov_b32_dpp v4, v4 row_ror:8 row_mask:0xf bank_mask:0xf
	s_delay_alu instid0(VALU_DEP_1)
	v_cmpx_o_f16_e32 v4, v4
	s_cbranch_execz .LBB213_380
; %bb.377:
	s_mov_b32 s1, exec_lo
	v_cmpx_o_f16_e32 v2, v2
; %bb.378:
	v_cmp_gt_f16_e32 vcc_lo, v2, v4
	v_cndmask_b32_e32 v2, v4, v2, vcc_lo
; %bb.379:
	s_or_b32 exec_lo, exec_lo, s1
	s_delay_alu instid0(VALU_DEP_1)
	v_mov_b32_e32 v4, v2
.LBB213_380:
	s_or_b32 exec_lo, exec_lo, s0
	s_delay_alu instid0(VALU_DEP_1)
	v_and_b32_e32 v2, 0xffff, v4
	s_mov_b32 s0, exec_lo
	ds_swizzle_b32 v2, v2 offset:swizzle(BROADCAST,32,15)
	s_wait_dscnt 0x0
	v_cmpx_o_f16_e32 v2, v2
	s_cbranch_execz .LBB213_384
; %bb.381:
	s_mov_b32 s1, exec_lo
	v_cmpx_o_f16_e32 v4, v4
; %bb.382:
	v_cmp_gt_f16_e32 vcc_lo, v4, v2
	v_cndmask_b32_e32 v4, v2, v4, vcc_lo
; %bb.383:
	s_or_b32 exec_lo, exec_lo, s1
	s_delay_alu instid0(VALU_DEP_1)
	v_mov_b32_e32 v2, v4
.LBB213_384:
	s_or_b32 exec_lo, exec_lo, s0
	s_delay_alu instid0(VALU_DEP_1)
	v_and_b32_e32 v2, 0xffff, v2
	v_mov_b32_e32 v4, 0
	s_mov_b32 s0, exec_lo
	ds_bpermute_b32 v2, v4, v2 offset:124
	v_cmpx_eq_u32_e32 0, v1
	s_cbranch_execz .LBB213_386
; %bb.385:
	v_lshlrev_b32_e32 v3, 1, v3
	s_wait_dscnt 0x0
	ds_store_b16 v3, v2
.LBB213_386:
	s_or_b32 exec_lo, exec_lo, s0
	s_delay_alu instid0(SALU_CYCLE_1)
	s_mov_b32 s0, exec_lo
	s_wait_dscnt 0x0
	s_barrier_signal -1
	s_barrier_wait -1
	v_cmpx_gt_u32_e32 32, v0
	s_cbranch_execz .LBB213_400
; %bb.387:
	v_and_b32_e32 v3, 7, v1
	s_mov_b32 s1, exec_lo
	s_delay_alu instid0(VALU_DEP_1) | instskip(SKIP_1) | instid1(VALU_DEP_1)
	v_cmp_ne_u32_e32 vcc_lo, 7, v3
	v_add_co_ci_u32_e64 v4, null, 0, v1, vcc_lo
	v_dual_lshlrev_b32 v4, 2, v4 :: v_dual_lshlrev_b32 v2, 1, v3
	ds_load_u16 v2, v2
	s_wait_dscnt 0x0
	v_and_b32_e32 v5, 0xffff, v2
	ds_bpermute_b32 v4, v4, v5
	v_cmpx_o_f16_e32 v2, v2
	s_cbranch_execz .LBB213_391
; %bb.388:
	s_mov_b32 s2, exec_lo
	s_wait_dscnt 0x0
	v_cmpx_o_f16_e32 v4, v4
; %bb.389:
	v_cmp_lt_f16_e32 vcc_lo, v2, v4
	v_cndmask_b32_e32 v4, v2, v4, vcc_lo
; %bb.390:
	s_or_b32 exec_lo, exec_lo, s2
	s_delay_alu instid0(VALU_DEP_1)
	v_mov_b32_e32 v2, v4
.LBB213_391:
	s_or_b32 exec_lo, exec_lo, s1
	v_cmp_gt_u32_e32 vcc_lo, 6, v3
	s_wait_dscnt 0x0
	s_delay_alu instid0(VALU_DEP_2) | instskip(SKIP_2) | instid1(VALU_DEP_1)
	v_and_b32_e32 v4, 0xffff, v2
	s_mov_b32 s1, exec_lo
	v_cndmask_b32_e64 v3, 0, 2, vcc_lo
	v_add_lshl_u32 v3, v3, v1, 2
	v_lshlrev_b32_e32 v1, 2, v1
	ds_bpermute_b32 v3, v3, v4
	v_cmpx_o_f16_e32 v2, v2
	s_cbranch_execz .LBB213_395
; %bb.392:
	s_mov_b32 s2, exec_lo
	s_wait_dscnt 0x0
	v_cmpx_o_f16_e32 v3, v3
; %bb.393:
	v_cmp_lt_f16_e32 vcc_lo, v2, v3
	v_cndmask_b32_e32 v3, v2, v3, vcc_lo
; %bb.394:
	s_or_b32 exec_lo, exec_lo, s2
	s_delay_alu instid0(VALU_DEP_1)
	v_mov_b32_e32 v2, v3
.LBB213_395:
	s_or_b32 exec_lo, exec_lo, s1
	v_or_b32_e32 v1, 16, v1
	s_wait_dscnt 0x0
	s_delay_alu instid0(VALU_DEP_2)
	v_and_b32_e32 v3, 0xffff, v2
	s_mov_b32 s1, exec_lo
	ds_bpermute_b32 v1, v1, v3
	v_cmpx_o_f16_e32 v2, v2
	s_cbranch_execz .LBB213_399
; %bb.396:
	s_mov_b32 s2, exec_lo
	s_wait_dscnt 0x0
	v_cmpx_o_f16_e32 v1, v1
; %bb.397:
	v_cmp_lt_f16_e32 vcc_lo, v2, v1
	v_cndmask_b32_e32 v1, v2, v1, vcc_lo
; %bb.398:
	s_or_b32 exec_lo, exec_lo, s2
	s_delay_alu instid0(VALU_DEP_1)
	v_mov_b32_e32 v2, v1
.LBB213_399:
	s_or_b32 exec_lo, exec_lo, s1
.LBB213_400:
	s_delay_alu instid0(SALU_CYCLE_1)
	s_or_b32 exec_lo, exec_lo, s0
.LBB213_401:
	s_delay_alu instid0(SALU_CYCLE_1)
	s_mov_b32 s0, exec_lo
	v_cmpx_eq_u32_e32 0, v0
	s_cbranch_execz .LBB213_407
; %bb.402:
	s_wait_loadcnt 0x0
	v_cmp_u_f16_e32 vcc_lo, v6, v6
	s_cbranch_vccnz .LBB213_406
; %bb.403:
	s_mov_b32 s1, exec_lo
	v_cmpx_o_f16_e32 v2, v2
; %bb.404:
	v_cmp_lt_f16_e32 vcc_lo, v6, v2
	v_cndmask_b32_e32 v2, v6, v2, vcc_lo
; %bb.405:
	s_or_b32 exec_lo, exec_lo, s1
	s_delay_alu instid0(VALU_DEP_1)
	v_mov_b32_e32 v6, v2
.LBB213_406:
	s_or_b32 s15, s15, exec_lo
.LBB213_407:
	s_or_b32 exec_lo, exec_lo, s0
	s_and_saveexec_b32 s0, s15
	s_cbranch_execz .LBB213_3
.LBB213_408:
	s_lshl_b64 s[0:1], s[20:21], 1
	v_mov_b32_e32 v0, 0
	s_add_nc_u64 s[0:1], s[18:19], s[0:1]
	s_lshl_b64 s[2:3], s[22:23], 1
	s_delay_alu instid0(SALU_CYCLE_1)
	s_add_nc_u64 s[0:1], s[0:1], s[2:3]
	s_wait_loadcnt 0x0
	global_store_b16 v0, v6, s[0:1]
	s_endpgm
	.section	.rodata,"a",@progbits
	.p2align	6, 0x0
	.amdhsa_kernel _ZN7rocprim17ROCPRIM_400000_NS6detail17trampoline_kernelINS0_14default_configENS1_32segmented_reduce_config_selectorIN3c104HalfEEEZNS1_21segmented_reduce_implIS3_PKS6_PS6_PKlS6_N6hipcub16HIPCUB_304000_NS6detail27convert_result_type_wrapperISA_SB_N2at6native12_GLOBAL__N_19CustomMaxEEEEE10hipError_tPvRmT0_T1_jT2_SS_T4_T3_P12ihipStream_tbEUlT_E_NS1_11comp_targetILNS1_3genE0ELNS1_11target_archE4294967295ELNS1_3gpuE0ELNS1_3repE0EEENS1_30default_config_static_selectorELNS0_4arch9wavefront6targetE0EEEvSR_
		.amdhsa_group_segment_fixed_size 16
		.amdhsa_private_segment_fixed_size 0
		.amdhsa_kernarg_size 48
		.amdhsa_user_sgpr_count 2
		.amdhsa_user_sgpr_dispatch_ptr 0
		.amdhsa_user_sgpr_queue_ptr 0
		.amdhsa_user_sgpr_kernarg_segment_ptr 1
		.amdhsa_user_sgpr_dispatch_id 0
		.amdhsa_user_sgpr_kernarg_preload_length 0
		.amdhsa_user_sgpr_kernarg_preload_offset 0
		.amdhsa_user_sgpr_private_segment_size 0
		.amdhsa_wavefront_size32 1
		.amdhsa_uses_dynamic_stack 0
		.amdhsa_enable_private_segment 0
		.amdhsa_system_sgpr_workgroup_id_x 1
		.amdhsa_system_sgpr_workgroup_id_y 0
		.amdhsa_system_sgpr_workgroup_id_z 0
		.amdhsa_system_sgpr_workgroup_info 0
		.amdhsa_system_vgpr_workitem_id 0
		.amdhsa_next_free_vgpr 23
		.amdhsa_next_free_sgpr 32
		.amdhsa_named_barrier_count 0
		.amdhsa_reserve_vcc 1
		.amdhsa_float_round_mode_32 0
		.amdhsa_float_round_mode_16_64 0
		.amdhsa_float_denorm_mode_32 3
		.amdhsa_float_denorm_mode_16_64 3
		.amdhsa_fp16_overflow 0
		.amdhsa_memory_ordered 1
		.amdhsa_forward_progress 1
		.amdhsa_inst_pref_size 60
		.amdhsa_round_robin_scheduling 0
		.amdhsa_exception_fp_ieee_invalid_op 0
		.amdhsa_exception_fp_denorm_src 0
		.amdhsa_exception_fp_ieee_div_zero 0
		.amdhsa_exception_fp_ieee_overflow 0
		.amdhsa_exception_fp_ieee_underflow 0
		.amdhsa_exception_fp_ieee_inexact 0
		.amdhsa_exception_int_div_zero 0
	.end_amdhsa_kernel
	.section	.text._ZN7rocprim17ROCPRIM_400000_NS6detail17trampoline_kernelINS0_14default_configENS1_32segmented_reduce_config_selectorIN3c104HalfEEEZNS1_21segmented_reduce_implIS3_PKS6_PS6_PKlS6_N6hipcub16HIPCUB_304000_NS6detail27convert_result_type_wrapperISA_SB_N2at6native12_GLOBAL__N_19CustomMaxEEEEE10hipError_tPvRmT0_T1_jT2_SS_T4_T3_P12ihipStream_tbEUlT_E_NS1_11comp_targetILNS1_3genE0ELNS1_11target_archE4294967295ELNS1_3gpuE0ELNS1_3repE0EEENS1_30default_config_static_selectorELNS0_4arch9wavefront6targetE0EEEvSR_,"axG",@progbits,_ZN7rocprim17ROCPRIM_400000_NS6detail17trampoline_kernelINS0_14default_configENS1_32segmented_reduce_config_selectorIN3c104HalfEEEZNS1_21segmented_reduce_implIS3_PKS6_PS6_PKlS6_N6hipcub16HIPCUB_304000_NS6detail27convert_result_type_wrapperISA_SB_N2at6native12_GLOBAL__N_19CustomMaxEEEEE10hipError_tPvRmT0_T1_jT2_SS_T4_T3_P12ihipStream_tbEUlT_E_NS1_11comp_targetILNS1_3genE0ELNS1_11target_archE4294967295ELNS1_3gpuE0ELNS1_3repE0EEENS1_30default_config_static_selectorELNS0_4arch9wavefront6targetE0EEEvSR_,comdat
.Lfunc_end213:
	.size	_ZN7rocprim17ROCPRIM_400000_NS6detail17trampoline_kernelINS0_14default_configENS1_32segmented_reduce_config_selectorIN3c104HalfEEEZNS1_21segmented_reduce_implIS3_PKS6_PS6_PKlS6_N6hipcub16HIPCUB_304000_NS6detail27convert_result_type_wrapperISA_SB_N2at6native12_GLOBAL__N_19CustomMaxEEEEE10hipError_tPvRmT0_T1_jT2_SS_T4_T3_P12ihipStream_tbEUlT_E_NS1_11comp_targetILNS1_3genE0ELNS1_11target_archE4294967295ELNS1_3gpuE0ELNS1_3repE0EEENS1_30default_config_static_selectorELNS0_4arch9wavefront6targetE0EEEvSR_, .Lfunc_end213-_ZN7rocprim17ROCPRIM_400000_NS6detail17trampoline_kernelINS0_14default_configENS1_32segmented_reduce_config_selectorIN3c104HalfEEEZNS1_21segmented_reduce_implIS3_PKS6_PS6_PKlS6_N6hipcub16HIPCUB_304000_NS6detail27convert_result_type_wrapperISA_SB_N2at6native12_GLOBAL__N_19CustomMaxEEEEE10hipError_tPvRmT0_T1_jT2_SS_T4_T3_P12ihipStream_tbEUlT_E_NS1_11comp_targetILNS1_3genE0ELNS1_11target_archE4294967295ELNS1_3gpuE0ELNS1_3repE0EEENS1_30default_config_static_selectorELNS0_4arch9wavefront6targetE0EEEvSR_
                                        ; -- End function
	.set _ZN7rocprim17ROCPRIM_400000_NS6detail17trampoline_kernelINS0_14default_configENS1_32segmented_reduce_config_selectorIN3c104HalfEEEZNS1_21segmented_reduce_implIS3_PKS6_PS6_PKlS6_N6hipcub16HIPCUB_304000_NS6detail27convert_result_type_wrapperISA_SB_N2at6native12_GLOBAL__N_19CustomMaxEEEEE10hipError_tPvRmT0_T1_jT2_SS_T4_T3_P12ihipStream_tbEUlT_E_NS1_11comp_targetILNS1_3genE0ELNS1_11target_archE4294967295ELNS1_3gpuE0ELNS1_3repE0EEENS1_30default_config_static_selectorELNS0_4arch9wavefront6targetE0EEEvSR_.num_vgpr, 23
	.set _ZN7rocprim17ROCPRIM_400000_NS6detail17trampoline_kernelINS0_14default_configENS1_32segmented_reduce_config_selectorIN3c104HalfEEEZNS1_21segmented_reduce_implIS3_PKS6_PS6_PKlS6_N6hipcub16HIPCUB_304000_NS6detail27convert_result_type_wrapperISA_SB_N2at6native12_GLOBAL__N_19CustomMaxEEEEE10hipError_tPvRmT0_T1_jT2_SS_T4_T3_P12ihipStream_tbEUlT_E_NS1_11comp_targetILNS1_3genE0ELNS1_11target_archE4294967295ELNS1_3gpuE0ELNS1_3repE0EEENS1_30default_config_static_selectorELNS0_4arch9wavefront6targetE0EEEvSR_.num_agpr, 0
	.set _ZN7rocprim17ROCPRIM_400000_NS6detail17trampoline_kernelINS0_14default_configENS1_32segmented_reduce_config_selectorIN3c104HalfEEEZNS1_21segmented_reduce_implIS3_PKS6_PS6_PKlS6_N6hipcub16HIPCUB_304000_NS6detail27convert_result_type_wrapperISA_SB_N2at6native12_GLOBAL__N_19CustomMaxEEEEE10hipError_tPvRmT0_T1_jT2_SS_T4_T3_P12ihipStream_tbEUlT_E_NS1_11comp_targetILNS1_3genE0ELNS1_11target_archE4294967295ELNS1_3gpuE0ELNS1_3repE0EEENS1_30default_config_static_selectorELNS0_4arch9wavefront6targetE0EEEvSR_.numbered_sgpr, 32
	.set _ZN7rocprim17ROCPRIM_400000_NS6detail17trampoline_kernelINS0_14default_configENS1_32segmented_reduce_config_selectorIN3c104HalfEEEZNS1_21segmented_reduce_implIS3_PKS6_PS6_PKlS6_N6hipcub16HIPCUB_304000_NS6detail27convert_result_type_wrapperISA_SB_N2at6native12_GLOBAL__N_19CustomMaxEEEEE10hipError_tPvRmT0_T1_jT2_SS_T4_T3_P12ihipStream_tbEUlT_E_NS1_11comp_targetILNS1_3genE0ELNS1_11target_archE4294967295ELNS1_3gpuE0ELNS1_3repE0EEENS1_30default_config_static_selectorELNS0_4arch9wavefront6targetE0EEEvSR_.num_named_barrier, 0
	.set _ZN7rocprim17ROCPRIM_400000_NS6detail17trampoline_kernelINS0_14default_configENS1_32segmented_reduce_config_selectorIN3c104HalfEEEZNS1_21segmented_reduce_implIS3_PKS6_PS6_PKlS6_N6hipcub16HIPCUB_304000_NS6detail27convert_result_type_wrapperISA_SB_N2at6native12_GLOBAL__N_19CustomMaxEEEEE10hipError_tPvRmT0_T1_jT2_SS_T4_T3_P12ihipStream_tbEUlT_E_NS1_11comp_targetILNS1_3genE0ELNS1_11target_archE4294967295ELNS1_3gpuE0ELNS1_3repE0EEENS1_30default_config_static_selectorELNS0_4arch9wavefront6targetE0EEEvSR_.private_seg_size, 0
	.set _ZN7rocprim17ROCPRIM_400000_NS6detail17trampoline_kernelINS0_14default_configENS1_32segmented_reduce_config_selectorIN3c104HalfEEEZNS1_21segmented_reduce_implIS3_PKS6_PS6_PKlS6_N6hipcub16HIPCUB_304000_NS6detail27convert_result_type_wrapperISA_SB_N2at6native12_GLOBAL__N_19CustomMaxEEEEE10hipError_tPvRmT0_T1_jT2_SS_T4_T3_P12ihipStream_tbEUlT_E_NS1_11comp_targetILNS1_3genE0ELNS1_11target_archE4294967295ELNS1_3gpuE0ELNS1_3repE0EEENS1_30default_config_static_selectorELNS0_4arch9wavefront6targetE0EEEvSR_.uses_vcc, 1
	.set _ZN7rocprim17ROCPRIM_400000_NS6detail17trampoline_kernelINS0_14default_configENS1_32segmented_reduce_config_selectorIN3c104HalfEEEZNS1_21segmented_reduce_implIS3_PKS6_PS6_PKlS6_N6hipcub16HIPCUB_304000_NS6detail27convert_result_type_wrapperISA_SB_N2at6native12_GLOBAL__N_19CustomMaxEEEEE10hipError_tPvRmT0_T1_jT2_SS_T4_T3_P12ihipStream_tbEUlT_E_NS1_11comp_targetILNS1_3genE0ELNS1_11target_archE4294967295ELNS1_3gpuE0ELNS1_3repE0EEENS1_30default_config_static_selectorELNS0_4arch9wavefront6targetE0EEEvSR_.uses_flat_scratch, 0
	.set _ZN7rocprim17ROCPRIM_400000_NS6detail17trampoline_kernelINS0_14default_configENS1_32segmented_reduce_config_selectorIN3c104HalfEEEZNS1_21segmented_reduce_implIS3_PKS6_PS6_PKlS6_N6hipcub16HIPCUB_304000_NS6detail27convert_result_type_wrapperISA_SB_N2at6native12_GLOBAL__N_19CustomMaxEEEEE10hipError_tPvRmT0_T1_jT2_SS_T4_T3_P12ihipStream_tbEUlT_E_NS1_11comp_targetILNS1_3genE0ELNS1_11target_archE4294967295ELNS1_3gpuE0ELNS1_3repE0EEENS1_30default_config_static_selectorELNS0_4arch9wavefront6targetE0EEEvSR_.has_dyn_sized_stack, 0
	.set _ZN7rocprim17ROCPRIM_400000_NS6detail17trampoline_kernelINS0_14default_configENS1_32segmented_reduce_config_selectorIN3c104HalfEEEZNS1_21segmented_reduce_implIS3_PKS6_PS6_PKlS6_N6hipcub16HIPCUB_304000_NS6detail27convert_result_type_wrapperISA_SB_N2at6native12_GLOBAL__N_19CustomMaxEEEEE10hipError_tPvRmT0_T1_jT2_SS_T4_T3_P12ihipStream_tbEUlT_E_NS1_11comp_targetILNS1_3genE0ELNS1_11target_archE4294967295ELNS1_3gpuE0ELNS1_3repE0EEENS1_30default_config_static_selectorELNS0_4arch9wavefront6targetE0EEEvSR_.has_recursion, 0
	.set _ZN7rocprim17ROCPRIM_400000_NS6detail17trampoline_kernelINS0_14default_configENS1_32segmented_reduce_config_selectorIN3c104HalfEEEZNS1_21segmented_reduce_implIS3_PKS6_PS6_PKlS6_N6hipcub16HIPCUB_304000_NS6detail27convert_result_type_wrapperISA_SB_N2at6native12_GLOBAL__N_19CustomMaxEEEEE10hipError_tPvRmT0_T1_jT2_SS_T4_T3_P12ihipStream_tbEUlT_E_NS1_11comp_targetILNS1_3genE0ELNS1_11target_archE4294967295ELNS1_3gpuE0ELNS1_3repE0EEENS1_30default_config_static_selectorELNS0_4arch9wavefront6targetE0EEEvSR_.has_indirect_call, 0
	.section	.AMDGPU.csdata,"",@progbits
; Kernel info:
; codeLenInByte = 7664
; TotalNumSgprs: 34
; NumVgprs: 23
; ScratchSize: 0
; MemoryBound: 0
; FloatMode: 240
; IeeeMode: 1
; LDSByteSize: 16 bytes/workgroup (compile time only)
; SGPRBlocks: 0
; VGPRBlocks: 1
; NumSGPRsForWavesPerEU: 34
; NumVGPRsForWavesPerEU: 23
; NamedBarCnt: 0
; Occupancy: 16
; WaveLimiterHint : 1
; COMPUTE_PGM_RSRC2:SCRATCH_EN: 0
; COMPUTE_PGM_RSRC2:USER_SGPR: 2
; COMPUTE_PGM_RSRC2:TRAP_HANDLER: 0
; COMPUTE_PGM_RSRC2:TGID_X_EN: 1
; COMPUTE_PGM_RSRC2:TGID_Y_EN: 0
; COMPUTE_PGM_RSRC2:TGID_Z_EN: 0
; COMPUTE_PGM_RSRC2:TIDIG_COMP_CNT: 0
	.section	.text._ZN7rocprim17ROCPRIM_400000_NS6detail17trampoline_kernelINS0_14default_configENS1_32segmented_reduce_config_selectorIN3c104HalfEEEZNS1_21segmented_reduce_implIS3_PKS6_PS6_PKlS6_N6hipcub16HIPCUB_304000_NS6detail27convert_result_type_wrapperISA_SB_N2at6native12_GLOBAL__N_19CustomMaxEEEEE10hipError_tPvRmT0_T1_jT2_SS_T4_T3_P12ihipStream_tbEUlT_E_NS1_11comp_targetILNS1_3genE5ELNS1_11target_archE942ELNS1_3gpuE9ELNS1_3repE0EEENS1_30default_config_static_selectorELNS0_4arch9wavefront6targetE0EEEvSR_,"axG",@progbits,_ZN7rocprim17ROCPRIM_400000_NS6detail17trampoline_kernelINS0_14default_configENS1_32segmented_reduce_config_selectorIN3c104HalfEEEZNS1_21segmented_reduce_implIS3_PKS6_PS6_PKlS6_N6hipcub16HIPCUB_304000_NS6detail27convert_result_type_wrapperISA_SB_N2at6native12_GLOBAL__N_19CustomMaxEEEEE10hipError_tPvRmT0_T1_jT2_SS_T4_T3_P12ihipStream_tbEUlT_E_NS1_11comp_targetILNS1_3genE5ELNS1_11target_archE942ELNS1_3gpuE9ELNS1_3repE0EEENS1_30default_config_static_selectorELNS0_4arch9wavefront6targetE0EEEvSR_,comdat
	.globl	_ZN7rocprim17ROCPRIM_400000_NS6detail17trampoline_kernelINS0_14default_configENS1_32segmented_reduce_config_selectorIN3c104HalfEEEZNS1_21segmented_reduce_implIS3_PKS6_PS6_PKlS6_N6hipcub16HIPCUB_304000_NS6detail27convert_result_type_wrapperISA_SB_N2at6native12_GLOBAL__N_19CustomMaxEEEEE10hipError_tPvRmT0_T1_jT2_SS_T4_T3_P12ihipStream_tbEUlT_E_NS1_11comp_targetILNS1_3genE5ELNS1_11target_archE942ELNS1_3gpuE9ELNS1_3repE0EEENS1_30default_config_static_selectorELNS0_4arch9wavefront6targetE0EEEvSR_ ; -- Begin function _ZN7rocprim17ROCPRIM_400000_NS6detail17trampoline_kernelINS0_14default_configENS1_32segmented_reduce_config_selectorIN3c104HalfEEEZNS1_21segmented_reduce_implIS3_PKS6_PS6_PKlS6_N6hipcub16HIPCUB_304000_NS6detail27convert_result_type_wrapperISA_SB_N2at6native12_GLOBAL__N_19CustomMaxEEEEE10hipError_tPvRmT0_T1_jT2_SS_T4_T3_P12ihipStream_tbEUlT_E_NS1_11comp_targetILNS1_3genE5ELNS1_11target_archE942ELNS1_3gpuE9ELNS1_3repE0EEENS1_30default_config_static_selectorELNS0_4arch9wavefront6targetE0EEEvSR_
	.p2align	8
	.type	_ZN7rocprim17ROCPRIM_400000_NS6detail17trampoline_kernelINS0_14default_configENS1_32segmented_reduce_config_selectorIN3c104HalfEEEZNS1_21segmented_reduce_implIS3_PKS6_PS6_PKlS6_N6hipcub16HIPCUB_304000_NS6detail27convert_result_type_wrapperISA_SB_N2at6native12_GLOBAL__N_19CustomMaxEEEEE10hipError_tPvRmT0_T1_jT2_SS_T4_T3_P12ihipStream_tbEUlT_E_NS1_11comp_targetILNS1_3genE5ELNS1_11target_archE942ELNS1_3gpuE9ELNS1_3repE0EEENS1_30default_config_static_selectorELNS0_4arch9wavefront6targetE0EEEvSR_,@function
_ZN7rocprim17ROCPRIM_400000_NS6detail17trampoline_kernelINS0_14default_configENS1_32segmented_reduce_config_selectorIN3c104HalfEEEZNS1_21segmented_reduce_implIS3_PKS6_PS6_PKlS6_N6hipcub16HIPCUB_304000_NS6detail27convert_result_type_wrapperISA_SB_N2at6native12_GLOBAL__N_19CustomMaxEEEEE10hipError_tPvRmT0_T1_jT2_SS_T4_T3_P12ihipStream_tbEUlT_E_NS1_11comp_targetILNS1_3genE5ELNS1_11target_archE942ELNS1_3gpuE9ELNS1_3repE0EEENS1_30default_config_static_selectorELNS0_4arch9wavefront6targetE0EEEvSR_: ; @_ZN7rocprim17ROCPRIM_400000_NS6detail17trampoline_kernelINS0_14default_configENS1_32segmented_reduce_config_selectorIN3c104HalfEEEZNS1_21segmented_reduce_implIS3_PKS6_PS6_PKlS6_N6hipcub16HIPCUB_304000_NS6detail27convert_result_type_wrapperISA_SB_N2at6native12_GLOBAL__N_19CustomMaxEEEEE10hipError_tPvRmT0_T1_jT2_SS_T4_T3_P12ihipStream_tbEUlT_E_NS1_11comp_targetILNS1_3genE5ELNS1_11target_archE942ELNS1_3gpuE9ELNS1_3repE0EEENS1_30default_config_static_selectorELNS0_4arch9wavefront6targetE0EEEvSR_
; %bb.0:
	.section	.rodata,"a",@progbits
	.p2align	6, 0x0
	.amdhsa_kernel _ZN7rocprim17ROCPRIM_400000_NS6detail17trampoline_kernelINS0_14default_configENS1_32segmented_reduce_config_selectorIN3c104HalfEEEZNS1_21segmented_reduce_implIS3_PKS6_PS6_PKlS6_N6hipcub16HIPCUB_304000_NS6detail27convert_result_type_wrapperISA_SB_N2at6native12_GLOBAL__N_19CustomMaxEEEEE10hipError_tPvRmT0_T1_jT2_SS_T4_T3_P12ihipStream_tbEUlT_E_NS1_11comp_targetILNS1_3genE5ELNS1_11target_archE942ELNS1_3gpuE9ELNS1_3repE0EEENS1_30default_config_static_selectorELNS0_4arch9wavefront6targetE0EEEvSR_
		.amdhsa_group_segment_fixed_size 0
		.amdhsa_private_segment_fixed_size 0
		.amdhsa_kernarg_size 48
		.amdhsa_user_sgpr_count 2
		.amdhsa_user_sgpr_dispatch_ptr 0
		.amdhsa_user_sgpr_queue_ptr 0
		.amdhsa_user_sgpr_kernarg_segment_ptr 1
		.amdhsa_user_sgpr_dispatch_id 0
		.amdhsa_user_sgpr_kernarg_preload_length 0
		.amdhsa_user_sgpr_kernarg_preload_offset 0
		.amdhsa_user_sgpr_private_segment_size 0
		.amdhsa_wavefront_size32 1
		.amdhsa_uses_dynamic_stack 0
		.amdhsa_enable_private_segment 0
		.amdhsa_system_sgpr_workgroup_id_x 1
		.amdhsa_system_sgpr_workgroup_id_y 0
		.amdhsa_system_sgpr_workgroup_id_z 0
		.amdhsa_system_sgpr_workgroup_info 0
		.amdhsa_system_vgpr_workitem_id 0
		.amdhsa_next_free_vgpr 1
		.amdhsa_next_free_sgpr 1
		.amdhsa_named_barrier_count 0
		.amdhsa_reserve_vcc 0
		.amdhsa_float_round_mode_32 0
		.amdhsa_float_round_mode_16_64 0
		.amdhsa_float_denorm_mode_32 3
		.amdhsa_float_denorm_mode_16_64 3
		.amdhsa_fp16_overflow 0
		.amdhsa_memory_ordered 1
		.amdhsa_forward_progress 1
		.amdhsa_inst_pref_size 0
		.amdhsa_round_robin_scheduling 0
		.amdhsa_exception_fp_ieee_invalid_op 0
		.amdhsa_exception_fp_denorm_src 0
		.amdhsa_exception_fp_ieee_div_zero 0
		.amdhsa_exception_fp_ieee_overflow 0
		.amdhsa_exception_fp_ieee_underflow 0
		.amdhsa_exception_fp_ieee_inexact 0
		.amdhsa_exception_int_div_zero 0
	.end_amdhsa_kernel
	.section	.text._ZN7rocprim17ROCPRIM_400000_NS6detail17trampoline_kernelINS0_14default_configENS1_32segmented_reduce_config_selectorIN3c104HalfEEEZNS1_21segmented_reduce_implIS3_PKS6_PS6_PKlS6_N6hipcub16HIPCUB_304000_NS6detail27convert_result_type_wrapperISA_SB_N2at6native12_GLOBAL__N_19CustomMaxEEEEE10hipError_tPvRmT0_T1_jT2_SS_T4_T3_P12ihipStream_tbEUlT_E_NS1_11comp_targetILNS1_3genE5ELNS1_11target_archE942ELNS1_3gpuE9ELNS1_3repE0EEENS1_30default_config_static_selectorELNS0_4arch9wavefront6targetE0EEEvSR_,"axG",@progbits,_ZN7rocprim17ROCPRIM_400000_NS6detail17trampoline_kernelINS0_14default_configENS1_32segmented_reduce_config_selectorIN3c104HalfEEEZNS1_21segmented_reduce_implIS3_PKS6_PS6_PKlS6_N6hipcub16HIPCUB_304000_NS6detail27convert_result_type_wrapperISA_SB_N2at6native12_GLOBAL__N_19CustomMaxEEEEE10hipError_tPvRmT0_T1_jT2_SS_T4_T3_P12ihipStream_tbEUlT_E_NS1_11comp_targetILNS1_3genE5ELNS1_11target_archE942ELNS1_3gpuE9ELNS1_3repE0EEENS1_30default_config_static_selectorELNS0_4arch9wavefront6targetE0EEEvSR_,comdat
.Lfunc_end214:
	.size	_ZN7rocprim17ROCPRIM_400000_NS6detail17trampoline_kernelINS0_14default_configENS1_32segmented_reduce_config_selectorIN3c104HalfEEEZNS1_21segmented_reduce_implIS3_PKS6_PS6_PKlS6_N6hipcub16HIPCUB_304000_NS6detail27convert_result_type_wrapperISA_SB_N2at6native12_GLOBAL__N_19CustomMaxEEEEE10hipError_tPvRmT0_T1_jT2_SS_T4_T3_P12ihipStream_tbEUlT_E_NS1_11comp_targetILNS1_3genE5ELNS1_11target_archE942ELNS1_3gpuE9ELNS1_3repE0EEENS1_30default_config_static_selectorELNS0_4arch9wavefront6targetE0EEEvSR_, .Lfunc_end214-_ZN7rocprim17ROCPRIM_400000_NS6detail17trampoline_kernelINS0_14default_configENS1_32segmented_reduce_config_selectorIN3c104HalfEEEZNS1_21segmented_reduce_implIS3_PKS6_PS6_PKlS6_N6hipcub16HIPCUB_304000_NS6detail27convert_result_type_wrapperISA_SB_N2at6native12_GLOBAL__N_19CustomMaxEEEEE10hipError_tPvRmT0_T1_jT2_SS_T4_T3_P12ihipStream_tbEUlT_E_NS1_11comp_targetILNS1_3genE5ELNS1_11target_archE942ELNS1_3gpuE9ELNS1_3repE0EEENS1_30default_config_static_selectorELNS0_4arch9wavefront6targetE0EEEvSR_
                                        ; -- End function
	.set _ZN7rocprim17ROCPRIM_400000_NS6detail17trampoline_kernelINS0_14default_configENS1_32segmented_reduce_config_selectorIN3c104HalfEEEZNS1_21segmented_reduce_implIS3_PKS6_PS6_PKlS6_N6hipcub16HIPCUB_304000_NS6detail27convert_result_type_wrapperISA_SB_N2at6native12_GLOBAL__N_19CustomMaxEEEEE10hipError_tPvRmT0_T1_jT2_SS_T4_T3_P12ihipStream_tbEUlT_E_NS1_11comp_targetILNS1_3genE5ELNS1_11target_archE942ELNS1_3gpuE9ELNS1_3repE0EEENS1_30default_config_static_selectorELNS0_4arch9wavefront6targetE0EEEvSR_.num_vgpr, 0
	.set _ZN7rocprim17ROCPRIM_400000_NS6detail17trampoline_kernelINS0_14default_configENS1_32segmented_reduce_config_selectorIN3c104HalfEEEZNS1_21segmented_reduce_implIS3_PKS6_PS6_PKlS6_N6hipcub16HIPCUB_304000_NS6detail27convert_result_type_wrapperISA_SB_N2at6native12_GLOBAL__N_19CustomMaxEEEEE10hipError_tPvRmT0_T1_jT2_SS_T4_T3_P12ihipStream_tbEUlT_E_NS1_11comp_targetILNS1_3genE5ELNS1_11target_archE942ELNS1_3gpuE9ELNS1_3repE0EEENS1_30default_config_static_selectorELNS0_4arch9wavefront6targetE0EEEvSR_.num_agpr, 0
	.set _ZN7rocprim17ROCPRIM_400000_NS6detail17trampoline_kernelINS0_14default_configENS1_32segmented_reduce_config_selectorIN3c104HalfEEEZNS1_21segmented_reduce_implIS3_PKS6_PS6_PKlS6_N6hipcub16HIPCUB_304000_NS6detail27convert_result_type_wrapperISA_SB_N2at6native12_GLOBAL__N_19CustomMaxEEEEE10hipError_tPvRmT0_T1_jT2_SS_T4_T3_P12ihipStream_tbEUlT_E_NS1_11comp_targetILNS1_3genE5ELNS1_11target_archE942ELNS1_3gpuE9ELNS1_3repE0EEENS1_30default_config_static_selectorELNS0_4arch9wavefront6targetE0EEEvSR_.numbered_sgpr, 0
	.set _ZN7rocprim17ROCPRIM_400000_NS6detail17trampoline_kernelINS0_14default_configENS1_32segmented_reduce_config_selectorIN3c104HalfEEEZNS1_21segmented_reduce_implIS3_PKS6_PS6_PKlS6_N6hipcub16HIPCUB_304000_NS6detail27convert_result_type_wrapperISA_SB_N2at6native12_GLOBAL__N_19CustomMaxEEEEE10hipError_tPvRmT0_T1_jT2_SS_T4_T3_P12ihipStream_tbEUlT_E_NS1_11comp_targetILNS1_3genE5ELNS1_11target_archE942ELNS1_3gpuE9ELNS1_3repE0EEENS1_30default_config_static_selectorELNS0_4arch9wavefront6targetE0EEEvSR_.num_named_barrier, 0
	.set _ZN7rocprim17ROCPRIM_400000_NS6detail17trampoline_kernelINS0_14default_configENS1_32segmented_reduce_config_selectorIN3c104HalfEEEZNS1_21segmented_reduce_implIS3_PKS6_PS6_PKlS6_N6hipcub16HIPCUB_304000_NS6detail27convert_result_type_wrapperISA_SB_N2at6native12_GLOBAL__N_19CustomMaxEEEEE10hipError_tPvRmT0_T1_jT2_SS_T4_T3_P12ihipStream_tbEUlT_E_NS1_11comp_targetILNS1_3genE5ELNS1_11target_archE942ELNS1_3gpuE9ELNS1_3repE0EEENS1_30default_config_static_selectorELNS0_4arch9wavefront6targetE0EEEvSR_.private_seg_size, 0
	.set _ZN7rocprim17ROCPRIM_400000_NS6detail17trampoline_kernelINS0_14default_configENS1_32segmented_reduce_config_selectorIN3c104HalfEEEZNS1_21segmented_reduce_implIS3_PKS6_PS6_PKlS6_N6hipcub16HIPCUB_304000_NS6detail27convert_result_type_wrapperISA_SB_N2at6native12_GLOBAL__N_19CustomMaxEEEEE10hipError_tPvRmT0_T1_jT2_SS_T4_T3_P12ihipStream_tbEUlT_E_NS1_11comp_targetILNS1_3genE5ELNS1_11target_archE942ELNS1_3gpuE9ELNS1_3repE0EEENS1_30default_config_static_selectorELNS0_4arch9wavefront6targetE0EEEvSR_.uses_vcc, 0
	.set _ZN7rocprim17ROCPRIM_400000_NS6detail17trampoline_kernelINS0_14default_configENS1_32segmented_reduce_config_selectorIN3c104HalfEEEZNS1_21segmented_reduce_implIS3_PKS6_PS6_PKlS6_N6hipcub16HIPCUB_304000_NS6detail27convert_result_type_wrapperISA_SB_N2at6native12_GLOBAL__N_19CustomMaxEEEEE10hipError_tPvRmT0_T1_jT2_SS_T4_T3_P12ihipStream_tbEUlT_E_NS1_11comp_targetILNS1_3genE5ELNS1_11target_archE942ELNS1_3gpuE9ELNS1_3repE0EEENS1_30default_config_static_selectorELNS0_4arch9wavefront6targetE0EEEvSR_.uses_flat_scratch, 0
	.set _ZN7rocprim17ROCPRIM_400000_NS6detail17trampoline_kernelINS0_14default_configENS1_32segmented_reduce_config_selectorIN3c104HalfEEEZNS1_21segmented_reduce_implIS3_PKS6_PS6_PKlS6_N6hipcub16HIPCUB_304000_NS6detail27convert_result_type_wrapperISA_SB_N2at6native12_GLOBAL__N_19CustomMaxEEEEE10hipError_tPvRmT0_T1_jT2_SS_T4_T3_P12ihipStream_tbEUlT_E_NS1_11comp_targetILNS1_3genE5ELNS1_11target_archE942ELNS1_3gpuE9ELNS1_3repE0EEENS1_30default_config_static_selectorELNS0_4arch9wavefront6targetE0EEEvSR_.has_dyn_sized_stack, 0
	.set _ZN7rocprim17ROCPRIM_400000_NS6detail17trampoline_kernelINS0_14default_configENS1_32segmented_reduce_config_selectorIN3c104HalfEEEZNS1_21segmented_reduce_implIS3_PKS6_PS6_PKlS6_N6hipcub16HIPCUB_304000_NS6detail27convert_result_type_wrapperISA_SB_N2at6native12_GLOBAL__N_19CustomMaxEEEEE10hipError_tPvRmT0_T1_jT2_SS_T4_T3_P12ihipStream_tbEUlT_E_NS1_11comp_targetILNS1_3genE5ELNS1_11target_archE942ELNS1_3gpuE9ELNS1_3repE0EEENS1_30default_config_static_selectorELNS0_4arch9wavefront6targetE0EEEvSR_.has_recursion, 0
	.set _ZN7rocprim17ROCPRIM_400000_NS6detail17trampoline_kernelINS0_14default_configENS1_32segmented_reduce_config_selectorIN3c104HalfEEEZNS1_21segmented_reduce_implIS3_PKS6_PS6_PKlS6_N6hipcub16HIPCUB_304000_NS6detail27convert_result_type_wrapperISA_SB_N2at6native12_GLOBAL__N_19CustomMaxEEEEE10hipError_tPvRmT0_T1_jT2_SS_T4_T3_P12ihipStream_tbEUlT_E_NS1_11comp_targetILNS1_3genE5ELNS1_11target_archE942ELNS1_3gpuE9ELNS1_3repE0EEENS1_30default_config_static_selectorELNS0_4arch9wavefront6targetE0EEEvSR_.has_indirect_call, 0
	.section	.AMDGPU.csdata,"",@progbits
; Kernel info:
; codeLenInByte = 0
; TotalNumSgprs: 0
; NumVgprs: 0
; ScratchSize: 0
; MemoryBound: 0
; FloatMode: 240
; IeeeMode: 1
; LDSByteSize: 0 bytes/workgroup (compile time only)
; SGPRBlocks: 0
; VGPRBlocks: 0
; NumSGPRsForWavesPerEU: 1
; NumVGPRsForWavesPerEU: 1
; NamedBarCnt: 0
; Occupancy: 16
; WaveLimiterHint : 0
; COMPUTE_PGM_RSRC2:SCRATCH_EN: 0
; COMPUTE_PGM_RSRC2:USER_SGPR: 2
; COMPUTE_PGM_RSRC2:TRAP_HANDLER: 0
; COMPUTE_PGM_RSRC2:TGID_X_EN: 1
; COMPUTE_PGM_RSRC2:TGID_Y_EN: 0
; COMPUTE_PGM_RSRC2:TGID_Z_EN: 0
; COMPUTE_PGM_RSRC2:TIDIG_COMP_CNT: 0
	.section	.text._ZN7rocprim17ROCPRIM_400000_NS6detail17trampoline_kernelINS0_14default_configENS1_32segmented_reduce_config_selectorIN3c104HalfEEEZNS1_21segmented_reduce_implIS3_PKS6_PS6_PKlS6_N6hipcub16HIPCUB_304000_NS6detail27convert_result_type_wrapperISA_SB_N2at6native12_GLOBAL__N_19CustomMaxEEEEE10hipError_tPvRmT0_T1_jT2_SS_T4_T3_P12ihipStream_tbEUlT_E_NS1_11comp_targetILNS1_3genE10ELNS1_11target_archE1201ELNS1_3gpuE5ELNS1_3repE0EEENS1_30default_config_static_selectorELNS0_4arch9wavefront6targetE0EEEvSR_,"axG",@progbits,_ZN7rocprim17ROCPRIM_400000_NS6detail17trampoline_kernelINS0_14default_configENS1_32segmented_reduce_config_selectorIN3c104HalfEEEZNS1_21segmented_reduce_implIS3_PKS6_PS6_PKlS6_N6hipcub16HIPCUB_304000_NS6detail27convert_result_type_wrapperISA_SB_N2at6native12_GLOBAL__N_19CustomMaxEEEEE10hipError_tPvRmT0_T1_jT2_SS_T4_T3_P12ihipStream_tbEUlT_E_NS1_11comp_targetILNS1_3genE10ELNS1_11target_archE1201ELNS1_3gpuE5ELNS1_3repE0EEENS1_30default_config_static_selectorELNS0_4arch9wavefront6targetE0EEEvSR_,comdat
	.globl	_ZN7rocprim17ROCPRIM_400000_NS6detail17trampoline_kernelINS0_14default_configENS1_32segmented_reduce_config_selectorIN3c104HalfEEEZNS1_21segmented_reduce_implIS3_PKS6_PS6_PKlS6_N6hipcub16HIPCUB_304000_NS6detail27convert_result_type_wrapperISA_SB_N2at6native12_GLOBAL__N_19CustomMaxEEEEE10hipError_tPvRmT0_T1_jT2_SS_T4_T3_P12ihipStream_tbEUlT_E_NS1_11comp_targetILNS1_3genE10ELNS1_11target_archE1201ELNS1_3gpuE5ELNS1_3repE0EEENS1_30default_config_static_selectorELNS0_4arch9wavefront6targetE0EEEvSR_ ; -- Begin function _ZN7rocprim17ROCPRIM_400000_NS6detail17trampoline_kernelINS0_14default_configENS1_32segmented_reduce_config_selectorIN3c104HalfEEEZNS1_21segmented_reduce_implIS3_PKS6_PS6_PKlS6_N6hipcub16HIPCUB_304000_NS6detail27convert_result_type_wrapperISA_SB_N2at6native12_GLOBAL__N_19CustomMaxEEEEE10hipError_tPvRmT0_T1_jT2_SS_T4_T3_P12ihipStream_tbEUlT_E_NS1_11comp_targetILNS1_3genE10ELNS1_11target_archE1201ELNS1_3gpuE5ELNS1_3repE0EEENS1_30default_config_static_selectorELNS0_4arch9wavefront6targetE0EEEvSR_
	.p2align	8
	.type	_ZN7rocprim17ROCPRIM_400000_NS6detail17trampoline_kernelINS0_14default_configENS1_32segmented_reduce_config_selectorIN3c104HalfEEEZNS1_21segmented_reduce_implIS3_PKS6_PS6_PKlS6_N6hipcub16HIPCUB_304000_NS6detail27convert_result_type_wrapperISA_SB_N2at6native12_GLOBAL__N_19CustomMaxEEEEE10hipError_tPvRmT0_T1_jT2_SS_T4_T3_P12ihipStream_tbEUlT_E_NS1_11comp_targetILNS1_3genE10ELNS1_11target_archE1201ELNS1_3gpuE5ELNS1_3repE0EEENS1_30default_config_static_selectorELNS0_4arch9wavefront6targetE0EEEvSR_,@function
_ZN7rocprim17ROCPRIM_400000_NS6detail17trampoline_kernelINS0_14default_configENS1_32segmented_reduce_config_selectorIN3c104HalfEEEZNS1_21segmented_reduce_implIS3_PKS6_PS6_PKlS6_N6hipcub16HIPCUB_304000_NS6detail27convert_result_type_wrapperISA_SB_N2at6native12_GLOBAL__N_19CustomMaxEEEEE10hipError_tPvRmT0_T1_jT2_SS_T4_T3_P12ihipStream_tbEUlT_E_NS1_11comp_targetILNS1_3genE10ELNS1_11target_archE1201ELNS1_3gpuE5ELNS1_3repE0EEENS1_30default_config_static_selectorELNS0_4arch9wavefront6targetE0EEEvSR_: ; @_ZN7rocprim17ROCPRIM_400000_NS6detail17trampoline_kernelINS0_14default_configENS1_32segmented_reduce_config_selectorIN3c104HalfEEEZNS1_21segmented_reduce_implIS3_PKS6_PS6_PKlS6_N6hipcub16HIPCUB_304000_NS6detail27convert_result_type_wrapperISA_SB_N2at6native12_GLOBAL__N_19CustomMaxEEEEE10hipError_tPvRmT0_T1_jT2_SS_T4_T3_P12ihipStream_tbEUlT_E_NS1_11comp_targetILNS1_3genE10ELNS1_11target_archE1201ELNS1_3gpuE5ELNS1_3repE0EEENS1_30default_config_static_selectorELNS0_4arch9wavefront6targetE0EEEvSR_
; %bb.0:
	.section	.rodata,"a",@progbits
	.p2align	6, 0x0
	.amdhsa_kernel _ZN7rocprim17ROCPRIM_400000_NS6detail17trampoline_kernelINS0_14default_configENS1_32segmented_reduce_config_selectorIN3c104HalfEEEZNS1_21segmented_reduce_implIS3_PKS6_PS6_PKlS6_N6hipcub16HIPCUB_304000_NS6detail27convert_result_type_wrapperISA_SB_N2at6native12_GLOBAL__N_19CustomMaxEEEEE10hipError_tPvRmT0_T1_jT2_SS_T4_T3_P12ihipStream_tbEUlT_E_NS1_11comp_targetILNS1_3genE10ELNS1_11target_archE1201ELNS1_3gpuE5ELNS1_3repE0EEENS1_30default_config_static_selectorELNS0_4arch9wavefront6targetE0EEEvSR_
		.amdhsa_group_segment_fixed_size 0
		.amdhsa_private_segment_fixed_size 0
		.amdhsa_kernarg_size 48
		.amdhsa_user_sgpr_count 2
		.amdhsa_user_sgpr_dispatch_ptr 0
		.amdhsa_user_sgpr_queue_ptr 0
		.amdhsa_user_sgpr_kernarg_segment_ptr 1
		.amdhsa_user_sgpr_dispatch_id 0
		.amdhsa_user_sgpr_kernarg_preload_length 0
		.amdhsa_user_sgpr_kernarg_preload_offset 0
		.amdhsa_user_sgpr_private_segment_size 0
		.amdhsa_wavefront_size32 1
		.amdhsa_uses_dynamic_stack 0
		.amdhsa_enable_private_segment 0
		.amdhsa_system_sgpr_workgroup_id_x 1
		.amdhsa_system_sgpr_workgroup_id_y 0
		.amdhsa_system_sgpr_workgroup_id_z 0
		.amdhsa_system_sgpr_workgroup_info 0
		.amdhsa_system_vgpr_workitem_id 0
		.amdhsa_next_free_vgpr 1
		.amdhsa_next_free_sgpr 1
		.amdhsa_named_barrier_count 0
		.amdhsa_reserve_vcc 0
		.amdhsa_float_round_mode_32 0
		.amdhsa_float_round_mode_16_64 0
		.amdhsa_float_denorm_mode_32 3
		.amdhsa_float_denorm_mode_16_64 3
		.amdhsa_fp16_overflow 0
		.amdhsa_memory_ordered 1
		.amdhsa_forward_progress 1
		.amdhsa_inst_pref_size 0
		.amdhsa_round_robin_scheduling 0
		.amdhsa_exception_fp_ieee_invalid_op 0
		.amdhsa_exception_fp_denorm_src 0
		.amdhsa_exception_fp_ieee_div_zero 0
		.amdhsa_exception_fp_ieee_overflow 0
		.amdhsa_exception_fp_ieee_underflow 0
		.amdhsa_exception_fp_ieee_inexact 0
		.amdhsa_exception_int_div_zero 0
	.end_amdhsa_kernel
	.section	.text._ZN7rocprim17ROCPRIM_400000_NS6detail17trampoline_kernelINS0_14default_configENS1_32segmented_reduce_config_selectorIN3c104HalfEEEZNS1_21segmented_reduce_implIS3_PKS6_PS6_PKlS6_N6hipcub16HIPCUB_304000_NS6detail27convert_result_type_wrapperISA_SB_N2at6native12_GLOBAL__N_19CustomMaxEEEEE10hipError_tPvRmT0_T1_jT2_SS_T4_T3_P12ihipStream_tbEUlT_E_NS1_11comp_targetILNS1_3genE10ELNS1_11target_archE1201ELNS1_3gpuE5ELNS1_3repE0EEENS1_30default_config_static_selectorELNS0_4arch9wavefront6targetE0EEEvSR_,"axG",@progbits,_ZN7rocprim17ROCPRIM_400000_NS6detail17trampoline_kernelINS0_14default_configENS1_32segmented_reduce_config_selectorIN3c104HalfEEEZNS1_21segmented_reduce_implIS3_PKS6_PS6_PKlS6_N6hipcub16HIPCUB_304000_NS6detail27convert_result_type_wrapperISA_SB_N2at6native12_GLOBAL__N_19CustomMaxEEEEE10hipError_tPvRmT0_T1_jT2_SS_T4_T3_P12ihipStream_tbEUlT_E_NS1_11comp_targetILNS1_3genE10ELNS1_11target_archE1201ELNS1_3gpuE5ELNS1_3repE0EEENS1_30default_config_static_selectorELNS0_4arch9wavefront6targetE0EEEvSR_,comdat
.Lfunc_end215:
	.size	_ZN7rocprim17ROCPRIM_400000_NS6detail17trampoline_kernelINS0_14default_configENS1_32segmented_reduce_config_selectorIN3c104HalfEEEZNS1_21segmented_reduce_implIS3_PKS6_PS6_PKlS6_N6hipcub16HIPCUB_304000_NS6detail27convert_result_type_wrapperISA_SB_N2at6native12_GLOBAL__N_19CustomMaxEEEEE10hipError_tPvRmT0_T1_jT2_SS_T4_T3_P12ihipStream_tbEUlT_E_NS1_11comp_targetILNS1_3genE10ELNS1_11target_archE1201ELNS1_3gpuE5ELNS1_3repE0EEENS1_30default_config_static_selectorELNS0_4arch9wavefront6targetE0EEEvSR_, .Lfunc_end215-_ZN7rocprim17ROCPRIM_400000_NS6detail17trampoline_kernelINS0_14default_configENS1_32segmented_reduce_config_selectorIN3c104HalfEEEZNS1_21segmented_reduce_implIS3_PKS6_PS6_PKlS6_N6hipcub16HIPCUB_304000_NS6detail27convert_result_type_wrapperISA_SB_N2at6native12_GLOBAL__N_19CustomMaxEEEEE10hipError_tPvRmT0_T1_jT2_SS_T4_T3_P12ihipStream_tbEUlT_E_NS1_11comp_targetILNS1_3genE10ELNS1_11target_archE1201ELNS1_3gpuE5ELNS1_3repE0EEENS1_30default_config_static_selectorELNS0_4arch9wavefront6targetE0EEEvSR_
                                        ; -- End function
	.set _ZN7rocprim17ROCPRIM_400000_NS6detail17trampoline_kernelINS0_14default_configENS1_32segmented_reduce_config_selectorIN3c104HalfEEEZNS1_21segmented_reduce_implIS3_PKS6_PS6_PKlS6_N6hipcub16HIPCUB_304000_NS6detail27convert_result_type_wrapperISA_SB_N2at6native12_GLOBAL__N_19CustomMaxEEEEE10hipError_tPvRmT0_T1_jT2_SS_T4_T3_P12ihipStream_tbEUlT_E_NS1_11comp_targetILNS1_3genE10ELNS1_11target_archE1201ELNS1_3gpuE5ELNS1_3repE0EEENS1_30default_config_static_selectorELNS0_4arch9wavefront6targetE0EEEvSR_.num_vgpr, 0
	.set _ZN7rocprim17ROCPRIM_400000_NS6detail17trampoline_kernelINS0_14default_configENS1_32segmented_reduce_config_selectorIN3c104HalfEEEZNS1_21segmented_reduce_implIS3_PKS6_PS6_PKlS6_N6hipcub16HIPCUB_304000_NS6detail27convert_result_type_wrapperISA_SB_N2at6native12_GLOBAL__N_19CustomMaxEEEEE10hipError_tPvRmT0_T1_jT2_SS_T4_T3_P12ihipStream_tbEUlT_E_NS1_11comp_targetILNS1_3genE10ELNS1_11target_archE1201ELNS1_3gpuE5ELNS1_3repE0EEENS1_30default_config_static_selectorELNS0_4arch9wavefront6targetE0EEEvSR_.num_agpr, 0
	.set _ZN7rocprim17ROCPRIM_400000_NS6detail17trampoline_kernelINS0_14default_configENS1_32segmented_reduce_config_selectorIN3c104HalfEEEZNS1_21segmented_reduce_implIS3_PKS6_PS6_PKlS6_N6hipcub16HIPCUB_304000_NS6detail27convert_result_type_wrapperISA_SB_N2at6native12_GLOBAL__N_19CustomMaxEEEEE10hipError_tPvRmT0_T1_jT2_SS_T4_T3_P12ihipStream_tbEUlT_E_NS1_11comp_targetILNS1_3genE10ELNS1_11target_archE1201ELNS1_3gpuE5ELNS1_3repE0EEENS1_30default_config_static_selectorELNS0_4arch9wavefront6targetE0EEEvSR_.numbered_sgpr, 0
	.set _ZN7rocprim17ROCPRIM_400000_NS6detail17trampoline_kernelINS0_14default_configENS1_32segmented_reduce_config_selectorIN3c104HalfEEEZNS1_21segmented_reduce_implIS3_PKS6_PS6_PKlS6_N6hipcub16HIPCUB_304000_NS6detail27convert_result_type_wrapperISA_SB_N2at6native12_GLOBAL__N_19CustomMaxEEEEE10hipError_tPvRmT0_T1_jT2_SS_T4_T3_P12ihipStream_tbEUlT_E_NS1_11comp_targetILNS1_3genE10ELNS1_11target_archE1201ELNS1_3gpuE5ELNS1_3repE0EEENS1_30default_config_static_selectorELNS0_4arch9wavefront6targetE0EEEvSR_.num_named_barrier, 0
	.set _ZN7rocprim17ROCPRIM_400000_NS6detail17trampoline_kernelINS0_14default_configENS1_32segmented_reduce_config_selectorIN3c104HalfEEEZNS1_21segmented_reduce_implIS3_PKS6_PS6_PKlS6_N6hipcub16HIPCUB_304000_NS6detail27convert_result_type_wrapperISA_SB_N2at6native12_GLOBAL__N_19CustomMaxEEEEE10hipError_tPvRmT0_T1_jT2_SS_T4_T3_P12ihipStream_tbEUlT_E_NS1_11comp_targetILNS1_3genE10ELNS1_11target_archE1201ELNS1_3gpuE5ELNS1_3repE0EEENS1_30default_config_static_selectorELNS0_4arch9wavefront6targetE0EEEvSR_.private_seg_size, 0
	.set _ZN7rocprim17ROCPRIM_400000_NS6detail17trampoline_kernelINS0_14default_configENS1_32segmented_reduce_config_selectorIN3c104HalfEEEZNS1_21segmented_reduce_implIS3_PKS6_PS6_PKlS6_N6hipcub16HIPCUB_304000_NS6detail27convert_result_type_wrapperISA_SB_N2at6native12_GLOBAL__N_19CustomMaxEEEEE10hipError_tPvRmT0_T1_jT2_SS_T4_T3_P12ihipStream_tbEUlT_E_NS1_11comp_targetILNS1_3genE10ELNS1_11target_archE1201ELNS1_3gpuE5ELNS1_3repE0EEENS1_30default_config_static_selectorELNS0_4arch9wavefront6targetE0EEEvSR_.uses_vcc, 0
	.set _ZN7rocprim17ROCPRIM_400000_NS6detail17trampoline_kernelINS0_14default_configENS1_32segmented_reduce_config_selectorIN3c104HalfEEEZNS1_21segmented_reduce_implIS3_PKS6_PS6_PKlS6_N6hipcub16HIPCUB_304000_NS6detail27convert_result_type_wrapperISA_SB_N2at6native12_GLOBAL__N_19CustomMaxEEEEE10hipError_tPvRmT0_T1_jT2_SS_T4_T3_P12ihipStream_tbEUlT_E_NS1_11comp_targetILNS1_3genE10ELNS1_11target_archE1201ELNS1_3gpuE5ELNS1_3repE0EEENS1_30default_config_static_selectorELNS0_4arch9wavefront6targetE0EEEvSR_.uses_flat_scratch, 0
	.set _ZN7rocprim17ROCPRIM_400000_NS6detail17trampoline_kernelINS0_14default_configENS1_32segmented_reduce_config_selectorIN3c104HalfEEEZNS1_21segmented_reduce_implIS3_PKS6_PS6_PKlS6_N6hipcub16HIPCUB_304000_NS6detail27convert_result_type_wrapperISA_SB_N2at6native12_GLOBAL__N_19CustomMaxEEEEE10hipError_tPvRmT0_T1_jT2_SS_T4_T3_P12ihipStream_tbEUlT_E_NS1_11comp_targetILNS1_3genE10ELNS1_11target_archE1201ELNS1_3gpuE5ELNS1_3repE0EEENS1_30default_config_static_selectorELNS0_4arch9wavefront6targetE0EEEvSR_.has_dyn_sized_stack, 0
	.set _ZN7rocprim17ROCPRIM_400000_NS6detail17trampoline_kernelINS0_14default_configENS1_32segmented_reduce_config_selectorIN3c104HalfEEEZNS1_21segmented_reduce_implIS3_PKS6_PS6_PKlS6_N6hipcub16HIPCUB_304000_NS6detail27convert_result_type_wrapperISA_SB_N2at6native12_GLOBAL__N_19CustomMaxEEEEE10hipError_tPvRmT0_T1_jT2_SS_T4_T3_P12ihipStream_tbEUlT_E_NS1_11comp_targetILNS1_3genE10ELNS1_11target_archE1201ELNS1_3gpuE5ELNS1_3repE0EEENS1_30default_config_static_selectorELNS0_4arch9wavefront6targetE0EEEvSR_.has_recursion, 0
	.set _ZN7rocprim17ROCPRIM_400000_NS6detail17trampoline_kernelINS0_14default_configENS1_32segmented_reduce_config_selectorIN3c104HalfEEEZNS1_21segmented_reduce_implIS3_PKS6_PS6_PKlS6_N6hipcub16HIPCUB_304000_NS6detail27convert_result_type_wrapperISA_SB_N2at6native12_GLOBAL__N_19CustomMaxEEEEE10hipError_tPvRmT0_T1_jT2_SS_T4_T3_P12ihipStream_tbEUlT_E_NS1_11comp_targetILNS1_3genE10ELNS1_11target_archE1201ELNS1_3gpuE5ELNS1_3repE0EEENS1_30default_config_static_selectorELNS0_4arch9wavefront6targetE0EEEvSR_.has_indirect_call, 0
	.section	.AMDGPU.csdata,"",@progbits
; Kernel info:
; codeLenInByte = 0
; TotalNumSgprs: 0
; NumVgprs: 0
; ScratchSize: 0
; MemoryBound: 0
; FloatMode: 240
; IeeeMode: 1
; LDSByteSize: 0 bytes/workgroup (compile time only)
; SGPRBlocks: 0
; VGPRBlocks: 0
; NumSGPRsForWavesPerEU: 1
; NumVGPRsForWavesPerEU: 1
; NamedBarCnt: 0
; Occupancy: 16
; WaveLimiterHint : 0
; COMPUTE_PGM_RSRC2:SCRATCH_EN: 0
; COMPUTE_PGM_RSRC2:USER_SGPR: 2
; COMPUTE_PGM_RSRC2:TRAP_HANDLER: 0
; COMPUTE_PGM_RSRC2:TGID_X_EN: 1
; COMPUTE_PGM_RSRC2:TGID_Y_EN: 0
; COMPUTE_PGM_RSRC2:TGID_Z_EN: 0
; COMPUTE_PGM_RSRC2:TIDIG_COMP_CNT: 0
	.section	.text._ZN7rocprim17ROCPRIM_400000_NS6detail17trampoline_kernelINS0_14default_configENS1_32segmented_reduce_config_selectorIN3c104HalfEEEZNS1_21segmented_reduce_implIS3_PKS6_PS6_PKlS6_N6hipcub16HIPCUB_304000_NS6detail27convert_result_type_wrapperISA_SB_N2at6native12_GLOBAL__N_19CustomMaxEEEEE10hipError_tPvRmT0_T1_jT2_SS_T4_T3_P12ihipStream_tbEUlT_E_NS1_11comp_targetILNS1_3genE4ELNS1_11target_archE910ELNS1_3gpuE8ELNS1_3repE0EEENS1_30default_config_static_selectorELNS0_4arch9wavefront6targetE0EEEvSR_,"axG",@progbits,_ZN7rocprim17ROCPRIM_400000_NS6detail17trampoline_kernelINS0_14default_configENS1_32segmented_reduce_config_selectorIN3c104HalfEEEZNS1_21segmented_reduce_implIS3_PKS6_PS6_PKlS6_N6hipcub16HIPCUB_304000_NS6detail27convert_result_type_wrapperISA_SB_N2at6native12_GLOBAL__N_19CustomMaxEEEEE10hipError_tPvRmT0_T1_jT2_SS_T4_T3_P12ihipStream_tbEUlT_E_NS1_11comp_targetILNS1_3genE4ELNS1_11target_archE910ELNS1_3gpuE8ELNS1_3repE0EEENS1_30default_config_static_selectorELNS0_4arch9wavefront6targetE0EEEvSR_,comdat
	.globl	_ZN7rocprim17ROCPRIM_400000_NS6detail17trampoline_kernelINS0_14default_configENS1_32segmented_reduce_config_selectorIN3c104HalfEEEZNS1_21segmented_reduce_implIS3_PKS6_PS6_PKlS6_N6hipcub16HIPCUB_304000_NS6detail27convert_result_type_wrapperISA_SB_N2at6native12_GLOBAL__N_19CustomMaxEEEEE10hipError_tPvRmT0_T1_jT2_SS_T4_T3_P12ihipStream_tbEUlT_E_NS1_11comp_targetILNS1_3genE4ELNS1_11target_archE910ELNS1_3gpuE8ELNS1_3repE0EEENS1_30default_config_static_selectorELNS0_4arch9wavefront6targetE0EEEvSR_ ; -- Begin function _ZN7rocprim17ROCPRIM_400000_NS6detail17trampoline_kernelINS0_14default_configENS1_32segmented_reduce_config_selectorIN3c104HalfEEEZNS1_21segmented_reduce_implIS3_PKS6_PS6_PKlS6_N6hipcub16HIPCUB_304000_NS6detail27convert_result_type_wrapperISA_SB_N2at6native12_GLOBAL__N_19CustomMaxEEEEE10hipError_tPvRmT0_T1_jT2_SS_T4_T3_P12ihipStream_tbEUlT_E_NS1_11comp_targetILNS1_3genE4ELNS1_11target_archE910ELNS1_3gpuE8ELNS1_3repE0EEENS1_30default_config_static_selectorELNS0_4arch9wavefront6targetE0EEEvSR_
	.p2align	8
	.type	_ZN7rocprim17ROCPRIM_400000_NS6detail17trampoline_kernelINS0_14default_configENS1_32segmented_reduce_config_selectorIN3c104HalfEEEZNS1_21segmented_reduce_implIS3_PKS6_PS6_PKlS6_N6hipcub16HIPCUB_304000_NS6detail27convert_result_type_wrapperISA_SB_N2at6native12_GLOBAL__N_19CustomMaxEEEEE10hipError_tPvRmT0_T1_jT2_SS_T4_T3_P12ihipStream_tbEUlT_E_NS1_11comp_targetILNS1_3genE4ELNS1_11target_archE910ELNS1_3gpuE8ELNS1_3repE0EEENS1_30default_config_static_selectorELNS0_4arch9wavefront6targetE0EEEvSR_,@function
_ZN7rocprim17ROCPRIM_400000_NS6detail17trampoline_kernelINS0_14default_configENS1_32segmented_reduce_config_selectorIN3c104HalfEEEZNS1_21segmented_reduce_implIS3_PKS6_PS6_PKlS6_N6hipcub16HIPCUB_304000_NS6detail27convert_result_type_wrapperISA_SB_N2at6native12_GLOBAL__N_19CustomMaxEEEEE10hipError_tPvRmT0_T1_jT2_SS_T4_T3_P12ihipStream_tbEUlT_E_NS1_11comp_targetILNS1_3genE4ELNS1_11target_archE910ELNS1_3gpuE8ELNS1_3repE0EEENS1_30default_config_static_selectorELNS0_4arch9wavefront6targetE0EEEvSR_: ; @_ZN7rocprim17ROCPRIM_400000_NS6detail17trampoline_kernelINS0_14default_configENS1_32segmented_reduce_config_selectorIN3c104HalfEEEZNS1_21segmented_reduce_implIS3_PKS6_PS6_PKlS6_N6hipcub16HIPCUB_304000_NS6detail27convert_result_type_wrapperISA_SB_N2at6native12_GLOBAL__N_19CustomMaxEEEEE10hipError_tPvRmT0_T1_jT2_SS_T4_T3_P12ihipStream_tbEUlT_E_NS1_11comp_targetILNS1_3genE4ELNS1_11target_archE910ELNS1_3gpuE8ELNS1_3repE0EEENS1_30default_config_static_selectorELNS0_4arch9wavefront6targetE0EEEvSR_
; %bb.0:
	.section	.rodata,"a",@progbits
	.p2align	6, 0x0
	.amdhsa_kernel _ZN7rocprim17ROCPRIM_400000_NS6detail17trampoline_kernelINS0_14default_configENS1_32segmented_reduce_config_selectorIN3c104HalfEEEZNS1_21segmented_reduce_implIS3_PKS6_PS6_PKlS6_N6hipcub16HIPCUB_304000_NS6detail27convert_result_type_wrapperISA_SB_N2at6native12_GLOBAL__N_19CustomMaxEEEEE10hipError_tPvRmT0_T1_jT2_SS_T4_T3_P12ihipStream_tbEUlT_E_NS1_11comp_targetILNS1_3genE4ELNS1_11target_archE910ELNS1_3gpuE8ELNS1_3repE0EEENS1_30default_config_static_selectorELNS0_4arch9wavefront6targetE0EEEvSR_
		.amdhsa_group_segment_fixed_size 0
		.amdhsa_private_segment_fixed_size 0
		.amdhsa_kernarg_size 48
		.amdhsa_user_sgpr_count 2
		.amdhsa_user_sgpr_dispatch_ptr 0
		.amdhsa_user_sgpr_queue_ptr 0
		.amdhsa_user_sgpr_kernarg_segment_ptr 1
		.amdhsa_user_sgpr_dispatch_id 0
		.amdhsa_user_sgpr_kernarg_preload_length 0
		.amdhsa_user_sgpr_kernarg_preload_offset 0
		.amdhsa_user_sgpr_private_segment_size 0
		.amdhsa_wavefront_size32 1
		.amdhsa_uses_dynamic_stack 0
		.amdhsa_enable_private_segment 0
		.amdhsa_system_sgpr_workgroup_id_x 1
		.amdhsa_system_sgpr_workgroup_id_y 0
		.amdhsa_system_sgpr_workgroup_id_z 0
		.amdhsa_system_sgpr_workgroup_info 0
		.amdhsa_system_vgpr_workitem_id 0
		.amdhsa_next_free_vgpr 1
		.amdhsa_next_free_sgpr 1
		.amdhsa_named_barrier_count 0
		.amdhsa_reserve_vcc 0
		.amdhsa_float_round_mode_32 0
		.amdhsa_float_round_mode_16_64 0
		.amdhsa_float_denorm_mode_32 3
		.amdhsa_float_denorm_mode_16_64 3
		.amdhsa_fp16_overflow 0
		.amdhsa_memory_ordered 1
		.amdhsa_forward_progress 1
		.amdhsa_inst_pref_size 0
		.amdhsa_round_robin_scheduling 0
		.amdhsa_exception_fp_ieee_invalid_op 0
		.amdhsa_exception_fp_denorm_src 0
		.amdhsa_exception_fp_ieee_div_zero 0
		.amdhsa_exception_fp_ieee_overflow 0
		.amdhsa_exception_fp_ieee_underflow 0
		.amdhsa_exception_fp_ieee_inexact 0
		.amdhsa_exception_int_div_zero 0
	.end_amdhsa_kernel
	.section	.text._ZN7rocprim17ROCPRIM_400000_NS6detail17trampoline_kernelINS0_14default_configENS1_32segmented_reduce_config_selectorIN3c104HalfEEEZNS1_21segmented_reduce_implIS3_PKS6_PS6_PKlS6_N6hipcub16HIPCUB_304000_NS6detail27convert_result_type_wrapperISA_SB_N2at6native12_GLOBAL__N_19CustomMaxEEEEE10hipError_tPvRmT0_T1_jT2_SS_T4_T3_P12ihipStream_tbEUlT_E_NS1_11comp_targetILNS1_3genE4ELNS1_11target_archE910ELNS1_3gpuE8ELNS1_3repE0EEENS1_30default_config_static_selectorELNS0_4arch9wavefront6targetE0EEEvSR_,"axG",@progbits,_ZN7rocprim17ROCPRIM_400000_NS6detail17trampoline_kernelINS0_14default_configENS1_32segmented_reduce_config_selectorIN3c104HalfEEEZNS1_21segmented_reduce_implIS3_PKS6_PS6_PKlS6_N6hipcub16HIPCUB_304000_NS6detail27convert_result_type_wrapperISA_SB_N2at6native12_GLOBAL__N_19CustomMaxEEEEE10hipError_tPvRmT0_T1_jT2_SS_T4_T3_P12ihipStream_tbEUlT_E_NS1_11comp_targetILNS1_3genE4ELNS1_11target_archE910ELNS1_3gpuE8ELNS1_3repE0EEENS1_30default_config_static_selectorELNS0_4arch9wavefront6targetE0EEEvSR_,comdat
.Lfunc_end216:
	.size	_ZN7rocprim17ROCPRIM_400000_NS6detail17trampoline_kernelINS0_14default_configENS1_32segmented_reduce_config_selectorIN3c104HalfEEEZNS1_21segmented_reduce_implIS3_PKS6_PS6_PKlS6_N6hipcub16HIPCUB_304000_NS6detail27convert_result_type_wrapperISA_SB_N2at6native12_GLOBAL__N_19CustomMaxEEEEE10hipError_tPvRmT0_T1_jT2_SS_T4_T3_P12ihipStream_tbEUlT_E_NS1_11comp_targetILNS1_3genE4ELNS1_11target_archE910ELNS1_3gpuE8ELNS1_3repE0EEENS1_30default_config_static_selectorELNS0_4arch9wavefront6targetE0EEEvSR_, .Lfunc_end216-_ZN7rocprim17ROCPRIM_400000_NS6detail17trampoline_kernelINS0_14default_configENS1_32segmented_reduce_config_selectorIN3c104HalfEEEZNS1_21segmented_reduce_implIS3_PKS6_PS6_PKlS6_N6hipcub16HIPCUB_304000_NS6detail27convert_result_type_wrapperISA_SB_N2at6native12_GLOBAL__N_19CustomMaxEEEEE10hipError_tPvRmT0_T1_jT2_SS_T4_T3_P12ihipStream_tbEUlT_E_NS1_11comp_targetILNS1_3genE4ELNS1_11target_archE910ELNS1_3gpuE8ELNS1_3repE0EEENS1_30default_config_static_selectorELNS0_4arch9wavefront6targetE0EEEvSR_
                                        ; -- End function
	.set _ZN7rocprim17ROCPRIM_400000_NS6detail17trampoline_kernelINS0_14default_configENS1_32segmented_reduce_config_selectorIN3c104HalfEEEZNS1_21segmented_reduce_implIS3_PKS6_PS6_PKlS6_N6hipcub16HIPCUB_304000_NS6detail27convert_result_type_wrapperISA_SB_N2at6native12_GLOBAL__N_19CustomMaxEEEEE10hipError_tPvRmT0_T1_jT2_SS_T4_T3_P12ihipStream_tbEUlT_E_NS1_11comp_targetILNS1_3genE4ELNS1_11target_archE910ELNS1_3gpuE8ELNS1_3repE0EEENS1_30default_config_static_selectorELNS0_4arch9wavefront6targetE0EEEvSR_.num_vgpr, 0
	.set _ZN7rocprim17ROCPRIM_400000_NS6detail17trampoline_kernelINS0_14default_configENS1_32segmented_reduce_config_selectorIN3c104HalfEEEZNS1_21segmented_reduce_implIS3_PKS6_PS6_PKlS6_N6hipcub16HIPCUB_304000_NS6detail27convert_result_type_wrapperISA_SB_N2at6native12_GLOBAL__N_19CustomMaxEEEEE10hipError_tPvRmT0_T1_jT2_SS_T4_T3_P12ihipStream_tbEUlT_E_NS1_11comp_targetILNS1_3genE4ELNS1_11target_archE910ELNS1_3gpuE8ELNS1_3repE0EEENS1_30default_config_static_selectorELNS0_4arch9wavefront6targetE0EEEvSR_.num_agpr, 0
	.set _ZN7rocprim17ROCPRIM_400000_NS6detail17trampoline_kernelINS0_14default_configENS1_32segmented_reduce_config_selectorIN3c104HalfEEEZNS1_21segmented_reduce_implIS3_PKS6_PS6_PKlS6_N6hipcub16HIPCUB_304000_NS6detail27convert_result_type_wrapperISA_SB_N2at6native12_GLOBAL__N_19CustomMaxEEEEE10hipError_tPvRmT0_T1_jT2_SS_T4_T3_P12ihipStream_tbEUlT_E_NS1_11comp_targetILNS1_3genE4ELNS1_11target_archE910ELNS1_3gpuE8ELNS1_3repE0EEENS1_30default_config_static_selectorELNS0_4arch9wavefront6targetE0EEEvSR_.numbered_sgpr, 0
	.set _ZN7rocprim17ROCPRIM_400000_NS6detail17trampoline_kernelINS0_14default_configENS1_32segmented_reduce_config_selectorIN3c104HalfEEEZNS1_21segmented_reduce_implIS3_PKS6_PS6_PKlS6_N6hipcub16HIPCUB_304000_NS6detail27convert_result_type_wrapperISA_SB_N2at6native12_GLOBAL__N_19CustomMaxEEEEE10hipError_tPvRmT0_T1_jT2_SS_T4_T3_P12ihipStream_tbEUlT_E_NS1_11comp_targetILNS1_3genE4ELNS1_11target_archE910ELNS1_3gpuE8ELNS1_3repE0EEENS1_30default_config_static_selectorELNS0_4arch9wavefront6targetE0EEEvSR_.num_named_barrier, 0
	.set _ZN7rocprim17ROCPRIM_400000_NS6detail17trampoline_kernelINS0_14default_configENS1_32segmented_reduce_config_selectorIN3c104HalfEEEZNS1_21segmented_reduce_implIS3_PKS6_PS6_PKlS6_N6hipcub16HIPCUB_304000_NS6detail27convert_result_type_wrapperISA_SB_N2at6native12_GLOBAL__N_19CustomMaxEEEEE10hipError_tPvRmT0_T1_jT2_SS_T4_T3_P12ihipStream_tbEUlT_E_NS1_11comp_targetILNS1_3genE4ELNS1_11target_archE910ELNS1_3gpuE8ELNS1_3repE0EEENS1_30default_config_static_selectorELNS0_4arch9wavefront6targetE0EEEvSR_.private_seg_size, 0
	.set _ZN7rocprim17ROCPRIM_400000_NS6detail17trampoline_kernelINS0_14default_configENS1_32segmented_reduce_config_selectorIN3c104HalfEEEZNS1_21segmented_reduce_implIS3_PKS6_PS6_PKlS6_N6hipcub16HIPCUB_304000_NS6detail27convert_result_type_wrapperISA_SB_N2at6native12_GLOBAL__N_19CustomMaxEEEEE10hipError_tPvRmT0_T1_jT2_SS_T4_T3_P12ihipStream_tbEUlT_E_NS1_11comp_targetILNS1_3genE4ELNS1_11target_archE910ELNS1_3gpuE8ELNS1_3repE0EEENS1_30default_config_static_selectorELNS0_4arch9wavefront6targetE0EEEvSR_.uses_vcc, 0
	.set _ZN7rocprim17ROCPRIM_400000_NS6detail17trampoline_kernelINS0_14default_configENS1_32segmented_reduce_config_selectorIN3c104HalfEEEZNS1_21segmented_reduce_implIS3_PKS6_PS6_PKlS6_N6hipcub16HIPCUB_304000_NS6detail27convert_result_type_wrapperISA_SB_N2at6native12_GLOBAL__N_19CustomMaxEEEEE10hipError_tPvRmT0_T1_jT2_SS_T4_T3_P12ihipStream_tbEUlT_E_NS1_11comp_targetILNS1_3genE4ELNS1_11target_archE910ELNS1_3gpuE8ELNS1_3repE0EEENS1_30default_config_static_selectorELNS0_4arch9wavefront6targetE0EEEvSR_.uses_flat_scratch, 0
	.set _ZN7rocprim17ROCPRIM_400000_NS6detail17trampoline_kernelINS0_14default_configENS1_32segmented_reduce_config_selectorIN3c104HalfEEEZNS1_21segmented_reduce_implIS3_PKS6_PS6_PKlS6_N6hipcub16HIPCUB_304000_NS6detail27convert_result_type_wrapperISA_SB_N2at6native12_GLOBAL__N_19CustomMaxEEEEE10hipError_tPvRmT0_T1_jT2_SS_T4_T3_P12ihipStream_tbEUlT_E_NS1_11comp_targetILNS1_3genE4ELNS1_11target_archE910ELNS1_3gpuE8ELNS1_3repE0EEENS1_30default_config_static_selectorELNS0_4arch9wavefront6targetE0EEEvSR_.has_dyn_sized_stack, 0
	.set _ZN7rocprim17ROCPRIM_400000_NS6detail17trampoline_kernelINS0_14default_configENS1_32segmented_reduce_config_selectorIN3c104HalfEEEZNS1_21segmented_reduce_implIS3_PKS6_PS6_PKlS6_N6hipcub16HIPCUB_304000_NS6detail27convert_result_type_wrapperISA_SB_N2at6native12_GLOBAL__N_19CustomMaxEEEEE10hipError_tPvRmT0_T1_jT2_SS_T4_T3_P12ihipStream_tbEUlT_E_NS1_11comp_targetILNS1_3genE4ELNS1_11target_archE910ELNS1_3gpuE8ELNS1_3repE0EEENS1_30default_config_static_selectorELNS0_4arch9wavefront6targetE0EEEvSR_.has_recursion, 0
	.set _ZN7rocprim17ROCPRIM_400000_NS6detail17trampoline_kernelINS0_14default_configENS1_32segmented_reduce_config_selectorIN3c104HalfEEEZNS1_21segmented_reduce_implIS3_PKS6_PS6_PKlS6_N6hipcub16HIPCUB_304000_NS6detail27convert_result_type_wrapperISA_SB_N2at6native12_GLOBAL__N_19CustomMaxEEEEE10hipError_tPvRmT0_T1_jT2_SS_T4_T3_P12ihipStream_tbEUlT_E_NS1_11comp_targetILNS1_3genE4ELNS1_11target_archE910ELNS1_3gpuE8ELNS1_3repE0EEENS1_30default_config_static_selectorELNS0_4arch9wavefront6targetE0EEEvSR_.has_indirect_call, 0
	.section	.AMDGPU.csdata,"",@progbits
; Kernel info:
; codeLenInByte = 0
; TotalNumSgprs: 0
; NumVgprs: 0
; ScratchSize: 0
; MemoryBound: 0
; FloatMode: 240
; IeeeMode: 1
; LDSByteSize: 0 bytes/workgroup (compile time only)
; SGPRBlocks: 0
; VGPRBlocks: 0
; NumSGPRsForWavesPerEU: 1
; NumVGPRsForWavesPerEU: 1
; NamedBarCnt: 0
; Occupancy: 16
; WaveLimiterHint : 0
; COMPUTE_PGM_RSRC2:SCRATCH_EN: 0
; COMPUTE_PGM_RSRC2:USER_SGPR: 2
; COMPUTE_PGM_RSRC2:TRAP_HANDLER: 0
; COMPUTE_PGM_RSRC2:TGID_X_EN: 1
; COMPUTE_PGM_RSRC2:TGID_Y_EN: 0
; COMPUTE_PGM_RSRC2:TGID_Z_EN: 0
; COMPUTE_PGM_RSRC2:TIDIG_COMP_CNT: 0
	.section	.text._ZN7rocprim17ROCPRIM_400000_NS6detail17trampoline_kernelINS0_14default_configENS1_32segmented_reduce_config_selectorIN3c104HalfEEEZNS1_21segmented_reduce_implIS3_PKS6_PS6_PKlS6_N6hipcub16HIPCUB_304000_NS6detail27convert_result_type_wrapperISA_SB_N2at6native12_GLOBAL__N_19CustomMaxEEEEE10hipError_tPvRmT0_T1_jT2_SS_T4_T3_P12ihipStream_tbEUlT_E_NS1_11comp_targetILNS1_3genE3ELNS1_11target_archE908ELNS1_3gpuE7ELNS1_3repE0EEENS1_30default_config_static_selectorELNS0_4arch9wavefront6targetE0EEEvSR_,"axG",@progbits,_ZN7rocprim17ROCPRIM_400000_NS6detail17trampoline_kernelINS0_14default_configENS1_32segmented_reduce_config_selectorIN3c104HalfEEEZNS1_21segmented_reduce_implIS3_PKS6_PS6_PKlS6_N6hipcub16HIPCUB_304000_NS6detail27convert_result_type_wrapperISA_SB_N2at6native12_GLOBAL__N_19CustomMaxEEEEE10hipError_tPvRmT0_T1_jT2_SS_T4_T3_P12ihipStream_tbEUlT_E_NS1_11comp_targetILNS1_3genE3ELNS1_11target_archE908ELNS1_3gpuE7ELNS1_3repE0EEENS1_30default_config_static_selectorELNS0_4arch9wavefront6targetE0EEEvSR_,comdat
	.globl	_ZN7rocprim17ROCPRIM_400000_NS6detail17trampoline_kernelINS0_14default_configENS1_32segmented_reduce_config_selectorIN3c104HalfEEEZNS1_21segmented_reduce_implIS3_PKS6_PS6_PKlS6_N6hipcub16HIPCUB_304000_NS6detail27convert_result_type_wrapperISA_SB_N2at6native12_GLOBAL__N_19CustomMaxEEEEE10hipError_tPvRmT0_T1_jT2_SS_T4_T3_P12ihipStream_tbEUlT_E_NS1_11comp_targetILNS1_3genE3ELNS1_11target_archE908ELNS1_3gpuE7ELNS1_3repE0EEENS1_30default_config_static_selectorELNS0_4arch9wavefront6targetE0EEEvSR_ ; -- Begin function _ZN7rocprim17ROCPRIM_400000_NS6detail17trampoline_kernelINS0_14default_configENS1_32segmented_reduce_config_selectorIN3c104HalfEEEZNS1_21segmented_reduce_implIS3_PKS6_PS6_PKlS6_N6hipcub16HIPCUB_304000_NS6detail27convert_result_type_wrapperISA_SB_N2at6native12_GLOBAL__N_19CustomMaxEEEEE10hipError_tPvRmT0_T1_jT2_SS_T4_T3_P12ihipStream_tbEUlT_E_NS1_11comp_targetILNS1_3genE3ELNS1_11target_archE908ELNS1_3gpuE7ELNS1_3repE0EEENS1_30default_config_static_selectorELNS0_4arch9wavefront6targetE0EEEvSR_
	.p2align	8
	.type	_ZN7rocprim17ROCPRIM_400000_NS6detail17trampoline_kernelINS0_14default_configENS1_32segmented_reduce_config_selectorIN3c104HalfEEEZNS1_21segmented_reduce_implIS3_PKS6_PS6_PKlS6_N6hipcub16HIPCUB_304000_NS6detail27convert_result_type_wrapperISA_SB_N2at6native12_GLOBAL__N_19CustomMaxEEEEE10hipError_tPvRmT0_T1_jT2_SS_T4_T3_P12ihipStream_tbEUlT_E_NS1_11comp_targetILNS1_3genE3ELNS1_11target_archE908ELNS1_3gpuE7ELNS1_3repE0EEENS1_30default_config_static_selectorELNS0_4arch9wavefront6targetE0EEEvSR_,@function
_ZN7rocprim17ROCPRIM_400000_NS6detail17trampoline_kernelINS0_14default_configENS1_32segmented_reduce_config_selectorIN3c104HalfEEEZNS1_21segmented_reduce_implIS3_PKS6_PS6_PKlS6_N6hipcub16HIPCUB_304000_NS6detail27convert_result_type_wrapperISA_SB_N2at6native12_GLOBAL__N_19CustomMaxEEEEE10hipError_tPvRmT0_T1_jT2_SS_T4_T3_P12ihipStream_tbEUlT_E_NS1_11comp_targetILNS1_3genE3ELNS1_11target_archE908ELNS1_3gpuE7ELNS1_3repE0EEENS1_30default_config_static_selectorELNS0_4arch9wavefront6targetE0EEEvSR_: ; @_ZN7rocprim17ROCPRIM_400000_NS6detail17trampoline_kernelINS0_14default_configENS1_32segmented_reduce_config_selectorIN3c104HalfEEEZNS1_21segmented_reduce_implIS3_PKS6_PS6_PKlS6_N6hipcub16HIPCUB_304000_NS6detail27convert_result_type_wrapperISA_SB_N2at6native12_GLOBAL__N_19CustomMaxEEEEE10hipError_tPvRmT0_T1_jT2_SS_T4_T3_P12ihipStream_tbEUlT_E_NS1_11comp_targetILNS1_3genE3ELNS1_11target_archE908ELNS1_3gpuE7ELNS1_3repE0EEENS1_30default_config_static_selectorELNS0_4arch9wavefront6targetE0EEEvSR_
; %bb.0:
	.section	.rodata,"a",@progbits
	.p2align	6, 0x0
	.amdhsa_kernel _ZN7rocprim17ROCPRIM_400000_NS6detail17trampoline_kernelINS0_14default_configENS1_32segmented_reduce_config_selectorIN3c104HalfEEEZNS1_21segmented_reduce_implIS3_PKS6_PS6_PKlS6_N6hipcub16HIPCUB_304000_NS6detail27convert_result_type_wrapperISA_SB_N2at6native12_GLOBAL__N_19CustomMaxEEEEE10hipError_tPvRmT0_T1_jT2_SS_T4_T3_P12ihipStream_tbEUlT_E_NS1_11comp_targetILNS1_3genE3ELNS1_11target_archE908ELNS1_3gpuE7ELNS1_3repE0EEENS1_30default_config_static_selectorELNS0_4arch9wavefront6targetE0EEEvSR_
		.amdhsa_group_segment_fixed_size 0
		.amdhsa_private_segment_fixed_size 0
		.amdhsa_kernarg_size 48
		.amdhsa_user_sgpr_count 2
		.amdhsa_user_sgpr_dispatch_ptr 0
		.amdhsa_user_sgpr_queue_ptr 0
		.amdhsa_user_sgpr_kernarg_segment_ptr 1
		.amdhsa_user_sgpr_dispatch_id 0
		.amdhsa_user_sgpr_kernarg_preload_length 0
		.amdhsa_user_sgpr_kernarg_preload_offset 0
		.amdhsa_user_sgpr_private_segment_size 0
		.amdhsa_wavefront_size32 1
		.amdhsa_uses_dynamic_stack 0
		.amdhsa_enable_private_segment 0
		.amdhsa_system_sgpr_workgroup_id_x 1
		.amdhsa_system_sgpr_workgroup_id_y 0
		.amdhsa_system_sgpr_workgroup_id_z 0
		.amdhsa_system_sgpr_workgroup_info 0
		.amdhsa_system_vgpr_workitem_id 0
		.amdhsa_next_free_vgpr 1
		.amdhsa_next_free_sgpr 1
		.amdhsa_named_barrier_count 0
		.amdhsa_reserve_vcc 0
		.amdhsa_float_round_mode_32 0
		.amdhsa_float_round_mode_16_64 0
		.amdhsa_float_denorm_mode_32 3
		.amdhsa_float_denorm_mode_16_64 3
		.amdhsa_fp16_overflow 0
		.amdhsa_memory_ordered 1
		.amdhsa_forward_progress 1
		.amdhsa_inst_pref_size 0
		.amdhsa_round_robin_scheduling 0
		.amdhsa_exception_fp_ieee_invalid_op 0
		.amdhsa_exception_fp_denorm_src 0
		.amdhsa_exception_fp_ieee_div_zero 0
		.amdhsa_exception_fp_ieee_overflow 0
		.amdhsa_exception_fp_ieee_underflow 0
		.amdhsa_exception_fp_ieee_inexact 0
		.amdhsa_exception_int_div_zero 0
	.end_amdhsa_kernel
	.section	.text._ZN7rocprim17ROCPRIM_400000_NS6detail17trampoline_kernelINS0_14default_configENS1_32segmented_reduce_config_selectorIN3c104HalfEEEZNS1_21segmented_reduce_implIS3_PKS6_PS6_PKlS6_N6hipcub16HIPCUB_304000_NS6detail27convert_result_type_wrapperISA_SB_N2at6native12_GLOBAL__N_19CustomMaxEEEEE10hipError_tPvRmT0_T1_jT2_SS_T4_T3_P12ihipStream_tbEUlT_E_NS1_11comp_targetILNS1_3genE3ELNS1_11target_archE908ELNS1_3gpuE7ELNS1_3repE0EEENS1_30default_config_static_selectorELNS0_4arch9wavefront6targetE0EEEvSR_,"axG",@progbits,_ZN7rocprim17ROCPRIM_400000_NS6detail17trampoline_kernelINS0_14default_configENS1_32segmented_reduce_config_selectorIN3c104HalfEEEZNS1_21segmented_reduce_implIS3_PKS6_PS6_PKlS6_N6hipcub16HIPCUB_304000_NS6detail27convert_result_type_wrapperISA_SB_N2at6native12_GLOBAL__N_19CustomMaxEEEEE10hipError_tPvRmT0_T1_jT2_SS_T4_T3_P12ihipStream_tbEUlT_E_NS1_11comp_targetILNS1_3genE3ELNS1_11target_archE908ELNS1_3gpuE7ELNS1_3repE0EEENS1_30default_config_static_selectorELNS0_4arch9wavefront6targetE0EEEvSR_,comdat
.Lfunc_end217:
	.size	_ZN7rocprim17ROCPRIM_400000_NS6detail17trampoline_kernelINS0_14default_configENS1_32segmented_reduce_config_selectorIN3c104HalfEEEZNS1_21segmented_reduce_implIS3_PKS6_PS6_PKlS6_N6hipcub16HIPCUB_304000_NS6detail27convert_result_type_wrapperISA_SB_N2at6native12_GLOBAL__N_19CustomMaxEEEEE10hipError_tPvRmT0_T1_jT2_SS_T4_T3_P12ihipStream_tbEUlT_E_NS1_11comp_targetILNS1_3genE3ELNS1_11target_archE908ELNS1_3gpuE7ELNS1_3repE0EEENS1_30default_config_static_selectorELNS0_4arch9wavefront6targetE0EEEvSR_, .Lfunc_end217-_ZN7rocprim17ROCPRIM_400000_NS6detail17trampoline_kernelINS0_14default_configENS1_32segmented_reduce_config_selectorIN3c104HalfEEEZNS1_21segmented_reduce_implIS3_PKS6_PS6_PKlS6_N6hipcub16HIPCUB_304000_NS6detail27convert_result_type_wrapperISA_SB_N2at6native12_GLOBAL__N_19CustomMaxEEEEE10hipError_tPvRmT0_T1_jT2_SS_T4_T3_P12ihipStream_tbEUlT_E_NS1_11comp_targetILNS1_3genE3ELNS1_11target_archE908ELNS1_3gpuE7ELNS1_3repE0EEENS1_30default_config_static_selectorELNS0_4arch9wavefront6targetE0EEEvSR_
                                        ; -- End function
	.set _ZN7rocprim17ROCPRIM_400000_NS6detail17trampoline_kernelINS0_14default_configENS1_32segmented_reduce_config_selectorIN3c104HalfEEEZNS1_21segmented_reduce_implIS3_PKS6_PS6_PKlS6_N6hipcub16HIPCUB_304000_NS6detail27convert_result_type_wrapperISA_SB_N2at6native12_GLOBAL__N_19CustomMaxEEEEE10hipError_tPvRmT0_T1_jT2_SS_T4_T3_P12ihipStream_tbEUlT_E_NS1_11comp_targetILNS1_3genE3ELNS1_11target_archE908ELNS1_3gpuE7ELNS1_3repE0EEENS1_30default_config_static_selectorELNS0_4arch9wavefront6targetE0EEEvSR_.num_vgpr, 0
	.set _ZN7rocprim17ROCPRIM_400000_NS6detail17trampoline_kernelINS0_14default_configENS1_32segmented_reduce_config_selectorIN3c104HalfEEEZNS1_21segmented_reduce_implIS3_PKS6_PS6_PKlS6_N6hipcub16HIPCUB_304000_NS6detail27convert_result_type_wrapperISA_SB_N2at6native12_GLOBAL__N_19CustomMaxEEEEE10hipError_tPvRmT0_T1_jT2_SS_T4_T3_P12ihipStream_tbEUlT_E_NS1_11comp_targetILNS1_3genE3ELNS1_11target_archE908ELNS1_3gpuE7ELNS1_3repE0EEENS1_30default_config_static_selectorELNS0_4arch9wavefront6targetE0EEEvSR_.num_agpr, 0
	.set _ZN7rocprim17ROCPRIM_400000_NS6detail17trampoline_kernelINS0_14default_configENS1_32segmented_reduce_config_selectorIN3c104HalfEEEZNS1_21segmented_reduce_implIS3_PKS6_PS6_PKlS6_N6hipcub16HIPCUB_304000_NS6detail27convert_result_type_wrapperISA_SB_N2at6native12_GLOBAL__N_19CustomMaxEEEEE10hipError_tPvRmT0_T1_jT2_SS_T4_T3_P12ihipStream_tbEUlT_E_NS1_11comp_targetILNS1_3genE3ELNS1_11target_archE908ELNS1_3gpuE7ELNS1_3repE0EEENS1_30default_config_static_selectorELNS0_4arch9wavefront6targetE0EEEvSR_.numbered_sgpr, 0
	.set _ZN7rocprim17ROCPRIM_400000_NS6detail17trampoline_kernelINS0_14default_configENS1_32segmented_reduce_config_selectorIN3c104HalfEEEZNS1_21segmented_reduce_implIS3_PKS6_PS6_PKlS6_N6hipcub16HIPCUB_304000_NS6detail27convert_result_type_wrapperISA_SB_N2at6native12_GLOBAL__N_19CustomMaxEEEEE10hipError_tPvRmT0_T1_jT2_SS_T4_T3_P12ihipStream_tbEUlT_E_NS1_11comp_targetILNS1_3genE3ELNS1_11target_archE908ELNS1_3gpuE7ELNS1_3repE0EEENS1_30default_config_static_selectorELNS0_4arch9wavefront6targetE0EEEvSR_.num_named_barrier, 0
	.set _ZN7rocprim17ROCPRIM_400000_NS6detail17trampoline_kernelINS0_14default_configENS1_32segmented_reduce_config_selectorIN3c104HalfEEEZNS1_21segmented_reduce_implIS3_PKS6_PS6_PKlS6_N6hipcub16HIPCUB_304000_NS6detail27convert_result_type_wrapperISA_SB_N2at6native12_GLOBAL__N_19CustomMaxEEEEE10hipError_tPvRmT0_T1_jT2_SS_T4_T3_P12ihipStream_tbEUlT_E_NS1_11comp_targetILNS1_3genE3ELNS1_11target_archE908ELNS1_3gpuE7ELNS1_3repE0EEENS1_30default_config_static_selectorELNS0_4arch9wavefront6targetE0EEEvSR_.private_seg_size, 0
	.set _ZN7rocprim17ROCPRIM_400000_NS6detail17trampoline_kernelINS0_14default_configENS1_32segmented_reduce_config_selectorIN3c104HalfEEEZNS1_21segmented_reduce_implIS3_PKS6_PS6_PKlS6_N6hipcub16HIPCUB_304000_NS6detail27convert_result_type_wrapperISA_SB_N2at6native12_GLOBAL__N_19CustomMaxEEEEE10hipError_tPvRmT0_T1_jT2_SS_T4_T3_P12ihipStream_tbEUlT_E_NS1_11comp_targetILNS1_3genE3ELNS1_11target_archE908ELNS1_3gpuE7ELNS1_3repE0EEENS1_30default_config_static_selectorELNS0_4arch9wavefront6targetE0EEEvSR_.uses_vcc, 0
	.set _ZN7rocprim17ROCPRIM_400000_NS6detail17trampoline_kernelINS0_14default_configENS1_32segmented_reduce_config_selectorIN3c104HalfEEEZNS1_21segmented_reduce_implIS3_PKS6_PS6_PKlS6_N6hipcub16HIPCUB_304000_NS6detail27convert_result_type_wrapperISA_SB_N2at6native12_GLOBAL__N_19CustomMaxEEEEE10hipError_tPvRmT0_T1_jT2_SS_T4_T3_P12ihipStream_tbEUlT_E_NS1_11comp_targetILNS1_3genE3ELNS1_11target_archE908ELNS1_3gpuE7ELNS1_3repE0EEENS1_30default_config_static_selectorELNS0_4arch9wavefront6targetE0EEEvSR_.uses_flat_scratch, 0
	.set _ZN7rocprim17ROCPRIM_400000_NS6detail17trampoline_kernelINS0_14default_configENS1_32segmented_reduce_config_selectorIN3c104HalfEEEZNS1_21segmented_reduce_implIS3_PKS6_PS6_PKlS6_N6hipcub16HIPCUB_304000_NS6detail27convert_result_type_wrapperISA_SB_N2at6native12_GLOBAL__N_19CustomMaxEEEEE10hipError_tPvRmT0_T1_jT2_SS_T4_T3_P12ihipStream_tbEUlT_E_NS1_11comp_targetILNS1_3genE3ELNS1_11target_archE908ELNS1_3gpuE7ELNS1_3repE0EEENS1_30default_config_static_selectorELNS0_4arch9wavefront6targetE0EEEvSR_.has_dyn_sized_stack, 0
	.set _ZN7rocprim17ROCPRIM_400000_NS6detail17trampoline_kernelINS0_14default_configENS1_32segmented_reduce_config_selectorIN3c104HalfEEEZNS1_21segmented_reduce_implIS3_PKS6_PS6_PKlS6_N6hipcub16HIPCUB_304000_NS6detail27convert_result_type_wrapperISA_SB_N2at6native12_GLOBAL__N_19CustomMaxEEEEE10hipError_tPvRmT0_T1_jT2_SS_T4_T3_P12ihipStream_tbEUlT_E_NS1_11comp_targetILNS1_3genE3ELNS1_11target_archE908ELNS1_3gpuE7ELNS1_3repE0EEENS1_30default_config_static_selectorELNS0_4arch9wavefront6targetE0EEEvSR_.has_recursion, 0
	.set _ZN7rocprim17ROCPRIM_400000_NS6detail17trampoline_kernelINS0_14default_configENS1_32segmented_reduce_config_selectorIN3c104HalfEEEZNS1_21segmented_reduce_implIS3_PKS6_PS6_PKlS6_N6hipcub16HIPCUB_304000_NS6detail27convert_result_type_wrapperISA_SB_N2at6native12_GLOBAL__N_19CustomMaxEEEEE10hipError_tPvRmT0_T1_jT2_SS_T4_T3_P12ihipStream_tbEUlT_E_NS1_11comp_targetILNS1_3genE3ELNS1_11target_archE908ELNS1_3gpuE7ELNS1_3repE0EEENS1_30default_config_static_selectorELNS0_4arch9wavefront6targetE0EEEvSR_.has_indirect_call, 0
	.section	.AMDGPU.csdata,"",@progbits
; Kernel info:
; codeLenInByte = 0
; TotalNumSgprs: 0
; NumVgprs: 0
; ScratchSize: 0
; MemoryBound: 0
; FloatMode: 240
; IeeeMode: 1
; LDSByteSize: 0 bytes/workgroup (compile time only)
; SGPRBlocks: 0
; VGPRBlocks: 0
; NumSGPRsForWavesPerEU: 1
; NumVGPRsForWavesPerEU: 1
; NamedBarCnt: 0
; Occupancy: 16
; WaveLimiterHint : 0
; COMPUTE_PGM_RSRC2:SCRATCH_EN: 0
; COMPUTE_PGM_RSRC2:USER_SGPR: 2
; COMPUTE_PGM_RSRC2:TRAP_HANDLER: 0
; COMPUTE_PGM_RSRC2:TGID_X_EN: 1
; COMPUTE_PGM_RSRC2:TGID_Y_EN: 0
; COMPUTE_PGM_RSRC2:TGID_Z_EN: 0
; COMPUTE_PGM_RSRC2:TIDIG_COMP_CNT: 0
	.section	.text._ZN7rocprim17ROCPRIM_400000_NS6detail17trampoline_kernelINS0_14default_configENS1_32segmented_reduce_config_selectorIN3c104HalfEEEZNS1_21segmented_reduce_implIS3_PKS6_PS6_PKlS6_N6hipcub16HIPCUB_304000_NS6detail27convert_result_type_wrapperISA_SB_N2at6native12_GLOBAL__N_19CustomMaxEEEEE10hipError_tPvRmT0_T1_jT2_SS_T4_T3_P12ihipStream_tbEUlT_E_NS1_11comp_targetILNS1_3genE2ELNS1_11target_archE906ELNS1_3gpuE6ELNS1_3repE0EEENS1_30default_config_static_selectorELNS0_4arch9wavefront6targetE0EEEvSR_,"axG",@progbits,_ZN7rocprim17ROCPRIM_400000_NS6detail17trampoline_kernelINS0_14default_configENS1_32segmented_reduce_config_selectorIN3c104HalfEEEZNS1_21segmented_reduce_implIS3_PKS6_PS6_PKlS6_N6hipcub16HIPCUB_304000_NS6detail27convert_result_type_wrapperISA_SB_N2at6native12_GLOBAL__N_19CustomMaxEEEEE10hipError_tPvRmT0_T1_jT2_SS_T4_T3_P12ihipStream_tbEUlT_E_NS1_11comp_targetILNS1_3genE2ELNS1_11target_archE906ELNS1_3gpuE6ELNS1_3repE0EEENS1_30default_config_static_selectorELNS0_4arch9wavefront6targetE0EEEvSR_,comdat
	.globl	_ZN7rocprim17ROCPRIM_400000_NS6detail17trampoline_kernelINS0_14default_configENS1_32segmented_reduce_config_selectorIN3c104HalfEEEZNS1_21segmented_reduce_implIS3_PKS6_PS6_PKlS6_N6hipcub16HIPCUB_304000_NS6detail27convert_result_type_wrapperISA_SB_N2at6native12_GLOBAL__N_19CustomMaxEEEEE10hipError_tPvRmT0_T1_jT2_SS_T4_T3_P12ihipStream_tbEUlT_E_NS1_11comp_targetILNS1_3genE2ELNS1_11target_archE906ELNS1_3gpuE6ELNS1_3repE0EEENS1_30default_config_static_selectorELNS0_4arch9wavefront6targetE0EEEvSR_ ; -- Begin function _ZN7rocprim17ROCPRIM_400000_NS6detail17trampoline_kernelINS0_14default_configENS1_32segmented_reduce_config_selectorIN3c104HalfEEEZNS1_21segmented_reduce_implIS3_PKS6_PS6_PKlS6_N6hipcub16HIPCUB_304000_NS6detail27convert_result_type_wrapperISA_SB_N2at6native12_GLOBAL__N_19CustomMaxEEEEE10hipError_tPvRmT0_T1_jT2_SS_T4_T3_P12ihipStream_tbEUlT_E_NS1_11comp_targetILNS1_3genE2ELNS1_11target_archE906ELNS1_3gpuE6ELNS1_3repE0EEENS1_30default_config_static_selectorELNS0_4arch9wavefront6targetE0EEEvSR_
	.p2align	8
	.type	_ZN7rocprim17ROCPRIM_400000_NS6detail17trampoline_kernelINS0_14default_configENS1_32segmented_reduce_config_selectorIN3c104HalfEEEZNS1_21segmented_reduce_implIS3_PKS6_PS6_PKlS6_N6hipcub16HIPCUB_304000_NS6detail27convert_result_type_wrapperISA_SB_N2at6native12_GLOBAL__N_19CustomMaxEEEEE10hipError_tPvRmT0_T1_jT2_SS_T4_T3_P12ihipStream_tbEUlT_E_NS1_11comp_targetILNS1_3genE2ELNS1_11target_archE906ELNS1_3gpuE6ELNS1_3repE0EEENS1_30default_config_static_selectorELNS0_4arch9wavefront6targetE0EEEvSR_,@function
_ZN7rocprim17ROCPRIM_400000_NS6detail17trampoline_kernelINS0_14default_configENS1_32segmented_reduce_config_selectorIN3c104HalfEEEZNS1_21segmented_reduce_implIS3_PKS6_PS6_PKlS6_N6hipcub16HIPCUB_304000_NS6detail27convert_result_type_wrapperISA_SB_N2at6native12_GLOBAL__N_19CustomMaxEEEEE10hipError_tPvRmT0_T1_jT2_SS_T4_T3_P12ihipStream_tbEUlT_E_NS1_11comp_targetILNS1_3genE2ELNS1_11target_archE906ELNS1_3gpuE6ELNS1_3repE0EEENS1_30default_config_static_selectorELNS0_4arch9wavefront6targetE0EEEvSR_: ; @_ZN7rocprim17ROCPRIM_400000_NS6detail17trampoline_kernelINS0_14default_configENS1_32segmented_reduce_config_selectorIN3c104HalfEEEZNS1_21segmented_reduce_implIS3_PKS6_PS6_PKlS6_N6hipcub16HIPCUB_304000_NS6detail27convert_result_type_wrapperISA_SB_N2at6native12_GLOBAL__N_19CustomMaxEEEEE10hipError_tPvRmT0_T1_jT2_SS_T4_T3_P12ihipStream_tbEUlT_E_NS1_11comp_targetILNS1_3genE2ELNS1_11target_archE906ELNS1_3gpuE6ELNS1_3repE0EEENS1_30default_config_static_selectorELNS0_4arch9wavefront6targetE0EEEvSR_
; %bb.0:
	.section	.rodata,"a",@progbits
	.p2align	6, 0x0
	.amdhsa_kernel _ZN7rocprim17ROCPRIM_400000_NS6detail17trampoline_kernelINS0_14default_configENS1_32segmented_reduce_config_selectorIN3c104HalfEEEZNS1_21segmented_reduce_implIS3_PKS6_PS6_PKlS6_N6hipcub16HIPCUB_304000_NS6detail27convert_result_type_wrapperISA_SB_N2at6native12_GLOBAL__N_19CustomMaxEEEEE10hipError_tPvRmT0_T1_jT2_SS_T4_T3_P12ihipStream_tbEUlT_E_NS1_11comp_targetILNS1_3genE2ELNS1_11target_archE906ELNS1_3gpuE6ELNS1_3repE0EEENS1_30default_config_static_selectorELNS0_4arch9wavefront6targetE0EEEvSR_
		.amdhsa_group_segment_fixed_size 0
		.amdhsa_private_segment_fixed_size 0
		.amdhsa_kernarg_size 48
		.amdhsa_user_sgpr_count 2
		.amdhsa_user_sgpr_dispatch_ptr 0
		.amdhsa_user_sgpr_queue_ptr 0
		.amdhsa_user_sgpr_kernarg_segment_ptr 1
		.amdhsa_user_sgpr_dispatch_id 0
		.amdhsa_user_sgpr_kernarg_preload_length 0
		.amdhsa_user_sgpr_kernarg_preload_offset 0
		.amdhsa_user_sgpr_private_segment_size 0
		.amdhsa_wavefront_size32 1
		.amdhsa_uses_dynamic_stack 0
		.amdhsa_enable_private_segment 0
		.amdhsa_system_sgpr_workgroup_id_x 1
		.amdhsa_system_sgpr_workgroup_id_y 0
		.amdhsa_system_sgpr_workgroup_id_z 0
		.amdhsa_system_sgpr_workgroup_info 0
		.amdhsa_system_vgpr_workitem_id 0
		.amdhsa_next_free_vgpr 1
		.amdhsa_next_free_sgpr 1
		.amdhsa_named_barrier_count 0
		.amdhsa_reserve_vcc 0
		.amdhsa_float_round_mode_32 0
		.amdhsa_float_round_mode_16_64 0
		.amdhsa_float_denorm_mode_32 3
		.amdhsa_float_denorm_mode_16_64 3
		.amdhsa_fp16_overflow 0
		.amdhsa_memory_ordered 1
		.amdhsa_forward_progress 1
		.amdhsa_inst_pref_size 0
		.amdhsa_round_robin_scheduling 0
		.amdhsa_exception_fp_ieee_invalid_op 0
		.amdhsa_exception_fp_denorm_src 0
		.amdhsa_exception_fp_ieee_div_zero 0
		.amdhsa_exception_fp_ieee_overflow 0
		.amdhsa_exception_fp_ieee_underflow 0
		.amdhsa_exception_fp_ieee_inexact 0
		.amdhsa_exception_int_div_zero 0
	.end_amdhsa_kernel
	.section	.text._ZN7rocprim17ROCPRIM_400000_NS6detail17trampoline_kernelINS0_14default_configENS1_32segmented_reduce_config_selectorIN3c104HalfEEEZNS1_21segmented_reduce_implIS3_PKS6_PS6_PKlS6_N6hipcub16HIPCUB_304000_NS6detail27convert_result_type_wrapperISA_SB_N2at6native12_GLOBAL__N_19CustomMaxEEEEE10hipError_tPvRmT0_T1_jT2_SS_T4_T3_P12ihipStream_tbEUlT_E_NS1_11comp_targetILNS1_3genE2ELNS1_11target_archE906ELNS1_3gpuE6ELNS1_3repE0EEENS1_30default_config_static_selectorELNS0_4arch9wavefront6targetE0EEEvSR_,"axG",@progbits,_ZN7rocprim17ROCPRIM_400000_NS6detail17trampoline_kernelINS0_14default_configENS1_32segmented_reduce_config_selectorIN3c104HalfEEEZNS1_21segmented_reduce_implIS3_PKS6_PS6_PKlS6_N6hipcub16HIPCUB_304000_NS6detail27convert_result_type_wrapperISA_SB_N2at6native12_GLOBAL__N_19CustomMaxEEEEE10hipError_tPvRmT0_T1_jT2_SS_T4_T3_P12ihipStream_tbEUlT_E_NS1_11comp_targetILNS1_3genE2ELNS1_11target_archE906ELNS1_3gpuE6ELNS1_3repE0EEENS1_30default_config_static_selectorELNS0_4arch9wavefront6targetE0EEEvSR_,comdat
.Lfunc_end218:
	.size	_ZN7rocprim17ROCPRIM_400000_NS6detail17trampoline_kernelINS0_14default_configENS1_32segmented_reduce_config_selectorIN3c104HalfEEEZNS1_21segmented_reduce_implIS3_PKS6_PS6_PKlS6_N6hipcub16HIPCUB_304000_NS6detail27convert_result_type_wrapperISA_SB_N2at6native12_GLOBAL__N_19CustomMaxEEEEE10hipError_tPvRmT0_T1_jT2_SS_T4_T3_P12ihipStream_tbEUlT_E_NS1_11comp_targetILNS1_3genE2ELNS1_11target_archE906ELNS1_3gpuE6ELNS1_3repE0EEENS1_30default_config_static_selectorELNS0_4arch9wavefront6targetE0EEEvSR_, .Lfunc_end218-_ZN7rocprim17ROCPRIM_400000_NS6detail17trampoline_kernelINS0_14default_configENS1_32segmented_reduce_config_selectorIN3c104HalfEEEZNS1_21segmented_reduce_implIS3_PKS6_PS6_PKlS6_N6hipcub16HIPCUB_304000_NS6detail27convert_result_type_wrapperISA_SB_N2at6native12_GLOBAL__N_19CustomMaxEEEEE10hipError_tPvRmT0_T1_jT2_SS_T4_T3_P12ihipStream_tbEUlT_E_NS1_11comp_targetILNS1_3genE2ELNS1_11target_archE906ELNS1_3gpuE6ELNS1_3repE0EEENS1_30default_config_static_selectorELNS0_4arch9wavefront6targetE0EEEvSR_
                                        ; -- End function
	.set _ZN7rocprim17ROCPRIM_400000_NS6detail17trampoline_kernelINS0_14default_configENS1_32segmented_reduce_config_selectorIN3c104HalfEEEZNS1_21segmented_reduce_implIS3_PKS6_PS6_PKlS6_N6hipcub16HIPCUB_304000_NS6detail27convert_result_type_wrapperISA_SB_N2at6native12_GLOBAL__N_19CustomMaxEEEEE10hipError_tPvRmT0_T1_jT2_SS_T4_T3_P12ihipStream_tbEUlT_E_NS1_11comp_targetILNS1_3genE2ELNS1_11target_archE906ELNS1_3gpuE6ELNS1_3repE0EEENS1_30default_config_static_selectorELNS0_4arch9wavefront6targetE0EEEvSR_.num_vgpr, 0
	.set _ZN7rocprim17ROCPRIM_400000_NS6detail17trampoline_kernelINS0_14default_configENS1_32segmented_reduce_config_selectorIN3c104HalfEEEZNS1_21segmented_reduce_implIS3_PKS6_PS6_PKlS6_N6hipcub16HIPCUB_304000_NS6detail27convert_result_type_wrapperISA_SB_N2at6native12_GLOBAL__N_19CustomMaxEEEEE10hipError_tPvRmT0_T1_jT2_SS_T4_T3_P12ihipStream_tbEUlT_E_NS1_11comp_targetILNS1_3genE2ELNS1_11target_archE906ELNS1_3gpuE6ELNS1_3repE0EEENS1_30default_config_static_selectorELNS0_4arch9wavefront6targetE0EEEvSR_.num_agpr, 0
	.set _ZN7rocprim17ROCPRIM_400000_NS6detail17trampoline_kernelINS0_14default_configENS1_32segmented_reduce_config_selectorIN3c104HalfEEEZNS1_21segmented_reduce_implIS3_PKS6_PS6_PKlS6_N6hipcub16HIPCUB_304000_NS6detail27convert_result_type_wrapperISA_SB_N2at6native12_GLOBAL__N_19CustomMaxEEEEE10hipError_tPvRmT0_T1_jT2_SS_T4_T3_P12ihipStream_tbEUlT_E_NS1_11comp_targetILNS1_3genE2ELNS1_11target_archE906ELNS1_3gpuE6ELNS1_3repE0EEENS1_30default_config_static_selectorELNS0_4arch9wavefront6targetE0EEEvSR_.numbered_sgpr, 0
	.set _ZN7rocprim17ROCPRIM_400000_NS6detail17trampoline_kernelINS0_14default_configENS1_32segmented_reduce_config_selectorIN3c104HalfEEEZNS1_21segmented_reduce_implIS3_PKS6_PS6_PKlS6_N6hipcub16HIPCUB_304000_NS6detail27convert_result_type_wrapperISA_SB_N2at6native12_GLOBAL__N_19CustomMaxEEEEE10hipError_tPvRmT0_T1_jT2_SS_T4_T3_P12ihipStream_tbEUlT_E_NS1_11comp_targetILNS1_3genE2ELNS1_11target_archE906ELNS1_3gpuE6ELNS1_3repE0EEENS1_30default_config_static_selectorELNS0_4arch9wavefront6targetE0EEEvSR_.num_named_barrier, 0
	.set _ZN7rocprim17ROCPRIM_400000_NS6detail17trampoline_kernelINS0_14default_configENS1_32segmented_reduce_config_selectorIN3c104HalfEEEZNS1_21segmented_reduce_implIS3_PKS6_PS6_PKlS6_N6hipcub16HIPCUB_304000_NS6detail27convert_result_type_wrapperISA_SB_N2at6native12_GLOBAL__N_19CustomMaxEEEEE10hipError_tPvRmT0_T1_jT2_SS_T4_T3_P12ihipStream_tbEUlT_E_NS1_11comp_targetILNS1_3genE2ELNS1_11target_archE906ELNS1_3gpuE6ELNS1_3repE0EEENS1_30default_config_static_selectorELNS0_4arch9wavefront6targetE0EEEvSR_.private_seg_size, 0
	.set _ZN7rocprim17ROCPRIM_400000_NS6detail17trampoline_kernelINS0_14default_configENS1_32segmented_reduce_config_selectorIN3c104HalfEEEZNS1_21segmented_reduce_implIS3_PKS6_PS6_PKlS6_N6hipcub16HIPCUB_304000_NS6detail27convert_result_type_wrapperISA_SB_N2at6native12_GLOBAL__N_19CustomMaxEEEEE10hipError_tPvRmT0_T1_jT2_SS_T4_T3_P12ihipStream_tbEUlT_E_NS1_11comp_targetILNS1_3genE2ELNS1_11target_archE906ELNS1_3gpuE6ELNS1_3repE0EEENS1_30default_config_static_selectorELNS0_4arch9wavefront6targetE0EEEvSR_.uses_vcc, 0
	.set _ZN7rocprim17ROCPRIM_400000_NS6detail17trampoline_kernelINS0_14default_configENS1_32segmented_reduce_config_selectorIN3c104HalfEEEZNS1_21segmented_reduce_implIS3_PKS6_PS6_PKlS6_N6hipcub16HIPCUB_304000_NS6detail27convert_result_type_wrapperISA_SB_N2at6native12_GLOBAL__N_19CustomMaxEEEEE10hipError_tPvRmT0_T1_jT2_SS_T4_T3_P12ihipStream_tbEUlT_E_NS1_11comp_targetILNS1_3genE2ELNS1_11target_archE906ELNS1_3gpuE6ELNS1_3repE0EEENS1_30default_config_static_selectorELNS0_4arch9wavefront6targetE0EEEvSR_.uses_flat_scratch, 0
	.set _ZN7rocprim17ROCPRIM_400000_NS6detail17trampoline_kernelINS0_14default_configENS1_32segmented_reduce_config_selectorIN3c104HalfEEEZNS1_21segmented_reduce_implIS3_PKS6_PS6_PKlS6_N6hipcub16HIPCUB_304000_NS6detail27convert_result_type_wrapperISA_SB_N2at6native12_GLOBAL__N_19CustomMaxEEEEE10hipError_tPvRmT0_T1_jT2_SS_T4_T3_P12ihipStream_tbEUlT_E_NS1_11comp_targetILNS1_3genE2ELNS1_11target_archE906ELNS1_3gpuE6ELNS1_3repE0EEENS1_30default_config_static_selectorELNS0_4arch9wavefront6targetE0EEEvSR_.has_dyn_sized_stack, 0
	.set _ZN7rocprim17ROCPRIM_400000_NS6detail17trampoline_kernelINS0_14default_configENS1_32segmented_reduce_config_selectorIN3c104HalfEEEZNS1_21segmented_reduce_implIS3_PKS6_PS6_PKlS6_N6hipcub16HIPCUB_304000_NS6detail27convert_result_type_wrapperISA_SB_N2at6native12_GLOBAL__N_19CustomMaxEEEEE10hipError_tPvRmT0_T1_jT2_SS_T4_T3_P12ihipStream_tbEUlT_E_NS1_11comp_targetILNS1_3genE2ELNS1_11target_archE906ELNS1_3gpuE6ELNS1_3repE0EEENS1_30default_config_static_selectorELNS0_4arch9wavefront6targetE0EEEvSR_.has_recursion, 0
	.set _ZN7rocprim17ROCPRIM_400000_NS6detail17trampoline_kernelINS0_14default_configENS1_32segmented_reduce_config_selectorIN3c104HalfEEEZNS1_21segmented_reduce_implIS3_PKS6_PS6_PKlS6_N6hipcub16HIPCUB_304000_NS6detail27convert_result_type_wrapperISA_SB_N2at6native12_GLOBAL__N_19CustomMaxEEEEE10hipError_tPvRmT0_T1_jT2_SS_T4_T3_P12ihipStream_tbEUlT_E_NS1_11comp_targetILNS1_3genE2ELNS1_11target_archE906ELNS1_3gpuE6ELNS1_3repE0EEENS1_30default_config_static_selectorELNS0_4arch9wavefront6targetE0EEEvSR_.has_indirect_call, 0
	.section	.AMDGPU.csdata,"",@progbits
; Kernel info:
; codeLenInByte = 0
; TotalNumSgprs: 0
; NumVgprs: 0
; ScratchSize: 0
; MemoryBound: 0
; FloatMode: 240
; IeeeMode: 1
; LDSByteSize: 0 bytes/workgroup (compile time only)
; SGPRBlocks: 0
; VGPRBlocks: 0
; NumSGPRsForWavesPerEU: 1
; NumVGPRsForWavesPerEU: 1
; NamedBarCnt: 0
; Occupancy: 16
; WaveLimiterHint : 0
; COMPUTE_PGM_RSRC2:SCRATCH_EN: 0
; COMPUTE_PGM_RSRC2:USER_SGPR: 2
; COMPUTE_PGM_RSRC2:TRAP_HANDLER: 0
; COMPUTE_PGM_RSRC2:TGID_X_EN: 1
; COMPUTE_PGM_RSRC2:TGID_Y_EN: 0
; COMPUTE_PGM_RSRC2:TGID_Z_EN: 0
; COMPUTE_PGM_RSRC2:TIDIG_COMP_CNT: 0
	.section	.text._ZN7rocprim17ROCPRIM_400000_NS6detail17trampoline_kernelINS0_14default_configENS1_32segmented_reduce_config_selectorIN3c104HalfEEEZNS1_21segmented_reduce_implIS3_PKS6_PS6_PKlS6_N6hipcub16HIPCUB_304000_NS6detail27convert_result_type_wrapperISA_SB_N2at6native12_GLOBAL__N_19CustomMaxEEEEE10hipError_tPvRmT0_T1_jT2_SS_T4_T3_P12ihipStream_tbEUlT_E_NS1_11comp_targetILNS1_3genE9ELNS1_11target_archE1100ELNS1_3gpuE3ELNS1_3repE0EEENS1_30default_config_static_selectorELNS0_4arch9wavefront6targetE0EEEvSR_,"axG",@progbits,_ZN7rocprim17ROCPRIM_400000_NS6detail17trampoline_kernelINS0_14default_configENS1_32segmented_reduce_config_selectorIN3c104HalfEEEZNS1_21segmented_reduce_implIS3_PKS6_PS6_PKlS6_N6hipcub16HIPCUB_304000_NS6detail27convert_result_type_wrapperISA_SB_N2at6native12_GLOBAL__N_19CustomMaxEEEEE10hipError_tPvRmT0_T1_jT2_SS_T4_T3_P12ihipStream_tbEUlT_E_NS1_11comp_targetILNS1_3genE9ELNS1_11target_archE1100ELNS1_3gpuE3ELNS1_3repE0EEENS1_30default_config_static_selectorELNS0_4arch9wavefront6targetE0EEEvSR_,comdat
	.globl	_ZN7rocprim17ROCPRIM_400000_NS6detail17trampoline_kernelINS0_14default_configENS1_32segmented_reduce_config_selectorIN3c104HalfEEEZNS1_21segmented_reduce_implIS3_PKS6_PS6_PKlS6_N6hipcub16HIPCUB_304000_NS6detail27convert_result_type_wrapperISA_SB_N2at6native12_GLOBAL__N_19CustomMaxEEEEE10hipError_tPvRmT0_T1_jT2_SS_T4_T3_P12ihipStream_tbEUlT_E_NS1_11comp_targetILNS1_3genE9ELNS1_11target_archE1100ELNS1_3gpuE3ELNS1_3repE0EEENS1_30default_config_static_selectorELNS0_4arch9wavefront6targetE0EEEvSR_ ; -- Begin function _ZN7rocprim17ROCPRIM_400000_NS6detail17trampoline_kernelINS0_14default_configENS1_32segmented_reduce_config_selectorIN3c104HalfEEEZNS1_21segmented_reduce_implIS3_PKS6_PS6_PKlS6_N6hipcub16HIPCUB_304000_NS6detail27convert_result_type_wrapperISA_SB_N2at6native12_GLOBAL__N_19CustomMaxEEEEE10hipError_tPvRmT0_T1_jT2_SS_T4_T3_P12ihipStream_tbEUlT_E_NS1_11comp_targetILNS1_3genE9ELNS1_11target_archE1100ELNS1_3gpuE3ELNS1_3repE0EEENS1_30default_config_static_selectorELNS0_4arch9wavefront6targetE0EEEvSR_
	.p2align	8
	.type	_ZN7rocprim17ROCPRIM_400000_NS6detail17trampoline_kernelINS0_14default_configENS1_32segmented_reduce_config_selectorIN3c104HalfEEEZNS1_21segmented_reduce_implIS3_PKS6_PS6_PKlS6_N6hipcub16HIPCUB_304000_NS6detail27convert_result_type_wrapperISA_SB_N2at6native12_GLOBAL__N_19CustomMaxEEEEE10hipError_tPvRmT0_T1_jT2_SS_T4_T3_P12ihipStream_tbEUlT_E_NS1_11comp_targetILNS1_3genE9ELNS1_11target_archE1100ELNS1_3gpuE3ELNS1_3repE0EEENS1_30default_config_static_selectorELNS0_4arch9wavefront6targetE0EEEvSR_,@function
_ZN7rocprim17ROCPRIM_400000_NS6detail17trampoline_kernelINS0_14default_configENS1_32segmented_reduce_config_selectorIN3c104HalfEEEZNS1_21segmented_reduce_implIS3_PKS6_PS6_PKlS6_N6hipcub16HIPCUB_304000_NS6detail27convert_result_type_wrapperISA_SB_N2at6native12_GLOBAL__N_19CustomMaxEEEEE10hipError_tPvRmT0_T1_jT2_SS_T4_T3_P12ihipStream_tbEUlT_E_NS1_11comp_targetILNS1_3genE9ELNS1_11target_archE1100ELNS1_3gpuE3ELNS1_3repE0EEENS1_30default_config_static_selectorELNS0_4arch9wavefront6targetE0EEEvSR_: ; @_ZN7rocprim17ROCPRIM_400000_NS6detail17trampoline_kernelINS0_14default_configENS1_32segmented_reduce_config_selectorIN3c104HalfEEEZNS1_21segmented_reduce_implIS3_PKS6_PS6_PKlS6_N6hipcub16HIPCUB_304000_NS6detail27convert_result_type_wrapperISA_SB_N2at6native12_GLOBAL__N_19CustomMaxEEEEE10hipError_tPvRmT0_T1_jT2_SS_T4_T3_P12ihipStream_tbEUlT_E_NS1_11comp_targetILNS1_3genE9ELNS1_11target_archE1100ELNS1_3gpuE3ELNS1_3repE0EEENS1_30default_config_static_selectorELNS0_4arch9wavefront6targetE0EEEvSR_
; %bb.0:
	.section	.rodata,"a",@progbits
	.p2align	6, 0x0
	.amdhsa_kernel _ZN7rocprim17ROCPRIM_400000_NS6detail17trampoline_kernelINS0_14default_configENS1_32segmented_reduce_config_selectorIN3c104HalfEEEZNS1_21segmented_reduce_implIS3_PKS6_PS6_PKlS6_N6hipcub16HIPCUB_304000_NS6detail27convert_result_type_wrapperISA_SB_N2at6native12_GLOBAL__N_19CustomMaxEEEEE10hipError_tPvRmT0_T1_jT2_SS_T4_T3_P12ihipStream_tbEUlT_E_NS1_11comp_targetILNS1_3genE9ELNS1_11target_archE1100ELNS1_3gpuE3ELNS1_3repE0EEENS1_30default_config_static_selectorELNS0_4arch9wavefront6targetE0EEEvSR_
		.amdhsa_group_segment_fixed_size 0
		.amdhsa_private_segment_fixed_size 0
		.amdhsa_kernarg_size 48
		.amdhsa_user_sgpr_count 2
		.amdhsa_user_sgpr_dispatch_ptr 0
		.amdhsa_user_sgpr_queue_ptr 0
		.amdhsa_user_sgpr_kernarg_segment_ptr 1
		.amdhsa_user_sgpr_dispatch_id 0
		.amdhsa_user_sgpr_kernarg_preload_length 0
		.amdhsa_user_sgpr_kernarg_preload_offset 0
		.amdhsa_user_sgpr_private_segment_size 0
		.amdhsa_wavefront_size32 1
		.amdhsa_uses_dynamic_stack 0
		.amdhsa_enable_private_segment 0
		.amdhsa_system_sgpr_workgroup_id_x 1
		.amdhsa_system_sgpr_workgroup_id_y 0
		.amdhsa_system_sgpr_workgroup_id_z 0
		.amdhsa_system_sgpr_workgroup_info 0
		.amdhsa_system_vgpr_workitem_id 0
		.amdhsa_next_free_vgpr 1
		.amdhsa_next_free_sgpr 1
		.amdhsa_named_barrier_count 0
		.amdhsa_reserve_vcc 0
		.amdhsa_float_round_mode_32 0
		.amdhsa_float_round_mode_16_64 0
		.amdhsa_float_denorm_mode_32 3
		.amdhsa_float_denorm_mode_16_64 3
		.amdhsa_fp16_overflow 0
		.amdhsa_memory_ordered 1
		.amdhsa_forward_progress 1
		.amdhsa_inst_pref_size 0
		.amdhsa_round_robin_scheduling 0
		.amdhsa_exception_fp_ieee_invalid_op 0
		.amdhsa_exception_fp_denorm_src 0
		.amdhsa_exception_fp_ieee_div_zero 0
		.amdhsa_exception_fp_ieee_overflow 0
		.amdhsa_exception_fp_ieee_underflow 0
		.amdhsa_exception_fp_ieee_inexact 0
		.amdhsa_exception_int_div_zero 0
	.end_amdhsa_kernel
	.section	.text._ZN7rocprim17ROCPRIM_400000_NS6detail17trampoline_kernelINS0_14default_configENS1_32segmented_reduce_config_selectorIN3c104HalfEEEZNS1_21segmented_reduce_implIS3_PKS6_PS6_PKlS6_N6hipcub16HIPCUB_304000_NS6detail27convert_result_type_wrapperISA_SB_N2at6native12_GLOBAL__N_19CustomMaxEEEEE10hipError_tPvRmT0_T1_jT2_SS_T4_T3_P12ihipStream_tbEUlT_E_NS1_11comp_targetILNS1_3genE9ELNS1_11target_archE1100ELNS1_3gpuE3ELNS1_3repE0EEENS1_30default_config_static_selectorELNS0_4arch9wavefront6targetE0EEEvSR_,"axG",@progbits,_ZN7rocprim17ROCPRIM_400000_NS6detail17trampoline_kernelINS0_14default_configENS1_32segmented_reduce_config_selectorIN3c104HalfEEEZNS1_21segmented_reduce_implIS3_PKS6_PS6_PKlS6_N6hipcub16HIPCUB_304000_NS6detail27convert_result_type_wrapperISA_SB_N2at6native12_GLOBAL__N_19CustomMaxEEEEE10hipError_tPvRmT0_T1_jT2_SS_T4_T3_P12ihipStream_tbEUlT_E_NS1_11comp_targetILNS1_3genE9ELNS1_11target_archE1100ELNS1_3gpuE3ELNS1_3repE0EEENS1_30default_config_static_selectorELNS0_4arch9wavefront6targetE0EEEvSR_,comdat
.Lfunc_end219:
	.size	_ZN7rocprim17ROCPRIM_400000_NS6detail17trampoline_kernelINS0_14default_configENS1_32segmented_reduce_config_selectorIN3c104HalfEEEZNS1_21segmented_reduce_implIS3_PKS6_PS6_PKlS6_N6hipcub16HIPCUB_304000_NS6detail27convert_result_type_wrapperISA_SB_N2at6native12_GLOBAL__N_19CustomMaxEEEEE10hipError_tPvRmT0_T1_jT2_SS_T4_T3_P12ihipStream_tbEUlT_E_NS1_11comp_targetILNS1_3genE9ELNS1_11target_archE1100ELNS1_3gpuE3ELNS1_3repE0EEENS1_30default_config_static_selectorELNS0_4arch9wavefront6targetE0EEEvSR_, .Lfunc_end219-_ZN7rocprim17ROCPRIM_400000_NS6detail17trampoline_kernelINS0_14default_configENS1_32segmented_reduce_config_selectorIN3c104HalfEEEZNS1_21segmented_reduce_implIS3_PKS6_PS6_PKlS6_N6hipcub16HIPCUB_304000_NS6detail27convert_result_type_wrapperISA_SB_N2at6native12_GLOBAL__N_19CustomMaxEEEEE10hipError_tPvRmT0_T1_jT2_SS_T4_T3_P12ihipStream_tbEUlT_E_NS1_11comp_targetILNS1_3genE9ELNS1_11target_archE1100ELNS1_3gpuE3ELNS1_3repE0EEENS1_30default_config_static_selectorELNS0_4arch9wavefront6targetE0EEEvSR_
                                        ; -- End function
	.set _ZN7rocprim17ROCPRIM_400000_NS6detail17trampoline_kernelINS0_14default_configENS1_32segmented_reduce_config_selectorIN3c104HalfEEEZNS1_21segmented_reduce_implIS3_PKS6_PS6_PKlS6_N6hipcub16HIPCUB_304000_NS6detail27convert_result_type_wrapperISA_SB_N2at6native12_GLOBAL__N_19CustomMaxEEEEE10hipError_tPvRmT0_T1_jT2_SS_T4_T3_P12ihipStream_tbEUlT_E_NS1_11comp_targetILNS1_3genE9ELNS1_11target_archE1100ELNS1_3gpuE3ELNS1_3repE0EEENS1_30default_config_static_selectorELNS0_4arch9wavefront6targetE0EEEvSR_.num_vgpr, 0
	.set _ZN7rocprim17ROCPRIM_400000_NS6detail17trampoline_kernelINS0_14default_configENS1_32segmented_reduce_config_selectorIN3c104HalfEEEZNS1_21segmented_reduce_implIS3_PKS6_PS6_PKlS6_N6hipcub16HIPCUB_304000_NS6detail27convert_result_type_wrapperISA_SB_N2at6native12_GLOBAL__N_19CustomMaxEEEEE10hipError_tPvRmT0_T1_jT2_SS_T4_T3_P12ihipStream_tbEUlT_E_NS1_11comp_targetILNS1_3genE9ELNS1_11target_archE1100ELNS1_3gpuE3ELNS1_3repE0EEENS1_30default_config_static_selectorELNS0_4arch9wavefront6targetE0EEEvSR_.num_agpr, 0
	.set _ZN7rocprim17ROCPRIM_400000_NS6detail17trampoline_kernelINS0_14default_configENS1_32segmented_reduce_config_selectorIN3c104HalfEEEZNS1_21segmented_reduce_implIS3_PKS6_PS6_PKlS6_N6hipcub16HIPCUB_304000_NS6detail27convert_result_type_wrapperISA_SB_N2at6native12_GLOBAL__N_19CustomMaxEEEEE10hipError_tPvRmT0_T1_jT2_SS_T4_T3_P12ihipStream_tbEUlT_E_NS1_11comp_targetILNS1_3genE9ELNS1_11target_archE1100ELNS1_3gpuE3ELNS1_3repE0EEENS1_30default_config_static_selectorELNS0_4arch9wavefront6targetE0EEEvSR_.numbered_sgpr, 0
	.set _ZN7rocprim17ROCPRIM_400000_NS6detail17trampoline_kernelINS0_14default_configENS1_32segmented_reduce_config_selectorIN3c104HalfEEEZNS1_21segmented_reduce_implIS3_PKS6_PS6_PKlS6_N6hipcub16HIPCUB_304000_NS6detail27convert_result_type_wrapperISA_SB_N2at6native12_GLOBAL__N_19CustomMaxEEEEE10hipError_tPvRmT0_T1_jT2_SS_T4_T3_P12ihipStream_tbEUlT_E_NS1_11comp_targetILNS1_3genE9ELNS1_11target_archE1100ELNS1_3gpuE3ELNS1_3repE0EEENS1_30default_config_static_selectorELNS0_4arch9wavefront6targetE0EEEvSR_.num_named_barrier, 0
	.set _ZN7rocprim17ROCPRIM_400000_NS6detail17trampoline_kernelINS0_14default_configENS1_32segmented_reduce_config_selectorIN3c104HalfEEEZNS1_21segmented_reduce_implIS3_PKS6_PS6_PKlS6_N6hipcub16HIPCUB_304000_NS6detail27convert_result_type_wrapperISA_SB_N2at6native12_GLOBAL__N_19CustomMaxEEEEE10hipError_tPvRmT0_T1_jT2_SS_T4_T3_P12ihipStream_tbEUlT_E_NS1_11comp_targetILNS1_3genE9ELNS1_11target_archE1100ELNS1_3gpuE3ELNS1_3repE0EEENS1_30default_config_static_selectorELNS0_4arch9wavefront6targetE0EEEvSR_.private_seg_size, 0
	.set _ZN7rocprim17ROCPRIM_400000_NS6detail17trampoline_kernelINS0_14default_configENS1_32segmented_reduce_config_selectorIN3c104HalfEEEZNS1_21segmented_reduce_implIS3_PKS6_PS6_PKlS6_N6hipcub16HIPCUB_304000_NS6detail27convert_result_type_wrapperISA_SB_N2at6native12_GLOBAL__N_19CustomMaxEEEEE10hipError_tPvRmT0_T1_jT2_SS_T4_T3_P12ihipStream_tbEUlT_E_NS1_11comp_targetILNS1_3genE9ELNS1_11target_archE1100ELNS1_3gpuE3ELNS1_3repE0EEENS1_30default_config_static_selectorELNS0_4arch9wavefront6targetE0EEEvSR_.uses_vcc, 0
	.set _ZN7rocprim17ROCPRIM_400000_NS6detail17trampoline_kernelINS0_14default_configENS1_32segmented_reduce_config_selectorIN3c104HalfEEEZNS1_21segmented_reduce_implIS3_PKS6_PS6_PKlS6_N6hipcub16HIPCUB_304000_NS6detail27convert_result_type_wrapperISA_SB_N2at6native12_GLOBAL__N_19CustomMaxEEEEE10hipError_tPvRmT0_T1_jT2_SS_T4_T3_P12ihipStream_tbEUlT_E_NS1_11comp_targetILNS1_3genE9ELNS1_11target_archE1100ELNS1_3gpuE3ELNS1_3repE0EEENS1_30default_config_static_selectorELNS0_4arch9wavefront6targetE0EEEvSR_.uses_flat_scratch, 0
	.set _ZN7rocprim17ROCPRIM_400000_NS6detail17trampoline_kernelINS0_14default_configENS1_32segmented_reduce_config_selectorIN3c104HalfEEEZNS1_21segmented_reduce_implIS3_PKS6_PS6_PKlS6_N6hipcub16HIPCUB_304000_NS6detail27convert_result_type_wrapperISA_SB_N2at6native12_GLOBAL__N_19CustomMaxEEEEE10hipError_tPvRmT0_T1_jT2_SS_T4_T3_P12ihipStream_tbEUlT_E_NS1_11comp_targetILNS1_3genE9ELNS1_11target_archE1100ELNS1_3gpuE3ELNS1_3repE0EEENS1_30default_config_static_selectorELNS0_4arch9wavefront6targetE0EEEvSR_.has_dyn_sized_stack, 0
	.set _ZN7rocprim17ROCPRIM_400000_NS6detail17trampoline_kernelINS0_14default_configENS1_32segmented_reduce_config_selectorIN3c104HalfEEEZNS1_21segmented_reduce_implIS3_PKS6_PS6_PKlS6_N6hipcub16HIPCUB_304000_NS6detail27convert_result_type_wrapperISA_SB_N2at6native12_GLOBAL__N_19CustomMaxEEEEE10hipError_tPvRmT0_T1_jT2_SS_T4_T3_P12ihipStream_tbEUlT_E_NS1_11comp_targetILNS1_3genE9ELNS1_11target_archE1100ELNS1_3gpuE3ELNS1_3repE0EEENS1_30default_config_static_selectorELNS0_4arch9wavefront6targetE0EEEvSR_.has_recursion, 0
	.set _ZN7rocprim17ROCPRIM_400000_NS6detail17trampoline_kernelINS0_14default_configENS1_32segmented_reduce_config_selectorIN3c104HalfEEEZNS1_21segmented_reduce_implIS3_PKS6_PS6_PKlS6_N6hipcub16HIPCUB_304000_NS6detail27convert_result_type_wrapperISA_SB_N2at6native12_GLOBAL__N_19CustomMaxEEEEE10hipError_tPvRmT0_T1_jT2_SS_T4_T3_P12ihipStream_tbEUlT_E_NS1_11comp_targetILNS1_3genE9ELNS1_11target_archE1100ELNS1_3gpuE3ELNS1_3repE0EEENS1_30default_config_static_selectorELNS0_4arch9wavefront6targetE0EEEvSR_.has_indirect_call, 0
	.section	.AMDGPU.csdata,"",@progbits
; Kernel info:
; codeLenInByte = 0
; TotalNumSgprs: 0
; NumVgprs: 0
; ScratchSize: 0
; MemoryBound: 0
; FloatMode: 240
; IeeeMode: 1
; LDSByteSize: 0 bytes/workgroup (compile time only)
; SGPRBlocks: 0
; VGPRBlocks: 0
; NumSGPRsForWavesPerEU: 1
; NumVGPRsForWavesPerEU: 1
; NamedBarCnt: 0
; Occupancy: 16
; WaveLimiterHint : 0
; COMPUTE_PGM_RSRC2:SCRATCH_EN: 0
; COMPUTE_PGM_RSRC2:USER_SGPR: 2
; COMPUTE_PGM_RSRC2:TRAP_HANDLER: 0
; COMPUTE_PGM_RSRC2:TGID_X_EN: 1
; COMPUTE_PGM_RSRC2:TGID_Y_EN: 0
; COMPUTE_PGM_RSRC2:TGID_Z_EN: 0
; COMPUTE_PGM_RSRC2:TIDIG_COMP_CNT: 0
	.section	.text._ZN7rocprim17ROCPRIM_400000_NS6detail17trampoline_kernelINS0_14default_configENS1_32segmented_reduce_config_selectorIN3c104HalfEEEZNS1_21segmented_reduce_implIS3_PKS6_PS6_PKlS6_N6hipcub16HIPCUB_304000_NS6detail27convert_result_type_wrapperISA_SB_N2at6native12_GLOBAL__N_19CustomMaxEEEEE10hipError_tPvRmT0_T1_jT2_SS_T4_T3_P12ihipStream_tbEUlT_E_NS1_11comp_targetILNS1_3genE8ELNS1_11target_archE1030ELNS1_3gpuE2ELNS1_3repE0EEENS1_30default_config_static_selectorELNS0_4arch9wavefront6targetE0EEEvSR_,"axG",@progbits,_ZN7rocprim17ROCPRIM_400000_NS6detail17trampoline_kernelINS0_14default_configENS1_32segmented_reduce_config_selectorIN3c104HalfEEEZNS1_21segmented_reduce_implIS3_PKS6_PS6_PKlS6_N6hipcub16HIPCUB_304000_NS6detail27convert_result_type_wrapperISA_SB_N2at6native12_GLOBAL__N_19CustomMaxEEEEE10hipError_tPvRmT0_T1_jT2_SS_T4_T3_P12ihipStream_tbEUlT_E_NS1_11comp_targetILNS1_3genE8ELNS1_11target_archE1030ELNS1_3gpuE2ELNS1_3repE0EEENS1_30default_config_static_selectorELNS0_4arch9wavefront6targetE0EEEvSR_,comdat
	.globl	_ZN7rocprim17ROCPRIM_400000_NS6detail17trampoline_kernelINS0_14default_configENS1_32segmented_reduce_config_selectorIN3c104HalfEEEZNS1_21segmented_reduce_implIS3_PKS6_PS6_PKlS6_N6hipcub16HIPCUB_304000_NS6detail27convert_result_type_wrapperISA_SB_N2at6native12_GLOBAL__N_19CustomMaxEEEEE10hipError_tPvRmT0_T1_jT2_SS_T4_T3_P12ihipStream_tbEUlT_E_NS1_11comp_targetILNS1_3genE8ELNS1_11target_archE1030ELNS1_3gpuE2ELNS1_3repE0EEENS1_30default_config_static_selectorELNS0_4arch9wavefront6targetE0EEEvSR_ ; -- Begin function _ZN7rocprim17ROCPRIM_400000_NS6detail17trampoline_kernelINS0_14default_configENS1_32segmented_reduce_config_selectorIN3c104HalfEEEZNS1_21segmented_reduce_implIS3_PKS6_PS6_PKlS6_N6hipcub16HIPCUB_304000_NS6detail27convert_result_type_wrapperISA_SB_N2at6native12_GLOBAL__N_19CustomMaxEEEEE10hipError_tPvRmT0_T1_jT2_SS_T4_T3_P12ihipStream_tbEUlT_E_NS1_11comp_targetILNS1_3genE8ELNS1_11target_archE1030ELNS1_3gpuE2ELNS1_3repE0EEENS1_30default_config_static_selectorELNS0_4arch9wavefront6targetE0EEEvSR_
	.p2align	8
	.type	_ZN7rocprim17ROCPRIM_400000_NS6detail17trampoline_kernelINS0_14default_configENS1_32segmented_reduce_config_selectorIN3c104HalfEEEZNS1_21segmented_reduce_implIS3_PKS6_PS6_PKlS6_N6hipcub16HIPCUB_304000_NS6detail27convert_result_type_wrapperISA_SB_N2at6native12_GLOBAL__N_19CustomMaxEEEEE10hipError_tPvRmT0_T1_jT2_SS_T4_T3_P12ihipStream_tbEUlT_E_NS1_11comp_targetILNS1_3genE8ELNS1_11target_archE1030ELNS1_3gpuE2ELNS1_3repE0EEENS1_30default_config_static_selectorELNS0_4arch9wavefront6targetE0EEEvSR_,@function
_ZN7rocprim17ROCPRIM_400000_NS6detail17trampoline_kernelINS0_14default_configENS1_32segmented_reduce_config_selectorIN3c104HalfEEEZNS1_21segmented_reduce_implIS3_PKS6_PS6_PKlS6_N6hipcub16HIPCUB_304000_NS6detail27convert_result_type_wrapperISA_SB_N2at6native12_GLOBAL__N_19CustomMaxEEEEE10hipError_tPvRmT0_T1_jT2_SS_T4_T3_P12ihipStream_tbEUlT_E_NS1_11comp_targetILNS1_3genE8ELNS1_11target_archE1030ELNS1_3gpuE2ELNS1_3repE0EEENS1_30default_config_static_selectorELNS0_4arch9wavefront6targetE0EEEvSR_: ; @_ZN7rocprim17ROCPRIM_400000_NS6detail17trampoline_kernelINS0_14default_configENS1_32segmented_reduce_config_selectorIN3c104HalfEEEZNS1_21segmented_reduce_implIS3_PKS6_PS6_PKlS6_N6hipcub16HIPCUB_304000_NS6detail27convert_result_type_wrapperISA_SB_N2at6native12_GLOBAL__N_19CustomMaxEEEEE10hipError_tPvRmT0_T1_jT2_SS_T4_T3_P12ihipStream_tbEUlT_E_NS1_11comp_targetILNS1_3genE8ELNS1_11target_archE1030ELNS1_3gpuE2ELNS1_3repE0EEENS1_30default_config_static_selectorELNS0_4arch9wavefront6targetE0EEEvSR_
; %bb.0:
	.section	.rodata,"a",@progbits
	.p2align	6, 0x0
	.amdhsa_kernel _ZN7rocprim17ROCPRIM_400000_NS6detail17trampoline_kernelINS0_14default_configENS1_32segmented_reduce_config_selectorIN3c104HalfEEEZNS1_21segmented_reduce_implIS3_PKS6_PS6_PKlS6_N6hipcub16HIPCUB_304000_NS6detail27convert_result_type_wrapperISA_SB_N2at6native12_GLOBAL__N_19CustomMaxEEEEE10hipError_tPvRmT0_T1_jT2_SS_T4_T3_P12ihipStream_tbEUlT_E_NS1_11comp_targetILNS1_3genE8ELNS1_11target_archE1030ELNS1_3gpuE2ELNS1_3repE0EEENS1_30default_config_static_selectorELNS0_4arch9wavefront6targetE0EEEvSR_
		.amdhsa_group_segment_fixed_size 0
		.amdhsa_private_segment_fixed_size 0
		.amdhsa_kernarg_size 48
		.amdhsa_user_sgpr_count 2
		.amdhsa_user_sgpr_dispatch_ptr 0
		.amdhsa_user_sgpr_queue_ptr 0
		.amdhsa_user_sgpr_kernarg_segment_ptr 1
		.amdhsa_user_sgpr_dispatch_id 0
		.amdhsa_user_sgpr_kernarg_preload_length 0
		.amdhsa_user_sgpr_kernarg_preload_offset 0
		.amdhsa_user_sgpr_private_segment_size 0
		.amdhsa_wavefront_size32 1
		.amdhsa_uses_dynamic_stack 0
		.amdhsa_enable_private_segment 0
		.amdhsa_system_sgpr_workgroup_id_x 1
		.amdhsa_system_sgpr_workgroup_id_y 0
		.amdhsa_system_sgpr_workgroup_id_z 0
		.amdhsa_system_sgpr_workgroup_info 0
		.amdhsa_system_vgpr_workitem_id 0
		.amdhsa_next_free_vgpr 1
		.amdhsa_next_free_sgpr 1
		.amdhsa_named_barrier_count 0
		.amdhsa_reserve_vcc 0
		.amdhsa_float_round_mode_32 0
		.amdhsa_float_round_mode_16_64 0
		.amdhsa_float_denorm_mode_32 3
		.amdhsa_float_denorm_mode_16_64 3
		.amdhsa_fp16_overflow 0
		.amdhsa_memory_ordered 1
		.amdhsa_forward_progress 1
		.amdhsa_inst_pref_size 0
		.amdhsa_round_robin_scheduling 0
		.amdhsa_exception_fp_ieee_invalid_op 0
		.amdhsa_exception_fp_denorm_src 0
		.amdhsa_exception_fp_ieee_div_zero 0
		.amdhsa_exception_fp_ieee_overflow 0
		.amdhsa_exception_fp_ieee_underflow 0
		.amdhsa_exception_fp_ieee_inexact 0
		.amdhsa_exception_int_div_zero 0
	.end_amdhsa_kernel
	.section	.text._ZN7rocprim17ROCPRIM_400000_NS6detail17trampoline_kernelINS0_14default_configENS1_32segmented_reduce_config_selectorIN3c104HalfEEEZNS1_21segmented_reduce_implIS3_PKS6_PS6_PKlS6_N6hipcub16HIPCUB_304000_NS6detail27convert_result_type_wrapperISA_SB_N2at6native12_GLOBAL__N_19CustomMaxEEEEE10hipError_tPvRmT0_T1_jT2_SS_T4_T3_P12ihipStream_tbEUlT_E_NS1_11comp_targetILNS1_3genE8ELNS1_11target_archE1030ELNS1_3gpuE2ELNS1_3repE0EEENS1_30default_config_static_selectorELNS0_4arch9wavefront6targetE0EEEvSR_,"axG",@progbits,_ZN7rocprim17ROCPRIM_400000_NS6detail17trampoline_kernelINS0_14default_configENS1_32segmented_reduce_config_selectorIN3c104HalfEEEZNS1_21segmented_reduce_implIS3_PKS6_PS6_PKlS6_N6hipcub16HIPCUB_304000_NS6detail27convert_result_type_wrapperISA_SB_N2at6native12_GLOBAL__N_19CustomMaxEEEEE10hipError_tPvRmT0_T1_jT2_SS_T4_T3_P12ihipStream_tbEUlT_E_NS1_11comp_targetILNS1_3genE8ELNS1_11target_archE1030ELNS1_3gpuE2ELNS1_3repE0EEENS1_30default_config_static_selectorELNS0_4arch9wavefront6targetE0EEEvSR_,comdat
.Lfunc_end220:
	.size	_ZN7rocprim17ROCPRIM_400000_NS6detail17trampoline_kernelINS0_14default_configENS1_32segmented_reduce_config_selectorIN3c104HalfEEEZNS1_21segmented_reduce_implIS3_PKS6_PS6_PKlS6_N6hipcub16HIPCUB_304000_NS6detail27convert_result_type_wrapperISA_SB_N2at6native12_GLOBAL__N_19CustomMaxEEEEE10hipError_tPvRmT0_T1_jT2_SS_T4_T3_P12ihipStream_tbEUlT_E_NS1_11comp_targetILNS1_3genE8ELNS1_11target_archE1030ELNS1_3gpuE2ELNS1_3repE0EEENS1_30default_config_static_selectorELNS0_4arch9wavefront6targetE0EEEvSR_, .Lfunc_end220-_ZN7rocprim17ROCPRIM_400000_NS6detail17trampoline_kernelINS0_14default_configENS1_32segmented_reduce_config_selectorIN3c104HalfEEEZNS1_21segmented_reduce_implIS3_PKS6_PS6_PKlS6_N6hipcub16HIPCUB_304000_NS6detail27convert_result_type_wrapperISA_SB_N2at6native12_GLOBAL__N_19CustomMaxEEEEE10hipError_tPvRmT0_T1_jT2_SS_T4_T3_P12ihipStream_tbEUlT_E_NS1_11comp_targetILNS1_3genE8ELNS1_11target_archE1030ELNS1_3gpuE2ELNS1_3repE0EEENS1_30default_config_static_selectorELNS0_4arch9wavefront6targetE0EEEvSR_
                                        ; -- End function
	.set _ZN7rocprim17ROCPRIM_400000_NS6detail17trampoline_kernelINS0_14default_configENS1_32segmented_reduce_config_selectorIN3c104HalfEEEZNS1_21segmented_reduce_implIS3_PKS6_PS6_PKlS6_N6hipcub16HIPCUB_304000_NS6detail27convert_result_type_wrapperISA_SB_N2at6native12_GLOBAL__N_19CustomMaxEEEEE10hipError_tPvRmT0_T1_jT2_SS_T4_T3_P12ihipStream_tbEUlT_E_NS1_11comp_targetILNS1_3genE8ELNS1_11target_archE1030ELNS1_3gpuE2ELNS1_3repE0EEENS1_30default_config_static_selectorELNS0_4arch9wavefront6targetE0EEEvSR_.num_vgpr, 0
	.set _ZN7rocprim17ROCPRIM_400000_NS6detail17trampoline_kernelINS0_14default_configENS1_32segmented_reduce_config_selectorIN3c104HalfEEEZNS1_21segmented_reduce_implIS3_PKS6_PS6_PKlS6_N6hipcub16HIPCUB_304000_NS6detail27convert_result_type_wrapperISA_SB_N2at6native12_GLOBAL__N_19CustomMaxEEEEE10hipError_tPvRmT0_T1_jT2_SS_T4_T3_P12ihipStream_tbEUlT_E_NS1_11comp_targetILNS1_3genE8ELNS1_11target_archE1030ELNS1_3gpuE2ELNS1_3repE0EEENS1_30default_config_static_selectorELNS0_4arch9wavefront6targetE0EEEvSR_.num_agpr, 0
	.set _ZN7rocprim17ROCPRIM_400000_NS6detail17trampoline_kernelINS0_14default_configENS1_32segmented_reduce_config_selectorIN3c104HalfEEEZNS1_21segmented_reduce_implIS3_PKS6_PS6_PKlS6_N6hipcub16HIPCUB_304000_NS6detail27convert_result_type_wrapperISA_SB_N2at6native12_GLOBAL__N_19CustomMaxEEEEE10hipError_tPvRmT0_T1_jT2_SS_T4_T3_P12ihipStream_tbEUlT_E_NS1_11comp_targetILNS1_3genE8ELNS1_11target_archE1030ELNS1_3gpuE2ELNS1_3repE0EEENS1_30default_config_static_selectorELNS0_4arch9wavefront6targetE0EEEvSR_.numbered_sgpr, 0
	.set _ZN7rocprim17ROCPRIM_400000_NS6detail17trampoline_kernelINS0_14default_configENS1_32segmented_reduce_config_selectorIN3c104HalfEEEZNS1_21segmented_reduce_implIS3_PKS6_PS6_PKlS6_N6hipcub16HIPCUB_304000_NS6detail27convert_result_type_wrapperISA_SB_N2at6native12_GLOBAL__N_19CustomMaxEEEEE10hipError_tPvRmT0_T1_jT2_SS_T4_T3_P12ihipStream_tbEUlT_E_NS1_11comp_targetILNS1_3genE8ELNS1_11target_archE1030ELNS1_3gpuE2ELNS1_3repE0EEENS1_30default_config_static_selectorELNS0_4arch9wavefront6targetE0EEEvSR_.num_named_barrier, 0
	.set _ZN7rocprim17ROCPRIM_400000_NS6detail17trampoline_kernelINS0_14default_configENS1_32segmented_reduce_config_selectorIN3c104HalfEEEZNS1_21segmented_reduce_implIS3_PKS6_PS6_PKlS6_N6hipcub16HIPCUB_304000_NS6detail27convert_result_type_wrapperISA_SB_N2at6native12_GLOBAL__N_19CustomMaxEEEEE10hipError_tPvRmT0_T1_jT2_SS_T4_T3_P12ihipStream_tbEUlT_E_NS1_11comp_targetILNS1_3genE8ELNS1_11target_archE1030ELNS1_3gpuE2ELNS1_3repE0EEENS1_30default_config_static_selectorELNS0_4arch9wavefront6targetE0EEEvSR_.private_seg_size, 0
	.set _ZN7rocprim17ROCPRIM_400000_NS6detail17trampoline_kernelINS0_14default_configENS1_32segmented_reduce_config_selectorIN3c104HalfEEEZNS1_21segmented_reduce_implIS3_PKS6_PS6_PKlS6_N6hipcub16HIPCUB_304000_NS6detail27convert_result_type_wrapperISA_SB_N2at6native12_GLOBAL__N_19CustomMaxEEEEE10hipError_tPvRmT0_T1_jT2_SS_T4_T3_P12ihipStream_tbEUlT_E_NS1_11comp_targetILNS1_3genE8ELNS1_11target_archE1030ELNS1_3gpuE2ELNS1_3repE0EEENS1_30default_config_static_selectorELNS0_4arch9wavefront6targetE0EEEvSR_.uses_vcc, 0
	.set _ZN7rocprim17ROCPRIM_400000_NS6detail17trampoline_kernelINS0_14default_configENS1_32segmented_reduce_config_selectorIN3c104HalfEEEZNS1_21segmented_reduce_implIS3_PKS6_PS6_PKlS6_N6hipcub16HIPCUB_304000_NS6detail27convert_result_type_wrapperISA_SB_N2at6native12_GLOBAL__N_19CustomMaxEEEEE10hipError_tPvRmT0_T1_jT2_SS_T4_T3_P12ihipStream_tbEUlT_E_NS1_11comp_targetILNS1_3genE8ELNS1_11target_archE1030ELNS1_3gpuE2ELNS1_3repE0EEENS1_30default_config_static_selectorELNS0_4arch9wavefront6targetE0EEEvSR_.uses_flat_scratch, 0
	.set _ZN7rocprim17ROCPRIM_400000_NS6detail17trampoline_kernelINS0_14default_configENS1_32segmented_reduce_config_selectorIN3c104HalfEEEZNS1_21segmented_reduce_implIS3_PKS6_PS6_PKlS6_N6hipcub16HIPCUB_304000_NS6detail27convert_result_type_wrapperISA_SB_N2at6native12_GLOBAL__N_19CustomMaxEEEEE10hipError_tPvRmT0_T1_jT2_SS_T4_T3_P12ihipStream_tbEUlT_E_NS1_11comp_targetILNS1_3genE8ELNS1_11target_archE1030ELNS1_3gpuE2ELNS1_3repE0EEENS1_30default_config_static_selectorELNS0_4arch9wavefront6targetE0EEEvSR_.has_dyn_sized_stack, 0
	.set _ZN7rocprim17ROCPRIM_400000_NS6detail17trampoline_kernelINS0_14default_configENS1_32segmented_reduce_config_selectorIN3c104HalfEEEZNS1_21segmented_reduce_implIS3_PKS6_PS6_PKlS6_N6hipcub16HIPCUB_304000_NS6detail27convert_result_type_wrapperISA_SB_N2at6native12_GLOBAL__N_19CustomMaxEEEEE10hipError_tPvRmT0_T1_jT2_SS_T4_T3_P12ihipStream_tbEUlT_E_NS1_11comp_targetILNS1_3genE8ELNS1_11target_archE1030ELNS1_3gpuE2ELNS1_3repE0EEENS1_30default_config_static_selectorELNS0_4arch9wavefront6targetE0EEEvSR_.has_recursion, 0
	.set _ZN7rocprim17ROCPRIM_400000_NS6detail17trampoline_kernelINS0_14default_configENS1_32segmented_reduce_config_selectorIN3c104HalfEEEZNS1_21segmented_reduce_implIS3_PKS6_PS6_PKlS6_N6hipcub16HIPCUB_304000_NS6detail27convert_result_type_wrapperISA_SB_N2at6native12_GLOBAL__N_19CustomMaxEEEEE10hipError_tPvRmT0_T1_jT2_SS_T4_T3_P12ihipStream_tbEUlT_E_NS1_11comp_targetILNS1_3genE8ELNS1_11target_archE1030ELNS1_3gpuE2ELNS1_3repE0EEENS1_30default_config_static_selectorELNS0_4arch9wavefront6targetE0EEEvSR_.has_indirect_call, 0
	.section	.AMDGPU.csdata,"",@progbits
; Kernel info:
; codeLenInByte = 0
; TotalNumSgprs: 0
; NumVgprs: 0
; ScratchSize: 0
; MemoryBound: 0
; FloatMode: 240
; IeeeMode: 1
; LDSByteSize: 0 bytes/workgroup (compile time only)
; SGPRBlocks: 0
; VGPRBlocks: 0
; NumSGPRsForWavesPerEU: 1
; NumVGPRsForWavesPerEU: 1
; NamedBarCnt: 0
; Occupancy: 16
; WaveLimiterHint : 0
; COMPUTE_PGM_RSRC2:SCRATCH_EN: 0
; COMPUTE_PGM_RSRC2:USER_SGPR: 2
; COMPUTE_PGM_RSRC2:TRAP_HANDLER: 0
; COMPUTE_PGM_RSRC2:TGID_X_EN: 1
; COMPUTE_PGM_RSRC2:TGID_Y_EN: 0
; COMPUTE_PGM_RSRC2:TGID_Z_EN: 0
; COMPUTE_PGM_RSRC2:TIDIG_COMP_CNT: 0
	.section	.text._ZN7rocprim17ROCPRIM_400000_NS6detail17trampoline_kernelINS0_14default_configENS1_32segmented_reduce_config_selectorIN3c104HalfEEEZNS1_21segmented_reduce_implIS3_PKS6_PS6_PKlS6_N6hipcub16HIPCUB_304000_NS6detail27convert_result_type_wrapperISA_SB_N2at6native12_GLOBAL__N_19CustomSumEEEEE10hipError_tPvRmT0_T1_jT2_SS_T4_T3_P12ihipStream_tbEUlT_E_NS1_11comp_targetILNS1_3genE0ELNS1_11target_archE4294967295ELNS1_3gpuE0ELNS1_3repE0EEENS1_30default_config_static_selectorELNS0_4arch9wavefront6targetE0EEEvSR_,"axG",@progbits,_ZN7rocprim17ROCPRIM_400000_NS6detail17trampoline_kernelINS0_14default_configENS1_32segmented_reduce_config_selectorIN3c104HalfEEEZNS1_21segmented_reduce_implIS3_PKS6_PS6_PKlS6_N6hipcub16HIPCUB_304000_NS6detail27convert_result_type_wrapperISA_SB_N2at6native12_GLOBAL__N_19CustomSumEEEEE10hipError_tPvRmT0_T1_jT2_SS_T4_T3_P12ihipStream_tbEUlT_E_NS1_11comp_targetILNS1_3genE0ELNS1_11target_archE4294967295ELNS1_3gpuE0ELNS1_3repE0EEENS1_30default_config_static_selectorELNS0_4arch9wavefront6targetE0EEEvSR_,comdat
	.globl	_ZN7rocprim17ROCPRIM_400000_NS6detail17trampoline_kernelINS0_14default_configENS1_32segmented_reduce_config_selectorIN3c104HalfEEEZNS1_21segmented_reduce_implIS3_PKS6_PS6_PKlS6_N6hipcub16HIPCUB_304000_NS6detail27convert_result_type_wrapperISA_SB_N2at6native12_GLOBAL__N_19CustomSumEEEEE10hipError_tPvRmT0_T1_jT2_SS_T4_T3_P12ihipStream_tbEUlT_E_NS1_11comp_targetILNS1_3genE0ELNS1_11target_archE4294967295ELNS1_3gpuE0ELNS1_3repE0EEENS1_30default_config_static_selectorELNS0_4arch9wavefront6targetE0EEEvSR_ ; -- Begin function _ZN7rocprim17ROCPRIM_400000_NS6detail17trampoline_kernelINS0_14default_configENS1_32segmented_reduce_config_selectorIN3c104HalfEEEZNS1_21segmented_reduce_implIS3_PKS6_PS6_PKlS6_N6hipcub16HIPCUB_304000_NS6detail27convert_result_type_wrapperISA_SB_N2at6native12_GLOBAL__N_19CustomSumEEEEE10hipError_tPvRmT0_T1_jT2_SS_T4_T3_P12ihipStream_tbEUlT_E_NS1_11comp_targetILNS1_3genE0ELNS1_11target_archE4294967295ELNS1_3gpuE0ELNS1_3repE0EEENS1_30default_config_static_selectorELNS0_4arch9wavefront6targetE0EEEvSR_
	.p2align	8
	.type	_ZN7rocprim17ROCPRIM_400000_NS6detail17trampoline_kernelINS0_14default_configENS1_32segmented_reduce_config_selectorIN3c104HalfEEEZNS1_21segmented_reduce_implIS3_PKS6_PS6_PKlS6_N6hipcub16HIPCUB_304000_NS6detail27convert_result_type_wrapperISA_SB_N2at6native12_GLOBAL__N_19CustomSumEEEEE10hipError_tPvRmT0_T1_jT2_SS_T4_T3_P12ihipStream_tbEUlT_E_NS1_11comp_targetILNS1_3genE0ELNS1_11target_archE4294967295ELNS1_3gpuE0ELNS1_3repE0EEENS1_30default_config_static_selectorELNS0_4arch9wavefront6targetE0EEEvSR_,@function
_ZN7rocprim17ROCPRIM_400000_NS6detail17trampoline_kernelINS0_14default_configENS1_32segmented_reduce_config_selectorIN3c104HalfEEEZNS1_21segmented_reduce_implIS3_PKS6_PS6_PKlS6_N6hipcub16HIPCUB_304000_NS6detail27convert_result_type_wrapperISA_SB_N2at6native12_GLOBAL__N_19CustomSumEEEEE10hipError_tPvRmT0_T1_jT2_SS_T4_T3_P12ihipStream_tbEUlT_E_NS1_11comp_targetILNS1_3genE0ELNS1_11target_archE4294967295ELNS1_3gpuE0ELNS1_3repE0EEENS1_30default_config_static_selectorELNS0_4arch9wavefront6targetE0EEEvSR_: ; @_ZN7rocprim17ROCPRIM_400000_NS6detail17trampoline_kernelINS0_14default_configENS1_32segmented_reduce_config_selectorIN3c104HalfEEEZNS1_21segmented_reduce_implIS3_PKS6_PS6_PKlS6_N6hipcub16HIPCUB_304000_NS6detail27convert_result_type_wrapperISA_SB_N2at6native12_GLOBAL__N_19CustomSumEEEEE10hipError_tPvRmT0_T1_jT2_SS_T4_T3_P12ihipStream_tbEUlT_E_NS1_11comp_targetILNS1_3genE0ELNS1_11target_archE4294967295ELNS1_3gpuE0ELNS1_3repE0EEENS1_30default_config_static_selectorELNS0_4arch9wavefront6targetE0EEEvSR_
; %bb.0:
	v_mov_b32_e32 v1, 0
	s_clause 0x1
	s_load_b256 s[16:23], s[0:1], 0x0
	s_load_b64 s[2:3], s[0:1], 0x20
	s_bfe_u32 s6, ttmp6, 0x4000c
	s_and_b32 s7, ttmp6, 15
	s_add_co_i32 s6, s6, 1
	global_load_u16 v6, v1, s[0:1] offset:42
	s_mul_i32 s6, ttmp9, s6
	s_getreg_b32 s8, hwreg(HW_REG_IB_STS2, 6, 4)
	s_add_co_i32 s9, s7, s6
	s_wait_kmcnt 0x0
	s_lshl_b64 s[0:1], s[20:21], 1
	s_lshl_b64 s[4:5], s[20:21], 3
	s_cmp_eq_u32 s8, 0
	s_add_nc_u64 s[6:7], s[22:23], s[4:5]
	s_cselect_b32 s20, ttmp9, s9
	s_add_nc_u64 s[2:3], s[2:3], s[4:5]
	s_load_b64 s[24:25], s[6:7], s20 offset:0x0 scale_offset
	s_load_b64 s[22:23], s[2:3], s20 offset:0x0 scale_offset
	s_add_nc_u64 s[18:19], s[18:19], s[0:1]
	v_cmp_eq_u32_e64 s0, 0, v0
	s_mov_b32 s21, 0
	s_mov_b32 s1, -1
	s_wait_kmcnt 0x0
	v_cmp_gt_i64_e64 s2, s[22:23], s[24:25]
	s_and_b32 vcc_lo, exec_lo, s2
	s_cbranch_vccnz .LBB221_4
; %bb.1:
	s_and_saveexec_b32 s1, s0
	s_cbranch_execz .LBB221_3
; %bb.2:
	v_mov_b32_e32 v1, 0
	s_lshl_b64 s[2:3], s[20:21], 1
	s_delay_alu instid0(SALU_CYCLE_1)
	s_add_nc_u64 s[2:3], s[18:19], s[2:3]
	s_wait_loadcnt 0x0
	global_store_b16 v1, v6, s[2:3]
.LBB221_3:
	s_wait_xcnt 0x0
	s_or_b32 exec_lo, exec_lo, s1
	s_mov_b32 s1, 0
.LBB221_4:
	s_delay_alu instid0(SALU_CYCLE_1)
	s_and_not1_b32 vcc_lo, exec_lo, s1
	s_cbranch_vccnz .LBB221_69
; %bb.5:
	s_add_nc_u64 s[0:1], s[24:25], 0x1000
	s_delay_alu instid0(SALU_CYCLE_1)
	v_cmp_le_i64_e64 s2, s[0:1], s[22:23]
	s_and_b32 vcc_lo, exec_lo, s2
	s_cbranch_vccz .LBB221_46
; %bb.6:
	s_lshl_b64 s[2:3], s[24:25], 1
	s_add_nc_u64 s[4:5], s[24:25], 0x2000
	s_add_nc_u64 s[2:3], s[16:17], s[2:3]
	v_cmp_ge_i64_e64 s4, s[4:5], s[22:23]
	s_clause 0xf
	global_load_u16 v1, v0, s[2:3] scale_offset
	global_load_u16 v4, v0, s[2:3] offset:512 scale_offset
	global_load_u16 v5, v0, s[2:3] offset:1024 scale_offset
	global_load_u16 v7, v0, s[2:3] offset:1536 scale_offset
	global_load_u16 v8, v0, s[2:3] offset:2048 scale_offset
	global_load_u16 v9, v0, s[2:3] offset:2560 scale_offset
	global_load_u16 v10, v0, s[2:3] offset:3072 scale_offset
	global_load_u16 v11, v0, s[2:3] offset:3584 scale_offset
	global_load_u16 v12, v0, s[2:3] offset:4096 scale_offset
	global_load_u16 v13, v0, s[2:3] offset:4608 scale_offset
	global_load_u16 v14, v0, s[2:3] offset:5120 scale_offset
	global_load_u16 v15, v0, s[2:3] offset:5632 scale_offset
	global_load_u16 v16, v0, s[2:3] offset:6144 scale_offset
	global_load_u16 v17, v0, s[2:3] offset:6656 scale_offset
	global_load_u16 v18, v0, s[2:3] offset:7168 scale_offset
	global_load_u16 v19, v0, s[2:3] offset:7680 scale_offset
	v_mov_b32_e32 v3, 0
	s_and_b32 vcc_lo, exec_lo, s4
	s_wait_loadcnt 0xe
	v_add_f16_e32 v2, v1, v4
	s_wait_loadcnt 0xd
	s_delay_alu instid0(VALU_DEP_1) | instskip(SKIP_1) | instid1(VALU_DEP_1)
	v_add_f16_e32 v2, v2, v5
	s_wait_loadcnt 0xc
	v_add_f16_e32 v2, v2, v7
	s_wait_loadcnt 0xb
	s_delay_alu instid0(VALU_DEP_1) | instskip(SKIP_1) | instid1(VALU_DEP_1)
	v_add_f16_e32 v2, v2, v8
	;; [unrolled: 5-line block ×7, first 2 shown]
	s_wait_loadcnt 0x0
	v_add_f16_e32 v20, v2, v19
	s_cbranch_vccnz .LBB221_9
; %bb.7:
	v_lshlrev_b32_e32 v2, 1, v0
	s_delay_alu instid0(VALU_DEP_1) | instskip(NEXT) | instid1(VALU_DEP_1)
	v_add_nc_u64_e32 v[2:3], s[2:3], v[2:3]
	v_add_nc_u64_e32 v[2:3], 0x2000, v[2:3]
.LBB221_8:                              ; =>This Inner Loop Header: Depth=1
	s_clause 0xf
	global_load_u16 v1, v[2:3], off
	global_load_u16 v4, v[2:3], off offset:512
	global_load_u16 v5, v[2:3], off offset:1024
	;; [unrolled: 1-line block ×15, first 2 shown]
	s_wait_xcnt 0x10
	s_add_nc_u64 s[2:3], s[0:1], 0x2000
	s_wait_xcnt 0x0
	v_add_nc_u64_e32 v[2:3], 0x2000, v[2:3]
	v_cmp_lt_i64_e64 s2, s[2:3], s[22:23]
	s_add_nc_u64 s[0:1], s[0:1], 0x1000
	s_and_b32 vcc_lo, exec_lo, s2
	s_wait_loadcnt 0xf
	v_add_f16_e32 v20, v20, v1
	s_wait_loadcnt 0xe
	s_delay_alu instid0(VALU_DEP_1) | instskip(SKIP_1) | instid1(VALU_DEP_1)
	v_add_f16_e32 v20, v20, v4
	s_wait_loadcnt 0xd
	v_add_f16_e32 v20, v20, v5
	s_wait_loadcnt 0xc
	s_delay_alu instid0(VALU_DEP_1) | instskip(SKIP_1) | instid1(VALU_DEP_1)
	v_add_f16_e32 v20, v20, v7
	s_wait_loadcnt 0xb
	v_add_f16_e32 v20, v20, v8
	s_wait_loadcnt 0xa
	s_delay_alu instid0(VALU_DEP_1) | instskip(SKIP_1) | instid1(VALU_DEP_1)
	v_add_f16_e32 v20, v20, v9
	s_wait_loadcnt 0x9
	v_add_f16_e32 v20, v20, v10
	s_wait_loadcnt 0x8
	s_delay_alu instid0(VALU_DEP_1) | instskip(SKIP_1) | instid1(VALU_DEP_1)
	v_add_f16_e32 v20, v20, v11
	s_wait_loadcnt 0x7
	v_add_f16_e32 v20, v20, v12
	s_wait_loadcnt 0x6
	s_delay_alu instid0(VALU_DEP_1) | instskip(SKIP_1) | instid1(VALU_DEP_1)
	v_add_f16_e32 v20, v20, v13
	s_wait_loadcnt 0x5
	v_add_f16_e32 v20, v20, v14
	s_wait_loadcnt 0x4
	s_delay_alu instid0(VALU_DEP_1) | instskip(SKIP_1) | instid1(VALU_DEP_1)
	v_add_f16_e32 v20, v20, v15
	s_wait_loadcnt 0x3
	v_add_f16_e32 v20, v20, v16
	s_wait_loadcnt 0x2
	s_delay_alu instid0(VALU_DEP_1) | instskip(SKIP_1) | instid1(VALU_DEP_1)
	v_add_f16_e32 v20, v20, v17
	s_wait_loadcnt 0x1
	v_add_f16_e32 v20, v20, v18
	s_wait_loadcnt 0x0
	s_delay_alu instid0(VALU_DEP_1)
	v_add_f16_e32 v20, v20, v19
	s_cbranch_vccnz .LBB221_8
.LBB221_9:
	s_sub_co_i32 s14, s22, s0
	s_lshl_b64 s[0:1], s[0:1], 1
	v_cmp_gt_u32_e32 vcc_lo, s14, v0
	s_add_nc_u64 s[26:27], s[16:17], s[0:1]
	s_wait_xcnt 0x0
	s_and_saveexec_b32 s0, vcc_lo
	s_cbranch_execz .LBB221_11
; %bb.10:
	global_load_u16 v1, v0, s[26:27] scale_offset
.LBB221_11:
	s_wait_xcnt 0x0
	s_or_b32 exec_lo, exec_lo, s0
	v_or_b32_e32 v2, 0x100, v0
	s_delay_alu instid0(VALU_DEP_1)
	v_cmp_gt_u32_e64 s0, s14, v2
	s_and_saveexec_b32 s1, s0
	s_cbranch_execz .LBB221_13
; %bb.12:
	global_load_u16 v4, v0, s[26:27] offset:512 scale_offset
.LBB221_13:
	s_wait_xcnt 0x0
	s_or_b32 exec_lo, exec_lo, s1
	v_or_b32_e32 v2, 0x200, v0
	s_delay_alu instid0(VALU_DEP_1)
	v_cmp_gt_u32_e64 s1, s14, v2
	s_and_saveexec_b32 s2, s1
	s_cbranch_execz .LBB221_15
; %bb.14:
	global_load_u16 v5, v0, s[26:27] offset:1024 scale_offset
.LBB221_15:
	;; [unrolled: 10-line block ×15, first 2 shown]
	s_wait_xcnt 0x0
	s_or_b32 exec_lo, exec_lo, s15
	s_wait_loadcnt 0x0
	v_add_f16_e32 v1, v20, v1
	s_delay_alu instid0(VALU_DEP_1) | instskip(NEXT) | instid1(VALU_DEP_1)
	v_cndmask_b32_e32 v1, v20, v1, vcc_lo
	v_add_f16_e32 v2, v1, v4
	s_delay_alu instid0(VALU_DEP_1) | instskip(SKIP_1) | instid1(VALU_DEP_1)
	v_cndmask_b32_e64 v1, v1, v2, s0
	s_mov_b32 s0, exec_lo
	v_add_f16_e32 v2, v1, v5
	s_delay_alu instid0(VALU_DEP_1) | instskip(NEXT) | instid1(VALU_DEP_1)
	v_cndmask_b32_e64 v1, v1, v2, s1
	v_add_f16_e32 v2, v1, v7
	s_delay_alu instid0(VALU_DEP_1) | instskip(NEXT) | instid1(VALU_DEP_1)
	v_cndmask_b32_e64 v1, v1, v2, s2
	;; [unrolled: 3-line block ×14, first 2 shown]
	v_and_b32_e32 v2, 0xffff, v1
	s_delay_alu instid0(VALU_DEP_1) | instskip(NEXT) | instid1(VALU_DEP_1)
	v_mov_b32_dpp v2, v2 quad_perm:[1,0,3,2] row_mask:0xf bank_mask:0xf
	v_add_f16_e32 v1, v1, v2
	s_delay_alu instid0(VALU_DEP_1) | instskip(NEXT) | instid1(VALU_DEP_1)
	v_and_b32_e32 v2, 0xffff, v1
	v_mov_b32_dpp v2, v2 quad_perm:[2,3,0,1] row_mask:0xf bank_mask:0xf
	s_delay_alu instid0(VALU_DEP_1) | instskip(NEXT) | instid1(VALU_DEP_1)
	v_add_f16_e32 v1, v1, v2
	v_and_b32_e32 v2, 0xffff, v1
	s_delay_alu instid0(VALU_DEP_1) | instskip(NEXT) | instid1(VALU_DEP_1)
	v_mov_b32_dpp v2, v2 row_ror:4 row_mask:0xf bank_mask:0xf
	v_add_f16_e32 v1, v1, v2
	s_delay_alu instid0(VALU_DEP_1) | instskip(NEXT) | instid1(VALU_DEP_1)
	v_and_b32_e32 v2, 0xffff, v1
	v_mov_b32_dpp v2, v2 row_ror:8 row_mask:0xf bank_mask:0xf
	s_delay_alu instid0(VALU_DEP_1) | instskip(NEXT) | instid1(VALU_DEP_1)
	v_add_f16_e32 v1, v1, v2
	v_and_b32_e32 v2, 0xffff, v1
	ds_swizzle_b32 v2, v2 offset:swizzle(BROADCAST,32,15)
	s_wait_dscnt 0x0
	v_add_f16_e32 v1, v1, v2
	v_mov_b32_e32 v2, 0
	s_delay_alu instid0(VALU_DEP_2) | instskip(SKIP_2) | instid1(VALU_DEP_1)
	v_and_b32_e32 v1, 0xffff, v1
	ds_bpermute_b32 v3, v2, v1 offset:124
	v_mbcnt_lo_u32_b32 v1, -1, 0
	v_cmpx_eq_u32_e32 0, v1
	s_cbranch_execz .LBB221_43
; %bb.42:
	v_lshrrev_b32_e32 v2, 4, v0
	s_delay_alu instid0(VALU_DEP_1)
	v_and_b32_e32 v2, 14, v2
	s_wait_dscnt 0x0
	ds_store_b16 v2, v3
.LBB221_43:
	s_or_b32 exec_lo, exec_lo, s0
	s_delay_alu instid0(SALU_CYCLE_1)
	s_mov_b32 s0, exec_lo
	s_wait_storecnt_dscnt 0x0
	s_barrier_signal -1
	s_barrier_wait -1
	v_cmpx_gt_u32_e32 32, v0
	s_cbranch_execz .LBB221_45
; %bb.44:
	v_and_b32_e32 v2, 7, v1
	s_delay_alu instid0(VALU_DEP_1) | instskip(SKIP_1) | instid1(VALU_DEP_1)
	v_cmp_ne_u32_e32 vcc_lo, 7, v2
	v_add_co_ci_u32_e64 v4, null, 0, v1, vcc_lo
	v_lshlrev_b32_e32 v4, 2, v4
	v_cmp_gt_u32_e32 vcc_lo, 6, v2
	v_lshlrev_b32_e32 v3, 1, v2
	v_cndmask_b32_e64 v2, 0, 2, vcc_lo
	s_delay_alu instid0(VALU_DEP_1)
	v_add_lshl_u32 v2, v2, v1, 2
	v_lshlrev_b32_e32 v1, 2, v1
	ds_load_u16 v3, v3
	v_or_b32_e32 v1, 16, v1
	s_wait_dscnt 0x0
	v_and_b32_e32 v5, 0xffff, v3
	ds_bpermute_b32 v4, v4, v5
	s_wait_dscnt 0x0
	v_add_f16_e32 v3, v3, v4
	s_delay_alu instid0(VALU_DEP_1) | instskip(SKIP_3) | instid1(VALU_DEP_1)
	v_and_b32_e32 v4, 0xffff, v3
	ds_bpermute_b32 v2, v2, v4
	s_wait_dscnt 0x0
	v_add_f16_e32 v2, v3, v2
	v_and_b32_e32 v3, 0xffff, v2
	ds_bpermute_b32 v1, v1, v3
	s_wait_dscnt 0x0
	v_add_f16_e32 v3, v2, v1
.LBB221_45:
	s_or_b32 exec_lo, exec_lo, s0
	s_branch .LBB221_67
.LBB221_46:
                                        ; implicit-def: $vgpr3
	s_cbranch_execz .LBB221_67
; %bb.47:
	s_sub_co_i32 s3, s22, s24
	s_mov_b32 s0, exec_lo
                                        ; implicit-def: $vgpr7
	v_cmpx_gt_u32_e64 s3, v0
	s_cbranch_execz .LBB221_53
; %bb.48:
	v_mov_b32_e32 v1, 0
	s_mov_b32 s1, exec_lo
	s_delay_alu instid0(VALU_DEP_1) | instskip(NEXT) | instid1(VALU_DEP_1)
	v_add_nc_u64_e32 v[2:3], s[24:25], v[0:1]
	v_lshl_add_u64 v[4:5], v[2:3], 1, s[16:17]
	v_add_nc_u64_e32 v[2:3], 0x100, v[2:3]
	global_load_u16 v7, v[4:5], off
	s_wait_xcnt 0x0
	v_cmpx_gt_i64_e64 s[22:23], v[2:3]
	s_cbranch_execz .LBB221_52
; %bb.49:
	v_add_nc_u64_e32 v[4:5], 0x200, v[4:5]
	s_mov_b32 s2, 0
.LBB221_50:                             ; =>This Inner Loop Header: Depth=1
	global_load_u16 v1, v[4:5], off
	v_add_nc_u64_e32 v[2:3], 0x100, v[2:3]
	s_wait_xcnt 0x0
	v_add_nc_u64_e32 v[4:5], 0x200, v[4:5]
	s_delay_alu instid0(VALU_DEP_2)
	v_cmp_le_i64_e32 vcc_lo, s[22:23], v[2:3]
	s_or_b32 s2, vcc_lo, s2
	s_wait_loadcnt 0x0
	v_add_f16_e32 v7, v7, v1
	s_and_not1_b32 exec_lo, exec_lo, s2
	s_cbranch_execnz .LBB221_50
; %bb.51:
	s_or_b32 exec_lo, exec_lo, s2
.LBB221_52:
	s_delay_alu instid0(SALU_CYCLE_1)
	s_or_b32 exec_lo, exec_lo, s1
.LBB221_53:
	s_delay_alu instid0(SALU_CYCLE_1)
	s_or_b32 exec_lo, exec_lo, s0
	v_mbcnt_lo_u32_b32 v1, -1, 0
	s_wait_loadcnt 0x0
	v_and_b32_e32 v2, 0xffff, v7
	s_cmp_lt_u32 s3, 0x100
	s_cbranch_scc0 .LBB221_61
; %bb.54:
	v_cmp_ne_u32_e32 vcc_lo, 31, v1
	v_and_b32_e32 v4, 0xe0, v0
	v_cmp_gt_u32_e64 s0, 24, v1
	v_add_nc_u32_e32 v11, 2, v1
	v_add_co_ci_u32_e64 v3, null, 0, v1, vcc_lo
	v_cmp_gt_u32_e32 vcc_lo, 30, v1
	v_sub_nc_u32_e64 v8, s3, v4 clamp
	s_delay_alu instid0(VALU_DEP_3)
	v_lshlrev_b32_e32 v3, 2, v3
	v_cndmask_b32_e64 v9, 0, 2, vcc_lo
	v_cmp_gt_u32_e32 vcc_lo, 28, v1
	ds_bpermute_b32 v3, v3, v2
	v_add_lshl_u32 v9, v9, v1, 2
	s_wait_dscnt 0x0
	v_add_f16_e32 v5, v7, v3
	v_add_nc_u32_e32 v3, 1, v1
	s_delay_alu instid0(VALU_DEP_2) | instskip(NEXT) | instid1(VALU_DEP_2)
	v_and_b32_e32 v4, 0xffff, v5
	v_cmp_lt_u32_e64 s2, v3, v8
	s_delay_alu instid0(VALU_DEP_1)
	v_dual_cndmask_b32 v3, v2, v4, s2 :: v_dual_cndmask_b32 v10, v7, v5, s2
	ds_bpermute_b32 v4, v9, v3
	s_wait_dscnt 0x0
	v_add_f16_e32 v9, v10, v4
	v_cndmask_b32_e64 v4, 0, 4, vcc_lo
	v_cmp_lt_u32_e32 vcc_lo, v11, v8
	s_delay_alu instid0(VALU_DEP_3) | instskip(NEXT) | instid1(VALU_DEP_3)
	v_and_b32_e32 v12, 0xffff, v9
	v_add_lshl_u32 v4, v4, v1, 2
	s_delay_alu instid0(VALU_DEP_2)
	v_dual_cndmask_b32 v11, v10, v9, vcc_lo :: v_dual_cndmask_b32 v3, v3, v12, vcc_lo
	v_add_nc_u32_e32 v12, 4, v1
	ds_bpermute_b32 v4, v4, v3
	s_wait_dscnt 0x0
	v_add_f16_e32 v10, v11, v4
	v_cndmask_b32_e64 v4, 0, 8, s0
	v_cmp_lt_u32_e64 s0, v12, v8
	s_delay_alu instid0(VALU_DEP_3) | instskip(NEXT) | instid1(VALU_DEP_3)
	v_and_b32_e32 v13, 0xffff, v10
	v_add_lshl_u32 v4, v4, v1, 2
	s_delay_alu instid0(VALU_DEP_3) | instskip(NEXT) | instid1(VALU_DEP_3)
	v_cndmask_b32_e64 v12, v11, v10, s0
	v_cndmask_b32_e64 v3, v3, v13, s0
	v_add_nc_u32_e32 v13, 8, v1
	ds_bpermute_b32 v4, v4, v3
	v_cmp_lt_u32_e64 s1, v13, v8
	s_wait_dscnt 0x0
	v_add_f16_e32 v11, v12, v4
	s_delay_alu instid0(VALU_DEP_1) | instskip(SKIP_1) | instid1(VALU_DEP_1)
	v_and_b32_e32 v14, 0xffff, v11
	v_lshlrev_b32_e32 v4, 2, v1
	v_dual_cndmask_b32 v3, v3, v14, s1 :: v_dual_bitop2_b32 v13, 64, v4 bitop3:0x54
	ds_bpermute_b32 v13, v13, v3
	v_mov_b32_e32 v3, v7
	s_and_saveexec_b32 s4, s2
	s_cbranch_execz .LBB221_56
; %bb.55:
	v_dual_cndmask_b32 v3, v5, v9, vcc_lo :: v_dual_cndmask_b32 v5, v12, v11, s1
	s_delay_alu instid0(VALU_DEP_1) | instskip(SKIP_1) | instid1(VALU_DEP_2)
	v_dual_add_nc_u32 v9, 16, v1 :: v_dual_cndmask_b32 v3, v3, v10, s0
	s_wait_dscnt 0x0
	v_add_f16_e32 v5, v5, v13
	s_delay_alu instid0(VALU_DEP_2) | instskip(NEXT) | instid1(VALU_DEP_3)
	v_cmp_lt_u32_e32 vcc_lo, v9, v8
	v_cndmask_b32_e64 v3, v3, v11, s1
	s_delay_alu instid0(VALU_DEP_1)
	v_cndmask_b32_e32 v3, v3, v5, vcc_lo
.LBB221_56:
	s_or_b32 exec_lo, exec_lo, s4
	s_delay_alu instid0(SALU_CYCLE_1)
	s_mov_b32 s0, exec_lo
	v_cmpx_eq_u32_e32 0, v1
; %bb.57:
	v_lshrrev_b32_e32 v5, 4, v0
	s_delay_alu instid0(VALU_DEP_1)
	v_and_b32_e32 v5, 14, v5
	ds_store_b16 v5, v3
; %bb.58:
	s_or_b32 exec_lo, exec_lo, s0
	s_delay_alu instid0(SALU_CYCLE_1)
	s_mov_b32 s1, exec_lo
	s_wait_storecnt_dscnt 0x0
	s_barrier_signal -1
	s_barrier_wait -1
	v_cmpx_gt_u32_e32 8, v0
	s_cbranch_execz .LBB221_60
; %bb.59:
	v_dual_lshlrev_b32 v3, 1, v1 :: v_dual_bitop2_b32 v5, 7, v1 bitop3:0x40
	s_add_co_i32 s3, s3, 31
	v_or_b32_e32 v4, 16, v4
	s_lshr_b32 s2, s3, 5
	ds_load_u16 v3, v3
	v_cmp_ne_u32_e32 vcc_lo, 7, v5
	v_add_nc_u32_e32 v11, 1, v5
	v_add_co_ci_u32_e64 v8, null, 0, v1, vcc_lo
	v_cmp_gt_u32_e32 vcc_lo, 6, v5
	s_delay_alu instid0(VALU_DEP_2) | instskip(SKIP_2) | instid1(VALU_DEP_2)
	v_lshlrev_b32_e32 v8, 2, v8
	v_cndmask_b32_e64 v10, 0, 2, vcc_lo
	v_cmp_gt_u32_e32 vcc_lo, s2, v11
	v_add_lshl_u32 v10, v10, v1, 2
	s_wait_dscnt 0x0
	v_and_b32_e32 v9, 0xffff, v3
	ds_bpermute_b32 v8, v8, v9
	s_wait_dscnt 0x0
	v_add_f16_e32 v8, v3, v8
	s_delay_alu instid0(VALU_DEP_1) | instskip(SKIP_1) | instid1(VALU_DEP_2)
	v_and_b32_e32 v12, 0xffff, v8
	v_cndmask_b32_e32 v11, v3, v8, vcc_lo
	v_cndmask_b32_e32 v9, v9, v12, vcc_lo
	ds_bpermute_b32 v10, v10, v9
	s_wait_dscnt 0x0
	v_add_f16_e32 v10, v11, v10
	v_dual_add_nc_u32 v11, 2, v5 :: v_dual_add_nc_u32 v5, 4, v5
	s_delay_alu instid0(VALU_DEP_2) | instskip(NEXT) | instid1(VALU_DEP_2)
	v_and_b32_e32 v12, 0xffff, v10
	v_cmp_gt_u32_e64 s0, s2, v11
	s_delay_alu instid0(VALU_DEP_1) | instskip(NEXT) | instid1(VALU_DEP_4)
	v_dual_cndmask_b32 v9, v9, v12, s0 :: v_dual_cndmask_b32 v8, v8, v10, s0
	v_cmp_gt_u32_e64 s0, s2, v5
	ds_bpermute_b32 v4, v4, v9
	s_wait_dscnt 0x0
	v_add_f16_e32 v4, v8, v4
	s_delay_alu instid0(VALU_DEP_1) | instskip(NEXT) | instid1(VALU_DEP_1)
	v_cndmask_b32_e64 v4, v8, v4, s0
	v_cndmask_b32_e32 v3, v3, v4, vcc_lo
.LBB221_60:
	s_or_b32 exec_lo, exec_lo, s1
	s_branch .LBB221_67
.LBB221_61:
                                        ; implicit-def: $vgpr3
	s_cbranch_execz .LBB221_67
; %bb.62:
	s_delay_alu instid0(VALU_DEP_1) | instskip(SKIP_1) | instid1(VALU_DEP_1)
	v_mov_b32_dpp v2, v2 quad_perm:[1,0,3,2] row_mask:0xf bank_mask:0xf
	s_mov_b32 s0, exec_lo
	v_add_f16_e32 v2, v7, v2
	s_delay_alu instid0(VALU_DEP_1) | instskip(NEXT) | instid1(VALU_DEP_1)
	v_and_b32_e32 v3, 0xffff, v2
	v_mov_b32_dpp v3, v3 quad_perm:[2,3,0,1] row_mask:0xf bank_mask:0xf
	s_delay_alu instid0(VALU_DEP_1) | instskip(NEXT) | instid1(VALU_DEP_1)
	v_add_f16_e32 v2, v2, v3
	v_and_b32_e32 v3, 0xffff, v2
	s_delay_alu instid0(VALU_DEP_1) | instskip(NEXT) | instid1(VALU_DEP_1)
	v_mov_b32_dpp v3, v3 row_ror:4 row_mask:0xf bank_mask:0xf
	v_add_f16_e32 v2, v2, v3
	s_delay_alu instid0(VALU_DEP_1) | instskip(NEXT) | instid1(VALU_DEP_1)
	v_and_b32_e32 v3, 0xffff, v2
	v_mov_b32_dpp v3, v3 row_ror:8 row_mask:0xf bank_mask:0xf
	s_delay_alu instid0(VALU_DEP_1) | instskip(NEXT) | instid1(VALU_DEP_1)
	v_add_f16_e32 v2, v2, v3
	v_and_b32_e32 v3, 0xffff, v2
	ds_swizzle_b32 v3, v3 offset:swizzle(BROADCAST,32,15)
	s_wait_dscnt 0x0
	v_add_f16_e32 v2, v2, v3
	v_mov_b32_e32 v3, 0
	s_delay_alu instid0(VALU_DEP_2)
	v_and_b32_e32 v2, 0xffff, v2
	ds_bpermute_b32 v3, v3, v2 offset:124
	v_cmpx_eq_u32_e32 0, v1
	s_cbranch_execz .LBB221_64
; %bb.63:
	v_lshrrev_b32_e32 v2, 4, v0
	s_delay_alu instid0(VALU_DEP_1)
	v_and_b32_e32 v2, 14, v2
	s_wait_dscnt 0x0
	ds_store_b16 v2, v3
.LBB221_64:
	s_or_b32 exec_lo, exec_lo, s0
	s_delay_alu instid0(SALU_CYCLE_1)
	s_mov_b32 s0, exec_lo
	s_wait_storecnt_dscnt 0x0
	s_barrier_signal -1
	s_barrier_wait -1
	v_cmpx_gt_u32_e32 32, v0
	s_cbranch_execz .LBB221_66
; %bb.65:
	v_and_b32_e32 v2, 7, v1
	s_delay_alu instid0(VALU_DEP_1) | instskip(SKIP_1) | instid1(VALU_DEP_1)
	v_cmp_ne_u32_e32 vcc_lo, 7, v2
	v_add_co_ci_u32_e64 v4, null, 0, v1, vcc_lo
	v_lshlrev_b32_e32 v4, 2, v4
	v_cmp_gt_u32_e32 vcc_lo, 6, v2
	v_lshlrev_b32_e32 v3, 1, v2
	v_cndmask_b32_e64 v2, 0, 2, vcc_lo
	s_delay_alu instid0(VALU_DEP_1)
	v_add_lshl_u32 v2, v2, v1, 2
	v_lshlrev_b32_e32 v1, 2, v1
	ds_load_u16 v3, v3
	v_or_b32_e32 v1, 16, v1
	s_wait_dscnt 0x0
	v_and_b32_e32 v5, 0xffff, v3
	ds_bpermute_b32 v4, v4, v5
	s_wait_dscnt 0x0
	v_add_f16_e32 v3, v3, v4
	s_delay_alu instid0(VALU_DEP_1) | instskip(SKIP_3) | instid1(VALU_DEP_1)
	v_and_b32_e32 v4, 0xffff, v3
	ds_bpermute_b32 v2, v2, v4
	s_wait_dscnt 0x0
	v_add_f16_e32 v2, v3, v2
	v_and_b32_e32 v3, 0xffff, v2
	ds_bpermute_b32 v1, v1, v3
	s_wait_dscnt 0x0
	v_add_f16_e32 v3, v2, v1
.LBB221_66:
	s_or_b32 exec_lo, exec_lo, s0
.LBB221_67:
	s_delay_alu instid0(SALU_CYCLE_1)
	s_mov_b32 s0, exec_lo
	v_cmpx_eq_u32_e32 0, v0
	s_cbranch_execz .LBB221_69
; %bb.68:
	v_mov_b32_e32 v0, 0
	s_wait_loadcnt 0x0
	v_add_f16_e32 v1, v6, v3
	s_lshl_b64 s[0:1], s[20:21], 1
	s_delay_alu instid0(SALU_CYCLE_1)
	s_add_nc_u64 s[0:1], s[18:19], s[0:1]
	global_store_b16 v0, v1, s[0:1]
.LBB221_69:
	s_endpgm
	.section	.rodata,"a",@progbits
	.p2align	6, 0x0
	.amdhsa_kernel _ZN7rocprim17ROCPRIM_400000_NS6detail17trampoline_kernelINS0_14default_configENS1_32segmented_reduce_config_selectorIN3c104HalfEEEZNS1_21segmented_reduce_implIS3_PKS6_PS6_PKlS6_N6hipcub16HIPCUB_304000_NS6detail27convert_result_type_wrapperISA_SB_N2at6native12_GLOBAL__N_19CustomSumEEEEE10hipError_tPvRmT0_T1_jT2_SS_T4_T3_P12ihipStream_tbEUlT_E_NS1_11comp_targetILNS1_3genE0ELNS1_11target_archE4294967295ELNS1_3gpuE0ELNS1_3repE0EEENS1_30default_config_static_selectorELNS0_4arch9wavefront6targetE0EEEvSR_
		.amdhsa_group_segment_fixed_size 16
		.amdhsa_private_segment_fixed_size 0
		.amdhsa_kernarg_size 48
		.amdhsa_user_sgpr_count 2
		.amdhsa_user_sgpr_dispatch_ptr 0
		.amdhsa_user_sgpr_queue_ptr 0
		.amdhsa_user_sgpr_kernarg_segment_ptr 1
		.amdhsa_user_sgpr_dispatch_id 0
		.amdhsa_user_sgpr_kernarg_preload_length 0
		.amdhsa_user_sgpr_kernarg_preload_offset 0
		.amdhsa_user_sgpr_private_segment_size 0
		.amdhsa_wavefront_size32 1
		.amdhsa_uses_dynamic_stack 0
		.amdhsa_enable_private_segment 0
		.amdhsa_system_sgpr_workgroup_id_x 1
		.amdhsa_system_sgpr_workgroup_id_y 0
		.amdhsa_system_sgpr_workgroup_id_z 0
		.amdhsa_system_sgpr_workgroup_info 0
		.amdhsa_system_vgpr_workitem_id 0
		.amdhsa_next_free_vgpr 21
		.amdhsa_next_free_sgpr 28
		.amdhsa_named_barrier_count 0
		.amdhsa_reserve_vcc 1
		.amdhsa_float_round_mode_32 0
		.amdhsa_float_round_mode_16_64 0
		.amdhsa_float_denorm_mode_32 3
		.amdhsa_float_denorm_mode_16_64 3
		.amdhsa_fp16_overflow 0
		.amdhsa_memory_ordered 1
		.amdhsa_forward_progress 1
		.amdhsa_inst_pref_size 30
		.amdhsa_round_robin_scheduling 0
		.amdhsa_exception_fp_ieee_invalid_op 0
		.amdhsa_exception_fp_denorm_src 0
		.amdhsa_exception_fp_ieee_div_zero 0
		.amdhsa_exception_fp_ieee_overflow 0
		.amdhsa_exception_fp_ieee_underflow 0
		.amdhsa_exception_fp_ieee_inexact 0
		.amdhsa_exception_int_div_zero 0
	.end_amdhsa_kernel
	.section	.text._ZN7rocprim17ROCPRIM_400000_NS6detail17trampoline_kernelINS0_14default_configENS1_32segmented_reduce_config_selectorIN3c104HalfEEEZNS1_21segmented_reduce_implIS3_PKS6_PS6_PKlS6_N6hipcub16HIPCUB_304000_NS6detail27convert_result_type_wrapperISA_SB_N2at6native12_GLOBAL__N_19CustomSumEEEEE10hipError_tPvRmT0_T1_jT2_SS_T4_T3_P12ihipStream_tbEUlT_E_NS1_11comp_targetILNS1_3genE0ELNS1_11target_archE4294967295ELNS1_3gpuE0ELNS1_3repE0EEENS1_30default_config_static_selectorELNS0_4arch9wavefront6targetE0EEEvSR_,"axG",@progbits,_ZN7rocprim17ROCPRIM_400000_NS6detail17trampoline_kernelINS0_14default_configENS1_32segmented_reduce_config_selectorIN3c104HalfEEEZNS1_21segmented_reduce_implIS3_PKS6_PS6_PKlS6_N6hipcub16HIPCUB_304000_NS6detail27convert_result_type_wrapperISA_SB_N2at6native12_GLOBAL__N_19CustomSumEEEEE10hipError_tPvRmT0_T1_jT2_SS_T4_T3_P12ihipStream_tbEUlT_E_NS1_11comp_targetILNS1_3genE0ELNS1_11target_archE4294967295ELNS1_3gpuE0ELNS1_3repE0EEENS1_30default_config_static_selectorELNS0_4arch9wavefront6targetE0EEEvSR_,comdat
.Lfunc_end221:
	.size	_ZN7rocprim17ROCPRIM_400000_NS6detail17trampoline_kernelINS0_14default_configENS1_32segmented_reduce_config_selectorIN3c104HalfEEEZNS1_21segmented_reduce_implIS3_PKS6_PS6_PKlS6_N6hipcub16HIPCUB_304000_NS6detail27convert_result_type_wrapperISA_SB_N2at6native12_GLOBAL__N_19CustomSumEEEEE10hipError_tPvRmT0_T1_jT2_SS_T4_T3_P12ihipStream_tbEUlT_E_NS1_11comp_targetILNS1_3genE0ELNS1_11target_archE4294967295ELNS1_3gpuE0ELNS1_3repE0EEENS1_30default_config_static_selectorELNS0_4arch9wavefront6targetE0EEEvSR_, .Lfunc_end221-_ZN7rocprim17ROCPRIM_400000_NS6detail17trampoline_kernelINS0_14default_configENS1_32segmented_reduce_config_selectorIN3c104HalfEEEZNS1_21segmented_reduce_implIS3_PKS6_PS6_PKlS6_N6hipcub16HIPCUB_304000_NS6detail27convert_result_type_wrapperISA_SB_N2at6native12_GLOBAL__N_19CustomSumEEEEE10hipError_tPvRmT0_T1_jT2_SS_T4_T3_P12ihipStream_tbEUlT_E_NS1_11comp_targetILNS1_3genE0ELNS1_11target_archE4294967295ELNS1_3gpuE0ELNS1_3repE0EEENS1_30default_config_static_selectorELNS0_4arch9wavefront6targetE0EEEvSR_
                                        ; -- End function
	.set _ZN7rocprim17ROCPRIM_400000_NS6detail17trampoline_kernelINS0_14default_configENS1_32segmented_reduce_config_selectorIN3c104HalfEEEZNS1_21segmented_reduce_implIS3_PKS6_PS6_PKlS6_N6hipcub16HIPCUB_304000_NS6detail27convert_result_type_wrapperISA_SB_N2at6native12_GLOBAL__N_19CustomSumEEEEE10hipError_tPvRmT0_T1_jT2_SS_T4_T3_P12ihipStream_tbEUlT_E_NS1_11comp_targetILNS1_3genE0ELNS1_11target_archE4294967295ELNS1_3gpuE0ELNS1_3repE0EEENS1_30default_config_static_selectorELNS0_4arch9wavefront6targetE0EEEvSR_.num_vgpr, 21
	.set _ZN7rocprim17ROCPRIM_400000_NS6detail17trampoline_kernelINS0_14default_configENS1_32segmented_reduce_config_selectorIN3c104HalfEEEZNS1_21segmented_reduce_implIS3_PKS6_PS6_PKlS6_N6hipcub16HIPCUB_304000_NS6detail27convert_result_type_wrapperISA_SB_N2at6native12_GLOBAL__N_19CustomSumEEEEE10hipError_tPvRmT0_T1_jT2_SS_T4_T3_P12ihipStream_tbEUlT_E_NS1_11comp_targetILNS1_3genE0ELNS1_11target_archE4294967295ELNS1_3gpuE0ELNS1_3repE0EEENS1_30default_config_static_selectorELNS0_4arch9wavefront6targetE0EEEvSR_.num_agpr, 0
	.set _ZN7rocprim17ROCPRIM_400000_NS6detail17trampoline_kernelINS0_14default_configENS1_32segmented_reduce_config_selectorIN3c104HalfEEEZNS1_21segmented_reduce_implIS3_PKS6_PS6_PKlS6_N6hipcub16HIPCUB_304000_NS6detail27convert_result_type_wrapperISA_SB_N2at6native12_GLOBAL__N_19CustomSumEEEEE10hipError_tPvRmT0_T1_jT2_SS_T4_T3_P12ihipStream_tbEUlT_E_NS1_11comp_targetILNS1_3genE0ELNS1_11target_archE4294967295ELNS1_3gpuE0ELNS1_3repE0EEENS1_30default_config_static_selectorELNS0_4arch9wavefront6targetE0EEEvSR_.numbered_sgpr, 28
	.set _ZN7rocprim17ROCPRIM_400000_NS6detail17trampoline_kernelINS0_14default_configENS1_32segmented_reduce_config_selectorIN3c104HalfEEEZNS1_21segmented_reduce_implIS3_PKS6_PS6_PKlS6_N6hipcub16HIPCUB_304000_NS6detail27convert_result_type_wrapperISA_SB_N2at6native12_GLOBAL__N_19CustomSumEEEEE10hipError_tPvRmT0_T1_jT2_SS_T4_T3_P12ihipStream_tbEUlT_E_NS1_11comp_targetILNS1_3genE0ELNS1_11target_archE4294967295ELNS1_3gpuE0ELNS1_3repE0EEENS1_30default_config_static_selectorELNS0_4arch9wavefront6targetE0EEEvSR_.num_named_barrier, 0
	.set _ZN7rocprim17ROCPRIM_400000_NS6detail17trampoline_kernelINS0_14default_configENS1_32segmented_reduce_config_selectorIN3c104HalfEEEZNS1_21segmented_reduce_implIS3_PKS6_PS6_PKlS6_N6hipcub16HIPCUB_304000_NS6detail27convert_result_type_wrapperISA_SB_N2at6native12_GLOBAL__N_19CustomSumEEEEE10hipError_tPvRmT0_T1_jT2_SS_T4_T3_P12ihipStream_tbEUlT_E_NS1_11comp_targetILNS1_3genE0ELNS1_11target_archE4294967295ELNS1_3gpuE0ELNS1_3repE0EEENS1_30default_config_static_selectorELNS0_4arch9wavefront6targetE0EEEvSR_.private_seg_size, 0
	.set _ZN7rocprim17ROCPRIM_400000_NS6detail17trampoline_kernelINS0_14default_configENS1_32segmented_reduce_config_selectorIN3c104HalfEEEZNS1_21segmented_reduce_implIS3_PKS6_PS6_PKlS6_N6hipcub16HIPCUB_304000_NS6detail27convert_result_type_wrapperISA_SB_N2at6native12_GLOBAL__N_19CustomSumEEEEE10hipError_tPvRmT0_T1_jT2_SS_T4_T3_P12ihipStream_tbEUlT_E_NS1_11comp_targetILNS1_3genE0ELNS1_11target_archE4294967295ELNS1_3gpuE0ELNS1_3repE0EEENS1_30default_config_static_selectorELNS0_4arch9wavefront6targetE0EEEvSR_.uses_vcc, 1
	.set _ZN7rocprim17ROCPRIM_400000_NS6detail17trampoline_kernelINS0_14default_configENS1_32segmented_reduce_config_selectorIN3c104HalfEEEZNS1_21segmented_reduce_implIS3_PKS6_PS6_PKlS6_N6hipcub16HIPCUB_304000_NS6detail27convert_result_type_wrapperISA_SB_N2at6native12_GLOBAL__N_19CustomSumEEEEE10hipError_tPvRmT0_T1_jT2_SS_T4_T3_P12ihipStream_tbEUlT_E_NS1_11comp_targetILNS1_3genE0ELNS1_11target_archE4294967295ELNS1_3gpuE0ELNS1_3repE0EEENS1_30default_config_static_selectorELNS0_4arch9wavefront6targetE0EEEvSR_.uses_flat_scratch, 0
	.set _ZN7rocprim17ROCPRIM_400000_NS6detail17trampoline_kernelINS0_14default_configENS1_32segmented_reduce_config_selectorIN3c104HalfEEEZNS1_21segmented_reduce_implIS3_PKS6_PS6_PKlS6_N6hipcub16HIPCUB_304000_NS6detail27convert_result_type_wrapperISA_SB_N2at6native12_GLOBAL__N_19CustomSumEEEEE10hipError_tPvRmT0_T1_jT2_SS_T4_T3_P12ihipStream_tbEUlT_E_NS1_11comp_targetILNS1_3genE0ELNS1_11target_archE4294967295ELNS1_3gpuE0ELNS1_3repE0EEENS1_30default_config_static_selectorELNS0_4arch9wavefront6targetE0EEEvSR_.has_dyn_sized_stack, 0
	.set _ZN7rocprim17ROCPRIM_400000_NS6detail17trampoline_kernelINS0_14default_configENS1_32segmented_reduce_config_selectorIN3c104HalfEEEZNS1_21segmented_reduce_implIS3_PKS6_PS6_PKlS6_N6hipcub16HIPCUB_304000_NS6detail27convert_result_type_wrapperISA_SB_N2at6native12_GLOBAL__N_19CustomSumEEEEE10hipError_tPvRmT0_T1_jT2_SS_T4_T3_P12ihipStream_tbEUlT_E_NS1_11comp_targetILNS1_3genE0ELNS1_11target_archE4294967295ELNS1_3gpuE0ELNS1_3repE0EEENS1_30default_config_static_selectorELNS0_4arch9wavefront6targetE0EEEvSR_.has_recursion, 0
	.set _ZN7rocprim17ROCPRIM_400000_NS6detail17trampoline_kernelINS0_14default_configENS1_32segmented_reduce_config_selectorIN3c104HalfEEEZNS1_21segmented_reduce_implIS3_PKS6_PS6_PKlS6_N6hipcub16HIPCUB_304000_NS6detail27convert_result_type_wrapperISA_SB_N2at6native12_GLOBAL__N_19CustomSumEEEEE10hipError_tPvRmT0_T1_jT2_SS_T4_T3_P12ihipStream_tbEUlT_E_NS1_11comp_targetILNS1_3genE0ELNS1_11target_archE4294967295ELNS1_3gpuE0ELNS1_3repE0EEENS1_30default_config_static_selectorELNS0_4arch9wavefront6targetE0EEEvSR_.has_indirect_call, 0
	.section	.AMDGPU.csdata,"",@progbits
; Kernel info:
; codeLenInByte = 3796
; TotalNumSgprs: 30
; NumVgprs: 21
; ScratchSize: 0
; MemoryBound: 0
; FloatMode: 240
; IeeeMode: 1
; LDSByteSize: 16 bytes/workgroup (compile time only)
; SGPRBlocks: 0
; VGPRBlocks: 1
; NumSGPRsForWavesPerEU: 30
; NumVGPRsForWavesPerEU: 21
; NamedBarCnt: 0
; Occupancy: 16
; WaveLimiterHint : 1
; COMPUTE_PGM_RSRC2:SCRATCH_EN: 0
; COMPUTE_PGM_RSRC2:USER_SGPR: 2
; COMPUTE_PGM_RSRC2:TRAP_HANDLER: 0
; COMPUTE_PGM_RSRC2:TGID_X_EN: 1
; COMPUTE_PGM_RSRC2:TGID_Y_EN: 0
; COMPUTE_PGM_RSRC2:TGID_Z_EN: 0
; COMPUTE_PGM_RSRC2:TIDIG_COMP_CNT: 0
	.section	.text._ZN7rocprim17ROCPRIM_400000_NS6detail17trampoline_kernelINS0_14default_configENS1_32segmented_reduce_config_selectorIN3c104HalfEEEZNS1_21segmented_reduce_implIS3_PKS6_PS6_PKlS6_N6hipcub16HIPCUB_304000_NS6detail27convert_result_type_wrapperISA_SB_N2at6native12_GLOBAL__N_19CustomSumEEEEE10hipError_tPvRmT0_T1_jT2_SS_T4_T3_P12ihipStream_tbEUlT_E_NS1_11comp_targetILNS1_3genE5ELNS1_11target_archE942ELNS1_3gpuE9ELNS1_3repE0EEENS1_30default_config_static_selectorELNS0_4arch9wavefront6targetE0EEEvSR_,"axG",@progbits,_ZN7rocprim17ROCPRIM_400000_NS6detail17trampoline_kernelINS0_14default_configENS1_32segmented_reduce_config_selectorIN3c104HalfEEEZNS1_21segmented_reduce_implIS3_PKS6_PS6_PKlS6_N6hipcub16HIPCUB_304000_NS6detail27convert_result_type_wrapperISA_SB_N2at6native12_GLOBAL__N_19CustomSumEEEEE10hipError_tPvRmT0_T1_jT2_SS_T4_T3_P12ihipStream_tbEUlT_E_NS1_11comp_targetILNS1_3genE5ELNS1_11target_archE942ELNS1_3gpuE9ELNS1_3repE0EEENS1_30default_config_static_selectorELNS0_4arch9wavefront6targetE0EEEvSR_,comdat
	.globl	_ZN7rocprim17ROCPRIM_400000_NS6detail17trampoline_kernelINS0_14default_configENS1_32segmented_reduce_config_selectorIN3c104HalfEEEZNS1_21segmented_reduce_implIS3_PKS6_PS6_PKlS6_N6hipcub16HIPCUB_304000_NS6detail27convert_result_type_wrapperISA_SB_N2at6native12_GLOBAL__N_19CustomSumEEEEE10hipError_tPvRmT0_T1_jT2_SS_T4_T3_P12ihipStream_tbEUlT_E_NS1_11comp_targetILNS1_3genE5ELNS1_11target_archE942ELNS1_3gpuE9ELNS1_3repE0EEENS1_30default_config_static_selectorELNS0_4arch9wavefront6targetE0EEEvSR_ ; -- Begin function _ZN7rocprim17ROCPRIM_400000_NS6detail17trampoline_kernelINS0_14default_configENS1_32segmented_reduce_config_selectorIN3c104HalfEEEZNS1_21segmented_reduce_implIS3_PKS6_PS6_PKlS6_N6hipcub16HIPCUB_304000_NS6detail27convert_result_type_wrapperISA_SB_N2at6native12_GLOBAL__N_19CustomSumEEEEE10hipError_tPvRmT0_T1_jT2_SS_T4_T3_P12ihipStream_tbEUlT_E_NS1_11comp_targetILNS1_3genE5ELNS1_11target_archE942ELNS1_3gpuE9ELNS1_3repE0EEENS1_30default_config_static_selectorELNS0_4arch9wavefront6targetE0EEEvSR_
	.p2align	8
	.type	_ZN7rocprim17ROCPRIM_400000_NS6detail17trampoline_kernelINS0_14default_configENS1_32segmented_reduce_config_selectorIN3c104HalfEEEZNS1_21segmented_reduce_implIS3_PKS6_PS6_PKlS6_N6hipcub16HIPCUB_304000_NS6detail27convert_result_type_wrapperISA_SB_N2at6native12_GLOBAL__N_19CustomSumEEEEE10hipError_tPvRmT0_T1_jT2_SS_T4_T3_P12ihipStream_tbEUlT_E_NS1_11comp_targetILNS1_3genE5ELNS1_11target_archE942ELNS1_3gpuE9ELNS1_3repE0EEENS1_30default_config_static_selectorELNS0_4arch9wavefront6targetE0EEEvSR_,@function
_ZN7rocprim17ROCPRIM_400000_NS6detail17trampoline_kernelINS0_14default_configENS1_32segmented_reduce_config_selectorIN3c104HalfEEEZNS1_21segmented_reduce_implIS3_PKS6_PS6_PKlS6_N6hipcub16HIPCUB_304000_NS6detail27convert_result_type_wrapperISA_SB_N2at6native12_GLOBAL__N_19CustomSumEEEEE10hipError_tPvRmT0_T1_jT2_SS_T4_T3_P12ihipStream_tbEUlT_E_NS1_11comp_targetILNS1_3genE5ELNS1_11target_archE942ELNS1_3gpuE9ELNS1_3repE0EEENS1_30default_config_static_selectorELNS0_4arch9wavefront6targetE0EEEvSR_: ; @_ZN7rocprim17ROCPRIM_400000_NS6detail17trampoline_kernelINS0_14default_configENS1_32segmented_reduce_config_selectorIN3c104HalfEEEZNS1_21segmented_reduce_implIS3_PKS6_PS6_PKlS6_N6hipcub16HIPCUB_304000_NS6detail27convert_result_type_wrapperISA_SB_N2at6native12_GLOBAL__N_19CustomSumEEEEE10hipError_tPvRmT0_T1_jT2_SS_T4_T3_P12ihipStream_tbEUlT_E_NS1_11comp_targetILNS1_3genE5ELNS1_11target_archE942ELNS1_3gpuE9ELNS1_3repE0EEENS1_30default_config_static_selectorELNS0_4arch9wavefront6targetE0EEEvSR_
; %bb.0:
	.section	.rodata,"a",@progbits
	.p2align	6, 0x0
	.amdhsa_kernel _ZN7rocprim17ROCPRIM_400000_NS6detail17trampoline_kernelINS0_14default_configENS1_32segmented_reduce_config_selectorIN3c104HalfEEEZNS1_21segmented_reduce_implIS3_PKS6_PS6_PKlS6_N6hipcub16HIPCUB_304000_NS6detail27convert_result_type_wrapperISA_SB_N2at6native12_GLOBAL__N_19CustomSumEEEEE10hipError_tPvRmT0_T1_jT2_SS_T4_T3_P12ihipStream_tbEUlT_E_NS1_11comp_targetILNS1_3genE5ELNS1_11target_archE942ELNS1_3gpuE9ELNS1_3repE0EEENS1_30default_config_static_selectorELNS0_4arch9wavefront6targetE0EEEvSR_
		.amdhsa_group_segment_fixed_size 0
		.amdhsa_private_segment_fixed_size 0
		.amdhsa_kernarg_size 48
		.amdhsa_user_sgpr_count 2
		.amdhsa_user_sgpr_dispatch_ptr 0
		.amdhsa_user_sgpr_queue_ptr 0
		.amdhsa_user_sgpr_kernarg_segment_ptr 1
		.amdhsa_user_sgpr_dispatch_id 0
		.amdhsa_user_sgpr_kernarg_preload_length 0
		.amdhsa_user_sgpr_kernarg_preload_offset 0
		.amdhsa_user_sgpr_private_segment_size 0
		.amdhsa_wavefront_size32 1
		.amdhsa_uses_dynamic_stack 0
		.amdhsa_enable_private_segment 0
		.amdhsa_system_sgpr_workgroup_id_x 1
		.amdhsa_system_sgpr_workgroup_id_y 0
		.amdhsa_system_sgpr_workgroup_id_z 0
		.amdhsa_system_sgpr_workgroup_info 0
		.amdhsa_system_vgpr_workitem_id 0
		.amdhsa_next_free_vgpr 1
		.amdhsa_next_free_sgpr 1
		.amdhsa_named_barrier_count 0
		.amdhsa_reserve_vcc 0
		.amdhsa_float_round_mode_32 0
		.amdhsa_float_round_mode_16_64 0
		.amdhsa_float_denorm_mode_32 3
		.amdhsa_float_denorm_mode_16_64 3
		.amdhsa_fp16_overflow 0
		.amdhsa_memory_ordered 1
		.amdhsa_forward_progress 1
		.amdhsa_inst_pref_size 0
		.amdhsa_round_robin_scheduling 0
		.amdhsa_exception_fp_ieee_invalid_op 0
		.amdhsa_exception_fp_denorm_src 0
		.amdhsa_exception_fp_ieee_div_zero 0
		.amdhsa_exception_fp_ieee_overflow 0
		.amdhsa_exception_fp_ieee_underflow 0
		.amdhsa_exception_fp_ieee_inexact 0
		.amdhsa_exception_int_div_zero 0
	.end_amdhsa_kernel
	.section	.text._ZN7rocprim17ROCPRIM_400000_NS6detail17trampoline_kernelINS0_14default_configENS1_32segmented_reduce_config_selectorIN3c104HalfEEEZNS1_21segmented_reduce_implIS3_PKS6_PS6_PKlS6_N6hipcub16HIPCUB_304000_NS6detail27convert_result_type_wrapperISA_SB_N2at6native12_GLOBAL__N_19CustomSumEEEEE10hipError_tPvRmT0_T1_jT2_SS_T4_T3_P12ihipStream_tbEUlT_E_NS1_11comp_targetILNS1_3genE5ELNS1_11target_archE942ELNS1_3gpuE9ELNS1_3repE0EEENS1_30default_config_static_selectorELNS0_4arch9wavefront6targetE0EEEvSR_,"axG",@progbits,_ZN7rocprim17ROCPRIM_400000_NS6detail17trampoline_kernelINS0_14default_configENS1_32segmented_reduce_config_selectorIN3c104HalfEEEZNS1_21segmented_reduce_implIS3_PKS6_PS6_PKlS6_N6hipcub16HIPCUB_304000_NS6detail27convert_result_type_wrapperISA_SB_N2at6native12_GLOBAL__N_19CustomSumEEEEE10hipError_tPvRmT0_T1_jT2_SS_T4_T3_P12ihipStream_tbEUlT_E_NS1_11comp_targetILNS1_3genE5ELNS1_11target_archE942ELNS1_3gpuE9ELNS1_3repE0EEENS1_30default_config_static_selectorELNS0_4arch9wavefront6targetE0EEEvSR_,comdat
.Lfunc_end222:
	.size	_ZN7rocprim17ROCPRIM_400000_NS6detail17trampoline_kernelINS0_14default_configENS1_32segmented_reduce_config_selectorIN3c104HalfEEEZNS1_21segmented_reduce_implIS3_PKS6_PS6_PKlS6_N6hipcub16HIPCUB_304000_NS6detail27convert_result_type_wrapperISA_SB_N2at6native12_GLOBAL__N_19CustomSumEEEEE10hipError_tPvRmT0_T1_jT2_SS_T4_T3_P12ihipStream_tbEUlT_E_NS1_11comp_targetILNS1_3genE5ELNS1_11target_archE942ELNS1_3gpuE9ELNS1_3repE0EEENS1_30default_config_static_selectorELNS0_4arch9wavefront6targetE0EEEvSR_, .Lfunc_end222-_ZN7rocprim17ROCPRIM_400000_NS6detail17trampoline_kernelINS0_14default_configENS1_32segmented_reduce_config_selectorIN3c104HalfEEEZNS1_21segmented_reduce_implIS3_PKS6_PS6_PKlS6_N6hipcub16HIPCUB_304000_NS6detail27convert_result_type_wrapperISA_SB_N2at6native12_GLOBAL__N_19CustomSumEEEEE10hipError_tPvRmT0_T1_jT2_SS_T4_T3_P12ihipStream_tbEUlT_E_NS1_11comp_targetILNS1_3genE5ELNS1_11target_archE942ELNS1_3gpuE9ELNS1_3repE0EEENS1_30default_config_static_selectorELNS0_4arch9wavefront6targetE0EEEvSR_
                                        ; -- End function
	.set _ZN7rocprim17ROCPRIM_400000_NS6detail17trampoline_kernelINS0_14default_configENS1_32segmented_reduce_config_selectorIN3c104HalfEEEZNS1_21segmented_reduce_implIS3_PKS6_PS6_PKlS6_N6hipcub16HIPCUB_304000_NS6detail27convert_result_type_wrapperISA_SB_N2at6native12_GLOBAL__N_19CustomSumEEEEE10hipError_tPvRmT0_T1_jT2_SS_T4_T3_P12ihipStream_tbEUlT_E_NS1_11comp_targetILNS1_3genE5ELNS1_11target_archE942ELNS1_3gpuE9ELNS1_3repE0EEENS1_30default_config_static_selectorELNS0_4arch9wavefront6targetE0EEEvSR_.num_vgpr, 0
	.set _ZN7rocprim17ROCPRIM_400000_NS6detail17trampoline_kernelINS0_14default_configENS1_32segmented_reduce_config_selectorIN3c104HalfEEEZNS1_21segmented_reduce_implIS3_PKS6_PS6_PKlS6_N6hipcub16HIPCUB_304000_NS6detail27convert_result_type_wrapperISA_SB_N2at6native12_GLOBAL__N_19CustomSumEEEEE10hipError_tPvRmT0_T1_jT2_SS_T4_T3_P12ihipStream_tbEUlT_E_NS1_11comp_targetILNS1_3genE5ELNS1_11target_archE942ELNS1_3gpuE9ELNS1_3repE0EEENS1_30default_config_static_selectorELNS0_4arch9wavefront6targetE0EEEvSR_.num_agpr, 0
	.set _ZN7rocprim17ROCPRIM_400000_NS6detail17trampoline_kernelINS0_14default_configENS1_32segmented_reduce_config_selectorIN3c104HalfEEEZNS1_21segmented_reduce_implIS3_PKS6_PS6_PKlS6_N6hipcub16HIPCUB_304000_NS6detail27convert_result_type_wrapperISA_SB_N2at6native12_GLOBAL__N_19CustomSumEEEEE10hipError_tPvRmT0_T1_jT2_SS_T4_T3_P12ihipStream_tbEUlT_E_NS1_11comp_targetILNS1_3genE5ELNS1_11target_archE942ELNS1_3gpuE9ELNS1_3repE0EEENS1_30default_config_static_selectorELNS0_4arch9wavefront6targetE0EEEvSR_.numbered_sgpr, 0
	.set _ZN7rocprim17ROCPRIM_400000_NS6detail17trampoline_kernelINS0_14default_configENS1_32segmented_reduce_config_selectorIN3c104HalfEEEZNS1_21segmented_reduce_implIS3_PKS6_PS6_PKlS6_N6hipcub16HIPCUB_304000_NS6detail27convert_result_type_wrapperISA_SB_N2at6native12_GLOBAL__N_19CustomSumEEEEE10hipError_tPvRmT0_T1_jT2_SS_T4_T3_P12ihipStream_tbEUlT_E_NS1_11comp_targetILNS1_3genE5ELNS1_11target_archE942ELNS1_3gpuE9ELNS1_3repE0EEENS1_30default_config_static_selectorELNS0_4arch9wavefront6targetE0EEEvSR_.num_named_barrier, 0
	.set _ZN7rocprim17ROCPRIM_400000_NS6detail17trampoline_kernelINS0_14default_configENS1_32segmented_reduce_config_selectorIN3c104HalfEEEZNS1_21segmented_reduce_implIS3_PKS6_PS6_PKlS6_N6hipcub16HIPCUB_304000_NS6detail27convert_result_type_wrapperISA_SB_N2at6native12_GLOBAL__N_19CustomSumEEEEE10hipError_tPvRmT0_T1_jT2_SS_T4_T3_P12ihipStream_tbEUlT_E_NS1_11comp_targetILNS1_3genE5ELNS1_11target_archE942ELNS1_3gpuE9ELNS1_3repE0EEENS1_30default_config_static_selectorELNS0_4arch9wavefront6targetE0EEEvSR_.private_seg_size, 0
	.set _ZN7rocprim17ROCPRIM_400000_NS6detail17trampoline_kernelINS0_14default_configENS1_32segmented_reduce_config_selectorIN3c104HalfEEEZNS1_21segmented_reduce_implIS3_PKS6_PS6_PKlS6_N6hipcub16HIPCUB_304000_NS6detail27convert_result_type_wrapperISA_SB_N2at6native12_GLOBAL__N_19CustomSumEEEEE10hipError_tPvRmT0_T1_jT2_SS_T4_T3_P12ihipStream_tbEUlT_E_NS1_11comp_targetILNS1_3genE5ELNS1_11target_archE942ELNS1_3gpuE9ELNS1_3repE0EEENS1_30default_config_static_selectorELNS0_4arch9wavefront6targetE0EEEvSR_.uses_vcc, 0
	.set _ZN7rocprim17ROCPRIM_400000_NS6detail17trampoline_kernelINS0_14default_configENS1_32segmented_reduce_config_selectorIN3c104HalfEEEZNS1_21segmented_reduce_implIS3_PKS6_PS6_PKlS6_N6hipcub16HIPCUB_304000_NS6detail27convert_result_type_wrapperISA_SB_N2at6native12_GLOBAL__N_19CustomSumEEEEE10hipError_tPvRmT0_T1_jT2_SS_T4_T3_P12ihipStream_tbEUlT_E_NS1_11comp_targetILNS1_3genE5ELNS1_11target_archE942ELNS1_3gpuE9ELNS1_3repE0EEENS1_30default_config_static_selectorELNS0_4arch9wavefront6targetE0EEEvSR_.uses_flat_scratch, 0
	.set _ZN7rocprim17ROCPRIM_400000_NS6detail17trampoline_kernelINS0_14default_configENS1_32segmented_reduce_config_selectorIN3c104HalfEEEZNS1_21segmented_reduce_implIS3_PKS6_PS6_PKlS6_N6hipcub16HIPCUB_304000_NS6detail27convert_result_type_wrapperISA_SB_N2at6native12_GLOBAL__N_19CustomSumEEEEE10hipError_tPvRmT0_T1_jT2_SS_T4_T3_P12ihipStream_tbEUlT_E_NS1_11comp_targetILNS1_3genE5ELNS1_11target_archE942ELNS1_3gpuE9ELNS1_3repE0EEENS1_30default_config_static_selectorELNS0_4arch9wavefront6targetE0EEEvSR_.has_dyn_sized_stack, 0
	.set _ZN7rocprim17ROCPRIM_400000_NS6detail17trampoline_kernelINS0_14default_configENS1_32segmented_reduce_config_selectorIN3c104HalfEEEZNS1_21segmented_reduce_implIS3_PKS6_PS6_PKlS6_N6hipcub16HIPCUB_304000_NS6detail27convert_result_type_wrapperISA_SB_N2at6native12_GLOBAL__N_19CustomSumEEEEE10hipError_tPvRmT0_T1_jT2_SS_T4_T3_P12ihipStream_tbEUlT_E_NS1_11comp_targetILNS1_3genE5ELNS1_11target_archE942ELNS1_3gpuE9ELNS1_3repE0EEENS1_30default_config_static_selectorELNS0_4arch9wavefront6targetE0EEEvSR_.has_recursion, 0
	.set _ZN7rocprim17ROCPRIM_400000_NS6detail17trampoline_kernelINS0_14default_configENS1_32segmented_reduce_config_selectorIN3c104HalfEEEZNS1_21segmented_reduce_implIS3_PKS6_PS6_PKlS6_N6hipcub16HIPCUB_304000_NS6detail27convert_result_type_wrapperISA_SB_N2at6native12_GLOBAL__N_19CustomSumEEEEE10hipError_tPvRmT0_T1_jT2_SS_T4_T3_P12ihipStream_tbEUlT_E_NS1_11comp_targetILNS1_3genE5ELNS1_11target_archE942ELNS1_3gpuE9ELNS1_3repE0EEENS1_30default_config_static_selectorELNS0_4arch9wavefront6targetE0EEEvSR_.has_indirect_call, 0
	.section	.AMDGPU.csdata,"",@progbits
; Kernel info:
; codeLenInByte = 0
; TotalNumSgprs: 0
; NumVgprs: 0
; ScratchSize: 0
; MemoryBound: 0
; FloatMode: 240
; IeeeMode: 1
; LDSByteSize: 0 bytes/workgroup (compile time only)
; SGPRBlocks: 0
; VGPRBlocks: 0
; NumSGPRsForWavesPerEU: 1
; NumVGPRsForWavesPerEU: 1
; NamedBarCnt: 0
; Occupancy: 16
; WaveLimiterHint : 0
; COMPUTE_PGM_RSRC2:SCRATCH_EN: 0
; COMPUTE_PGM_RSRC2:USER_SGPR: 2
; COMPUTE_PGM_RSRC2:TRAP_HANDLER: 0
; COMPUTE_PGM_RSRC2:TGID_X_EN: 1
; COMPUTE_PGM_RSRC2:TGID_Y_EN: 0
; COMPUTE_PGM_RSRC2:TGID_Z_EN: 0
; COMPUTE_PGM_RSRC2:TIDIG_COMP_CNT: 0
	.section	.text._ZN7rocprim17ROCPRIM_400000_NS6detail17trampoline_kernelINS0_14default_configENS1_32segmented_reduce_config_selectorIN3c104HalfEEEZNS1_21segmented_reduce_implIS3_PKS6_PS6_PKlS6_N6hipcub16HIPCUB_304000_NS6detail27convert_result_type_wrapperISA_SB_N2at6native12_GLOBAL__N_19CustomSumEEEEE10hipError_tPvRmT0_T1_jT2_SS_T4_T3_P12ihipStream_tbEUlT_E_NS1_11comp_targetILNS1_3genE10ELNS1_11target_archE1201ELNS1_3gpuE5ELNS1_3repE0EEENS1_30default_config_static_selectorELNS0_4arch9wavefront6targetE0EEEvSR_,"axG",@progbits,_ZN7rocprim17ROCPRIM_400000_NS6detail17trampoline_kernelINS0_14default_configENS1_32segmented_reduce_config_selectorIN3c104HalfEEEZNS1_21segmented_reduce_implIS3_PKS6_PS6_PKlS6_N6hipcub16HIPCUB_304000_NS6detail27convert_result_type_wrapperISA_SB_N2at6native12_GLOBAL__N_19CustomSumEEEEE10hipError_tPvRmT0_T1_jT2_SS_T4_T3_P12ihipStream_tbEUlT_E_NS1_11comp_targetILNS1_3genE10ELNS1_11target_archE1201ELNS1_3gpuE5ELNS1_3repE0EEENS1_30default_config_static_selectorELNS0_4arch9wavefront6targetE0EEEvSR_,comdat
	.globl	_ZN7rocprim17ROCPRIM_400000_NS6detail17trampoline_kernelINS0_14default_configENS1_32segmented_reduce_config_selectorIN3c104HalfEEEZNS1_21segmented_reduce_implIS3_PKS6_PS6_PKlS6_N6hipcub16HIPCUB_304000_NS6detail27convert_result_type_wrapperISA_SB_N2at6native12_GLOBAL__N_19CustomSumEEEEE10hipError_tPvRmT0_T1_jT2_SS_T4_T3_P12ihipStream_tbEUlT_E_NS1_11comp_targetILNS1_3genE10ELNS1_11target_archE1201ELNS1_3gpuE5ELNS1_3repE0EEENS1_30default_config_static_selectorELNS0_4arch9wavefront6targetE0EEEvSR_ ; -- Begin function _ZN7rocprim17ROCPRIM_400000_NS6detail17trampoline_kernelINS0_14default_configENS1_32segmented_reduce_config_selectorIN3c104HalfEEEZNS1_21segmented_reduce_implIS3_PKS6_PS6_PKlS6_N6hipcub16HIPCUB_304000_NS6detail27convert_result_type_wrapperISA_SB_N2at6native12_GLOBAL__N_19CustomSumEEEEE10hipError_tPvRmT0_T1_jT2_SS_T4_T3_P12ihipStream_tbEUlT_E_NS1_11comp_targetILNS1_3genE10ELNS1_11target_archE1201ELNS1_3gpuE5ELNS1_3repE0EEENS1_30default_config_static_selectorELNS0_4arch9wavefront6targetE0EEEvSR_
	.p2align	8
	.type	_ZN7rocprim17ROCPRIM_400000_NS6detail17trampoline_kernelINS0_14default_configENS1_32segmented_reduce_config_selectorIN3c104HalfEEEZNS1_21segmented_reduce_implIS3_PKS6_PS6_PKlS6_N6hipcub16HIPCUB_304000_NS6detail27convert_result_type_wrapperISA_SB_N2at6native12_GLOBAL__N_19CustomSumEEEEE10hipError_tPvRmT0_T1_jT2_SS_T4_T3_P12ihipStream_tbEUlT_E_NS1_11comp_targetILNS1_3genE10ELNS1_11target_archE1201ELNS1_3gpuE5ELNS1_3repE0EEENS1_30default_config_static_selectorELNS0_4arch9wavefront6targetE0EEEvSR_,@function
_ZN7rocprim17ROCPRIM_400000_NS6detail17trampoline_kernelINS0_14default_configENS1_32segmented_reduce_config_selectorIN3c104HalfEEEZNS1_21segmented_reduce_implIS3_PKS6_PS6_PKlS6_N6hipcub16HIPCUB_304000_NS6detail27convert_result_type_wrapperISA_SB_N2at6native12_GLOBAL__N_19CustomSumEEEEE10hipError_tPvRmT0_T1_jT2_SS_T4_T3_P12ihipStream_tbEUlT_E_NS1_11comp_targetILNS1_3genE10ELNS1_11target_archE1201ELNS1_3gpuE5ELNS1_3repE0EEENS1_30default_config_static_selectorELNS0_4arch9wavefront6targetE0EEEvSR_: ; @_ZN7rocprim17ROCPRIM_400000_NS6detail17trampoline_kernelINS0_14default_configENS1_32segmented_reduce_config_selectorIN3c104HalfEEEZNS1_21segmented_reduce_implIS3_PKS6_PS6_PKlS6_N6hipcub16HIPCUB_304000_NS6detail27convert_result_type_wrapperISA_SB_N2at6native12_GLOBAL__N_19CustomSumEEEEE10hipError_tPvRmT0_T1_jT2_SS_T4_T3_P12ihipStream_tbEUlT_E_NS1_11comp_targetILNS1_3genE10ELNS1_11target_archE1201ELNS1_3gpuE5ELNS1_3repE0EEENS1_30default_config_static_selectorELNS0_4arch9wavefront6targetE0EEEvSR_
; %bb.0:
	.section	.rodata,"a",@progbits
	.p2align	6, 0x0
	.amdhsa_kernel _ZN7rocprim17ROCPRIM_400000_NS6detail17trampoline_kernelINS0_14default_configENS1_32segmented_reduce_config_selectorIN3c104HalfEEEZNS1_21segmented_reduce_implIS3_PKS6_PS6_PKlS6_N6hipcub16HIPCUB_304000_NS6detail27convert_result_type_wrapperISA_SB_N2at6native12_GLOBAL__N_19CustomSumEEEEE10hipError_tPvRmT0_T1_jT2_SS_T4_T3_P12ihipStream_tbEUlT_E_NS1_11comp_targetILNS1_3genE10ELNS1_11target_archE1201ELNS1_3gpuE5ELNS1_3repE0EEENS1_30default_config_static_selectorELNS0_4arch9wavefront6targetE0EEEvSR_
		.amdhsa_group_segment_fixed_size 0
		.amdhsa_private_segment_fixed_size 0
		.amdhsa_kernarg_size 48
		.amdhsa_user_sgpr_count 2
		.amdhsa_user_sgpr_dispatch_ptr 0
		.amdhsa_user_sgpr_queue_ptr 0
		.amdhsa_user_sgpr_kernarg_segment_ptr 1
		.amdhsa_user_sgpr_dispatch_id 0
		.amdhsa_user_sgpr_kernarg_preload_length 0
		.amdhsa_user_sgpr_kernarg_preload_offset 0
		.amdhsa_user_sgpr_private_segment_size 0
		.amdhsa_wavefront_size32 1
		.amdhsa_uses_dynamic_stack 0
		.amdhsa_enable_private_segment 0
		.amdhsa_system_sgpr_workgroup_id_x 1
		.amdhsa_system_sgpr_workgroup_id_y 0
		.amdhsa_system_sgpr_workgroup_id_z 0
		.amdhsa_system_sgpr_workgroup_info 0
		.amdhsa_system_vgpr_workitem_id 0
		.amdhsa_next_free_vgpr 1
		.amdhsa_next_free_sgpr 1
		.amdhsa_named_barrier_count 0
		.amdhsa_reserve_vcc 0
		.amdhsa_float_round_mode_32 0
		.amdhsa_float_round_mode_16_64 0
		.amdhsa_float_denorm_mode_32 3
		.amdhsa_float_denorm_mode_16_64 3
		.amdhsa_fp16_overflow 0
		.amdhsa_memory_ordered 1
		.amdhsa_forward_progress 1
		.amdhsa_inst_pref_size 0
		.amdhsa_round_robin_scheduling 0
		.amdhsa_exception_fp_ieee_invalid_op 0
		.amdhsa_exception_fp_denorm_src 0
		.amdhsa_exception_fp_ieee_div_zero 0
		.amdhsa_exception_fp_ieee_overflow 0
		.amdhsa_exception_fp_ieee_underflow 0
		.amdhsa_exception_fp_ieee_inexact 0
		.amdhsa_exception_int_div_zero 0
	.end_amdhsa_kernel
	.section	.text._ZN7rocprim17ROCPRIM_400000_NS6detail17trampoline_kernelINS0_14default_configENS1_32segmented_reduce_config_selectorIN3c104HalfEEEZNS1_21segmented_reduce_implIS3_PKS6_PS6_PKlS6_N6hipcub16HIPCUB_304000_NS6detail27convert_result_type_wrapperISA_SB_N2at6native12_GLOBAL__N_19CustomSumEEEEE10hipError_tPvRmT0_T1_jT2_SS_T4_T3_P12ihipStream_tbEUlT_E_NS1_11comp_targetILNS1_3genE10ELNS1_11target_archE1201ELNS1_3gpuE5ELNS1_3repE0EEENS1_30default_config_static_selectorELNS0_4arch9wavefront6targetE0EEEvSR_,"axG",@progbits,_ZN7rocprim17ROCPRIM_400000_NS6detail17trampoline_kernelINS0_14default_configENS1_32segmented_reduce_config_selectorIN3c104HalfEEEZNS1_21segmented_reduce_implIS3_PKS6_PS6_PKlS6_N6hipcub16HIPCUB_304000_NS6detail27convert_result_type_wrapperISA_SB_N2at6native12_GLOBAL__N_19CustomSumEEEEE10hipError_tPvRmT0_T1_jT2_SS_T4_T3_P12ihipStream_tbEUlT_E_NS1_11comp_targetILNS1_3genE10ELNS1_11target_archE1201ELNS1_3gpuE5ELNS1_3repE0EEENS1_30default_config_static_selectorELNS0_4arch9wavefront6targetE0EEEvSR_,comdat
.Lfunc_end223:
	.size	_ZN7rocprim17ROCPRIM_400000_NS6detail17trampoline_kernelINS0_14default_configENS1_32segmented_reduce_config_selectorIN3c104HalfEEEZNS1_21segmented_reduce_implIS3_PKS6_PS6_PKlS6_N6hipcub16HIPCUB_304000_NS6detail27convert_result_type_wrapperISA_SB_N2at6native12_GLOBAL__N_19CustomSumEEEEE10hipError_tPvRmT0_T1_jT2_SS_T4_T3_P12ihipStream_tbEUlT_E_NS1_11comp_targetILNS1_3genE10ELNS1_11target_archE1201ELNS1_3gpuE5ELNS1_3repE0EEENS1_30default_config_static_selectorELNS0_4arch9wavefront6targetE0EEEvSR_, .Lfunc_end223-_ZN7rocprim17ROCPRIM_400000_NS6detail17trampoline_kernelINS0_14default_configENS1_32segmented_reduce_config_selectorIN3c104HalfEEEZNS1_21segmented_reduce_implIS3_PKS6_PS6_PKlS6_N6hipcub16HIPCUB_304000_NS6detail27convert_result_type_wrapperISA_SB_N2at6native12_GLOBAL__N_19CustomSumEEEEE10hipError_tPvRmT0_T1_jT2_SS_T4_T3_P12ihipStream_tbEUlT_E_NS1_11comp_targetILNS1_3genE10ELNS1_11target_archE1201ELNS1_3gpuE5ELNS1_3repE0EEENS1_30default_config_static_selectorELNS0_4arch9wavefront6targetE0EEEvSR_
                                        ; -- End function
	.set _ZN7rocprim17ROCPRIM_400000_NS6detail17trampoline_kernelINS0_14default_configENS1_32segmented_reduce_config_selectorIN3c104HalfEEEZNS1_21segmented_reduce_implIS3_PKS6_PS6_PKlS6_N6hipcub16HIPCUB_304000_NS6detail27convert_result_type_wrapperISA_SB_N2at6native12_GLOBAL__N_19CustomSumEEEEE10hipError_tPvRmT0_T1_jT2_SS_T4_T3_P12ihipStream_tbEUlT_E_NS1_11comp_targetILNS1_3genE10ELNS1_11target_archE1201ELNS1_3gpuE5ELNS1_3repE0EEENS1_30default_config_static_selectorELNS0_4arch9wavefront6targetE0EEEvSR_.num_vgpr, 0
	.set _ZN7rocprim17ROCPRIM_400000_NS6detail17trampoline_kernelINS0_14default_configENS1_32segmented_reduce_config_selectorIN3c104HalfEEEZNS1_21segmented_reduce_implIS3_PKS6_PS6_PKlS6_N6hipcub16HIPCUB_304000_NS6detail27convert_result_type_wrapperISA_SB_N2at6native12_GLOBAL__N_19CustomSumEEEEE10hipError_tPvRmT0_T1_jT2_SS_T4_T3_P12ihipStream_tbEUlT_E_NS1_11comp_targetILNS1_3genE10ELNS1_11target_archE1201ELNS1_3gpuE5ELNS1_3repE0EEENS1_30default_config_static_selectorELNS0_4arch9wavefront6targetE0EEEvSR_.num_agpr, 0
	.set _ZN7rocprim17ROCPRIM_400000_NS6detail17trampoline_kernelINS0_14default_configENS1_32segmented_reduce_config_selectorIN3c104HalfEEEZNS1_21segmented_reduce_implIS3_PKS6_PS6_PKlS6_N6hipcub16HIPCUB_304000_NS6detail27convert_result_type_wrapperISA_SB_N2at6native12_GLOBAL__N_19CustomSumEEEEE10hipError_tPvRmT0_T1_jT2_SS_T4_T3_P12ihipStream_tbEUlT_E_NS1_11comp_targetILNS1_3genE10ELNS1_11target_archE1201ELNS1_3gpuE5ELNS1_3repE0EEENS1_30default_config_static_selectorELNS0_4arch9wavefront6targetE0EEEvSR_.numbered_sgpr, 0
	.set _ZN7rocprim17ROCPRIM_400000_NS6detail17trampoline_kernelINS0_14default_configENS1_32segmented_reduce_config_selectorIN3c104HalfEEEZNS1_21segmented_reduce_implIS3_PKS6_PS6_PKlS6_N6hipcub16HIPCUB_304000_NS6detail27convert_result_type_wrapperISA_SB_N2at6native12_GLOBAL__N_19CustomSumEEEEE10hipError_tPvRmT0_T1_jT2_SS_T4_T3_P12ihipStream_tbEUlT_E_NS1_11comp_targetILNS1_3genE10ELNS1_11target_archE1201ELNS1_3gpuE5ELNS1_3repE0EEENS1_30default_config_static_selectorELNS0_4arch9wavefront6targetE0EEEvSR_.num_named_barrier, 0
	.set _ZN7rocprim17ROCPRIM_400000_NS6detail17trampoline_kernelINS0_14default_configENS1_32segmented_reduce_config_selectorIN3c104HalfEEEZNS1_21segmented_reduce_implIS3_PKS6_PS6_PKlS6_N6hipcub16HIPCUB_304000_NS6detail27convert_result_type_wrapperISA_SB_N2at6native12_GLOBAL__N_19CustomSumEEEEE10hipError_tPvRmT0_T1_jT2_SS_T4_T3_P12ihipStream_tbEUlT_E_NS1_11comp_targetILNS1_3genE10ELNS1_11target_archE1201ELNS1_3gpuE5ELNS1_3repE0EEENS1_30default_config_static_selectorELNS0_4arch9wavefront6targetE0EEEvSR_.private_seg_size, 0
	.set _ZN7rocprim17ROCPRIM_400000_NS6detail17trampoline_kernelINS0_14default_configENS1_32segmented_reduce_config_selectorIN3c104HalfEEEZNS1_21segmented_reduce_implIS3_PKS6_PS6_PKlS6_N6hipcub16HIPCUB_304000_NS6detail27convert_result_type_wrapperISA_SB_N2at6native12_GLOBAL__N_19CustomSumEEEEE10hipError_tPvRmT0_T1_jT2_SS_T4_T3_P12ihipStream_tbEUlT_E_NS1_11comp_targetILNS1_3genE10ELNS1_11target_archE1201ELNS1_3gpuE5ELNS1_3repE0EEENS1_30default_config_static_selectorELNS0_4arch9wavefront6targetE0EEEvSR_.uses_vcc, 0
	.set _ZN7rocprim17ROCPRIM_400000_NS6detail17trampoline_kernelINS0_14default_configENS1_32segmented_reduce_config_selectorIN3c104HalfEEEZNS1_21segmented_reduce_implIS3_PKS6_PS6_PKlS6_N6hipcub16HIPCUB_304000_NS6detail27convert_result_type_wrapperISA_SB_N2at6native12_GLOBAL__N_19CustomSumEEEEE10hipError_tPvRmT0_T1_jT2_SS_T4_T3_P12ihipStream_tbEUlT_E_NS1_11comp_targetILNS1_3genE10ELNS1_11target_archE1201ELNS1_3gpuE5ELNS1_3repE0EEENS1_30default_config_static_selectorELNS0_4arch9wavefront6targetE0EEEvSR_.uses_flat_scratch, 0
	.set _ZN7rocprim17ROCPRIM_400000_NS6detail17trampoline_kernelINS0_14default_configENS1_32segmented_reduce_config_selectorIN3c104HalfEEEZNS1_21segmented_reduce_implIS3_PKS6_PS6_PKlS6_N6hipcub16HIPCUB_304000_NS6detail27convert_result_type_wrapperISA_SB_N2at6native12_GLOBAL__N_19CustomSumEEEEE10hipError_tPvRmT0_T1_jT2_SS_T4_T3_P12ihipStream_tbEUlT_E_NS1_11comp_targetILNS1_3genE10ELNS1_11target_archE1201ELNS1_3gpuE5ELNS1_3repE0EEENS1_30default_config_static_selectorELNS0_4arch9wavefront6targetE0EEEvSR_.has_dyn_sized_stack, 0
	.set _ZN7rocprim17ROCPRIM_400000_NS6detail17trampoline_kernelINS0_14default_configENS1_32segmented_reduce_config_selectorIN3c104HalfEEEZNS1_21segmented_reduce_implIS3_PKS6_PS6_PKlS6_N6hipcub16HIPCUB_304000_NS6detail27convert_result_type_wrapperISA_SB_N2at6native12_GLOBAL__N_19CustomSumEEEEE10hipError_tPvRmT0_T1_jT2_SS_T4_T3_P12ihipStream_tbEUlT_E_NS1_11comp_targetILNS1_3genE10ELNS1_11target_archE1201ELNS1_3gpuE5ELNS1_3repE0EEENS1_30default_config_static_selectorELNS0_4arch9wavefront6targetE0EEEvSR_.has_recursion, 0
	.set _ZN7rocprim17ROCPRIM_400000_NS6detail17trampoline_kernelINS0_14default_configENS1_32segmented_reduce_config_selectorIN3c104HalfEEEZNS1_21segmented_reduce_implIS3_PKS6_PS6_PKlS6_N6hipcub16HIPCUB_304000_NS6detail27convert_result_type_wrapperISA_SB_N2at6native12_GLOBAL__N_19CustomSumEEEEE10hipError_tPvRmT0_T1_jT2_SS_T4_T3_P12ihipStream_tbEUlT_E_NS1_11comp_targetILNS1_3genE10ELNS1_11target_archE1201ELNS1_3gpuE5ELNS1_3repE0EEENS1_30default_config_static_selectorELNS0_4arch9wavefront6targetE0EEEvSR_.has_indirect_call, 0
	.section	.AMDGPU.csdata,"",@progbits
; Kernel info:
; codeLenInByte = 0
; TotalNumSgprs: 0
; NumVgprs: 0
; ScratchSize: 0
; MemoryBound: 0
; FloatMode: 240
; IeeeMode: 1
; LDSByteSize: 0 bytes/workgroup (compile time only)
; SGPRBlocks: 0
; VGPRBlocks: 0
; NumSGPRsForWavesPerEU: 1
; NumVGPRsForWavesPerEU: 1
; NamedBarCnt: 0
; Occupancy: 16
; WaveLimiterHint : 0
; COMPUTE_PGM_RSRC2:SCRATCH_EN: 0
; COMPUTE_PGM_RSRC2:USER_SGPR: 2
; COMPUTE_PGM_RSRC2:TRAP_HANDLER: 0
; COMPUTE_PGM_RSRC2:TGID_X_EN: 1
; COMPUTE_PGM_RSRC2:TGID_Y_EN: 0
; COMPUTE_PGM_RSRC2:TGID_Z_EN: 0
; COMPUTE_PGM_RSRC2:TIDIG_COMP_CNT: 0
	.section	.text._ZN7rocprim17ROCPRIM_400000_NS6detail17trampoline_kernelINS0_14default_configENS1_32segmented_reduce_config_selectorIN3c104HalfEEEZNS1_21segmented_reduce_implIS3_PKS6_PS6_PKlS6_N6hipcub16HIPCUB_304000_NS6detail27convert_result_type_wrapperISA_SB_N2at6native12_GLOBAL__N_19CustomSumEEEEE10hipError_tPvRmT0_T1_jT2_SS_T4_T3_P12ihipStream_tbEUlT_E_NS1_11comp_targetILNS1_3genE4ELNS1_11target_archE910ELNS1_3gpuE8ELNS1_3repE0EEENS1_30default_config_static_selectorELNS0_4arch9wavefront6targetE0EEEvSR_,"axG",@progbits,_ZN7rocprim17ROCPRIM_400000_NS6detail17trampoline_kernelINS0_14default_configENS1_32segmented_reduce_config_selectorIN3c104HalfEEEZNS1_21segmented_reduce_implIS3_PKS6_PS6_PKlS6_N6hipcub16HIPCUB_304000_NS6detail27convert_result_type_wrapperISA_SB_N2at6native12_GLOBAL__N_19CustomSumEEEEE10hipError_tPvRmT0_T1_jT2_SS_T4_T3_P12ihipStream_tbEUlT_E_NS1_11comp_targetILNS1_3genE4ELNS1_11target_archE910ELNS1_3gpuE8ELNS1_3repE0EEENS1_30default_config_static_selectorELNS0_4arch9wavefront6targetE0EEEvSR_,comdat
	.globl	_ZN7rocprim17ROCPRIM_400000_NS6detail17trampoline_kernelINS0_14default_configENS1_32segmented_reduce_config_selectorIN3c104HalfEEEZNS1_21segmented_reduce_implIS3_PKS6_PS6_PKlS6_N6hipcub16HIPCUB_304000_NS6detail27convert_result_type_wrapperISA_SB_N2at6native12_GLOBAL__N_19CustomSumEEEEE10hipError_tPvRmT0_T1_jT2_SS_T4_T3_P12ihipStream_tbEUlT_E_NS1_11comp_targetILNS1_3genE4ELNS1_11target_archE910ELNS1_3gpuE8ELNS1_3repE0EEENS1_30default_config_static_selectorELNS0_4arch9wavefront6targetE0EEEvSR_ ; -- Begin function _ZN7rocprim17ROCPRIM_400000_NS6detail17trampoline_kernelINS0_14default_configENS1_32segmented_reduce_config_selectorIN3c104HalfEEEZNS1_21segmented_reduce_implIS3_PKS6_PS6_PKlS6_N6hipcub16HIPCUB_304000_NS6detail27convert_result_type_wrapperISA_SB_N2at6native12_GLOBAL__N_19CustomSumEEEEE10hipError_tPvRmT0_T1_jT2_SS_T4_T3_P12ihipStream_tbEUlT_E_NS1_11comp_targetILNS1_3genE4ELNS1_11target_archE910ELNS1_3gpuE8ELNS1_3repE0EEENS1_30default_config_static_selectorELNS0_4arch9wavefront6targetE0EEEvSR_
	.p2align	8
	.type	_ZN7rocprim17ROCPRIM_400000_NS6detail17trampoline_kernelINS0_14default_configENS1_32segmented_reduce_config_selectorIN3c104HalfEEEZNS1_21segmented_reduce_implIS3_PKS6_PS6_PKlS6_N6hipcub16HIPCUB_304000_NS6detail27convert_result_type_wrapperISA_SB_N2at6native12_GLOBAL__N_19CustomSumEEEEE10hipError_tPvRmT0_T1_jT2_SS_T4_T3_P12ihipStream_tbEUlT_E_NS1_11comp_targetILNS1_3genE4ELNS1_11target_archE910ELNS1_3gpuE8ELNS1_3repE0EEENS1_30default_config_static_selectorELNS0_4arch9wavefront6targetE0EEEvSR_,@function
_ZN7rocprim17ROCPRIM_400000_NS6detail17trampoline_kernelINS0_14default_configENS1_32segmented_reduce_config_selectorIN3c104HalfEEEZNS1_21segmented_reduce_implIS3_PKS6_PS6_PKlS6_N6hipcub16HIPCUB_304000_NS6detail27convert_result_type_wrapperISA_SB_N2at6native12_GLOBAL__N_19CustomSumEEEEE10hipError_tPvRmT0_T1_jT2_SS_T4_T3_P12ihipStream_tbEUlT_E_NS1_11comp_targetILNS1_3genE4ELNS1_11target_archE910ELNS1_3gpuE8ELNS1_3repE0EEENS1_30default_config_static_selectorELNS0_4arch9wavefront6targetE0EEEvSR_: ; @_ZN7rocprim17ROCPRIM_400000_NS6detail17trampoline_kernelINS0_14default_configENS1_32segmented_reduce_config_selectorIN3c104HalfEEEZNS1_21segmented_reduce_implIS3_PKS6_PS6_PKlS6_N6hipcub16HIPCUB_304000_NS6detail27convert_result_type_wrapperISA_SB_N2at6native12_GLOBAL__N_19CustomSumEEEEE10hipError_tPvRmT0_T1_jT2_SS_T4_T3_P12ihipStream_tbEUlT_E_NS1_11comp_targetILNS1_3genE4ELNS1_11target_archE910ELNS1_3gpuE8ELNS1_3repE0EEENS1_30default_config_static_selectorELNS0_4arch9wavefront6targetE0EEEvSR_
; %bb.0:
	.section	.rodata,"a",@progbits
	.p2align	6, 0x0
	.amdhsa_kernel _ZN7rocprim17ROCPRIM_400000_NS6detail17trampoline_kernelINS0_14default_configENS1_32segmented_reduce_config_selectorIN3c104HalfEEEZNS1_21segmented_reduce_implIS3_PKS6_PS6_PKlS6_N6hipcub16HIPCUB_304000_NS6detail27convert_result_type_wrapperISA_SB_N2at6native12_GLOBAL__N_19CustomSumEEEEE10hipError_tPvRmT0_T1_jT2_SS_T4_T3_P12ihipStream_tbEUlT_E_NS1_11comp_targetILNS1_3genE4ELNS1_11target_archE910ELNS1_3gpuE8ELNS1_3repE0EEENS1_30default_config_static_selectorELNS0_4arch9wavefront6targetE0EEEvSR_
		.amdhsa_group_segment_fixed_size 0
		.amdhsa_private_segment_fixed_size 0
		.amdhsa_kernarg_size 48
		.amdhsa_user_sgpr_count 2
		.amdhsa_user_sgpr_dispatch_ptr 0
		.amdhsa_user_sgpr_queue_ptr 0
		.amdhsa_user_sgpr_kernarg_segment_ptr 1
		.amdhsa_user_sgpr_dispatch_id 0
		.amdhsa_user_sgpr_kernarg_preload_length 0
		.amdhsa_user_sgpr_kernarg_preload_offset 0
		.amdhsa_user_sgpr_private_segment_size 0
		.amdhsa_wavefront_size32 1
		.amdhsa_uses_dynamic_stack 0
		.amdhsa_enable_private_segment 0
		.amdhsa_system_sgpr_workgroup_id_x 1
		.amdhsa_system_sgpr_workgroup_id_y 0
		.amdhsa_system_sgpr_workgroup_id_z 0
		.amdhsa_system_sgpr_workgroup_info 0
		.amdhsa_system_vgpr_workitem_id 0
		.amdhsa_next_free_vgpr 1
		.amdhsa_next_free_sgpr 1
		.amdhsa_named_barrier_count 0
		.amdhsa_reserve_vcc 0
		.amdhsa_float_round_mode_32 0
		.amdhsa_float_round_mode_16_64 0
		.amdhsa_float_denorm_mode_32 3
		.amdhsa_float_denorm_mode_16_64 3
		.amdhsa_fp16_overflow 0
		.amdhsa_memory_ordered 1
		.amdhsa_forward_progress 1
		.amdhsa_inst_pref_size 0
		.amdhsa_round_robin_scheduling 0
		.amdhsa_exception_fp_ieee_invalid_op 0
		.amdhsa_exception_fp_denorm_src 0
		.amdhsa_exception_fp_ieee_div_zero 0
		.amdhsa_exception_fp_ieee_overflow 0
		.amdhsa_exception_fp_ieee_underflow 0
		.amdhsa_exception_fp_ieee_inexact 0
		.amdhsa_exception_int_div_zero 0
	.end_amdhsa_kernel
	.section	.text._ZN7rocprim17ROCPRIM_400000_NS6detail17trampoline_kernelINS0_14default_configENS1_32segmented_reduce_config_selectorIN3c104HalfEEEZNS1_21segmented_reduce_implIS3_PKS6_PS6_PKlS6_N6hipcub16HIPCUB_304000_NS6detail27convert_result_type_wrapperISA_SB_N2at6native12_GLOBAL__N_19CustomSumEEEEE10hipError_tPvRmT0_T1_jT2_SS_T4_T3_P12ihipStream_tbEUlT_E_NS1_11comp_targetILNS1_3genE4ELNS1_11target_archE910ELNS1_3gpuE8ELNS1_3repE0EEENS1_30default_config_static_selectorELNS0_4arch9wavefront6targetE0EEEvSR_,"axG",@progbits,_ZN7rocprim17ROCPRIM_400000_NS6detail17trampoline_kernelINS0_14default_configENS1_32segmented_reduce_config_selectorIN3c104HalfEEEZNS1_21segmented_reduce_implIS3_PKS6_PS6_PKlS6_N6hipcub16HIPCUB_304000_NS6detail27convert_result_type_wrapperISA_SB_N2at6native12_GLOBAL__N_19CustomSumEEEEE10hipError_tPvRmT0_T1_jT2_SS_T4_T3_P12ihipStream_tbEUlT_E_NS1_11comp_targetILNS1_3genE4ELNS1_11target_archE910ELNS1_3gpuE8ELNS1_3repE0EEENS1_30default_config_static_selectorELNS0_4arch9wavefront6targetE0EEEvSR_,comdat
.Lfunc_end224:
	.size	_ZN7rocprim17ROCPRIM_400000_NS6detail17trampoline_kernelINS0_14default_configENS1_32segmented_reduce_config_selectorIN3c104HalfEEEZNS1_21segmented_reduce_implIS3_PKS6_PS6_PKlS6_N6hipcub16HIPCUB_304000_NS6detail27convert_result_type_wrapperISA_SB_N2at6native12_GLOBAL__N_19CustomSumEEEEE10hipError_tPvRmT0_T1_jT2_SS_T4_T3_P12ihipStream_tbEUlT_E_NS1_11comp_targetILNS1_3genE4ELNS1_11target_archE910ELNS1_3gpuE8ELNS1_3repE0EEENS1_30default_config_static_selectorELNS0_4arch9wavefront6targetE0EEEvSR_, .Lfunc_end224-_ZN7rocprim17ROCPRIM_400000_NS6detail17trampoline_kernelINS0_14default_configENS1_32segmented_reduce_config_selectorIN3c104HalfEEEZNS1_21segmented_reduce_implIS3_PKS6_PS6_PKlS6_N6hipcub16HIPCUB_304000_NS6detail27convert_result_type_wrapperISA_SB_N2at6native12_GLOBAL__N_19CustomSumEEEEE10hipError_tPvRmT0_T1_jT2_SS_T4_T3_P12ihipStream_tbEUlT_E_NS1_11comp_targetILNS1_3genE4ELNS1_11target_archE910ELNS1_3gpuE8ELNS1_3repE0EEENS1_30default_config_static_selectorELNS0_4arch9wavefront6targetE0EEEvSR_
                                        ; -- End function
	.set _ZN7rocprim17ROCPRIM_400000_NS6detail17trampoline_kernelINS0_14default_configENS1_32segmented_reduce_config_selectorIN3c104HalfEEEZNS1_21segmented_reduce_implIS3_PKS6_PS6_PKlS6_N6hipcub16HIPCUB_304000_NS6detail27convert_result_type_wrapperISA_SB_N2at6native12_GLOBAL__N_19CustomSumEEEEE10hipError_tPvRmT0_T1_jT2_SS_T4_T3_P12ihipStream_tbEUlT_E_NS1_11comp_targetILNS1_3genE4ELNS1_11target_archE910ELNS1_3gpuE8ELNS1_3repE0EEENS1_30default_config_static_selectorELNS0_4arch9wavefront6targetE0EEEvSR_.num_vgpr, 0
	.set _ZN7rocprim17ROCPRIM_400000_NS6detail17trampoline_kernelINS0_14default_configENS1_32segmented_reduce_config_selectorIN3c104HalfEEEZNS1_21segmented_reduce_implIS3_PKS6_PS6_PKlS6_N6hipcub16HIPCUB_304000_NS6detail27convert_result_type_wrapperISA_SB_N2at6native12_GLOBAL__N_19CustomSumEEEEE10hipError_tPvRmT0_T1_jT2_SS_T4_T3_P12ihipStream_tbEUlT_E_NS1_11comp_targetILNS1_3genE4ELNS1_11target_archE910ELNS1_3gpuE8ELNS1_3repE0EEENS1_30default_config_static_selectorELNS0_4arch9wavefront6targetE0EEEvSR_.num_agpr, 0
	.set _ZN7rocprim17ROCPRIM_400000_NS6detail17trampoline_kernelINS0_14default_configENS1_32segmented_reduce_config_selectorIN3c104HalfEEEZNS1_21segmented_reduce_implIS3_PKS6_PS6_PKlS6_N6hipcub16HIPCUB_304000_NS6detail27convert_result_type_wrapperISA_SB_N2at6native12_GLOBAL__N_19CustomSumEEEEE10hipError_tPvRmT0_T1_jT2_SS_T4_T3_P12ihipStream_tbEUlT_E_NS1_11comp_targetILNS1_3genE4ELNS1_11target_archE910ELNS1_3gpuE8ELNS1_3repE0EEENS1_30default_config_static_selectorELNS0_4arch9wavefront6targetE0EEEvSR_.numbered_sgpr, 0
	.set _ZN7rocprim17ROCPRIM_400000_NS6detail17trampoline_kernelINS0_14default_configENS1_32segmented_reduce_config_selectorIN3c104HalfEEEZNS1_21segmented_reduce_implIS3_PKS6_PS6_PKlS6_N6hipcub16HIPCUB_304000_NS6detail27convert_result_type_wrapperISA_SB_N2at6native12_GLOBAL__N_19CustomSumEEEEE10hipError_tPvRmT0_T1_jT2_SS_T4_T3_P12ihipStream_tbEUlT_E_NS1_11comp_targetILNS1_3genE4ELNS1_11target_archE910ELNS1_3gpuE8ELNS1_3repE0EEENS1_30default_config_static_selectorELNS0_4arch9wavefront6targetE0EEEvSR_.num_named_barrier, 0
	.set _ZN7rocprim17ROCPRIM_400000_NS6detail17trampoline_kernelINS0_14default_configENS1_32segmented_reduce_config_selectorIN3c104HalfEEEZNS1_21segmented_reduce_implIS3_PKS6_PS6_PKlS6_N6hipcub16HIPCUB_304000_NS6detail27convert_result_type_wrapperISA_SB_N2at6native12_GLOBAL__N_19CustomSumEEEEE10hipError_tPvRmT0_T1_jT2_SS_T4_T3_P12ihipStream_tbEUlT_E_NS1_11comp_targetILNS1_3genE4ELNS1_11target_archE910ELNS1_3gpuE8ELNS1_3repE0EEENS1_30default_config_static_selectorELNS0_4arch9wavefront6targetE0EEEvSR_.private_seg_size, 0
	.set _ZN7rocprim17ROCPRIM_400000_NS6detail17trampoline_kernelINS0_14default_configENS1_32segmented_reduce_config_selectorIN3c104HalfEEEZNS1_21segmented_reduce_implIS3_PKS6_PS6_PKlS6_N6hipcub16HIPCUB_304000_NS6detail27convert_result_type_wrapperISA_SB_N2at6native12_GLOBAL__N_19CustomSumEEEEE10hipError_tPvRmT0_T1_jT2_SS_T4_T3_P12ihipStream_tbEUlT_E_NS1_11comp_targetILNS1_3genE4ELNS1_11target_archE910ELNS1_3gpuE8ELNS1_3repE0EEENS1_30default_config_static_selectorELNS0_4arch9wavefront6targetE0EEEvSR_.uses_vcc, 0
	.set _ZN7rocprim17ROCPRIM_400000_NS6detail17trampoline_kernelINS0_14default_configENS1_32segmented_reduce_config_selectorIN3c104HalfEEEZNS1_21segmented_reduce_implIS3_PKS6_PS6_PKlS6_N6hipcub16HIPCUB_304000_NS6detail27convert_result_type_wrapperISA_SB_N2at6native12_GLOBAL__N_19CustomSumEEEEE10hipError_tPvRmT0_T1_jT2_SS_T4_T3_P12ihipStream_tbEUlT_E_NS1_11comp_targetILNS1_3genE4ELNS1_11target_archE910ELNS1_3gpuE8ELNS1_3repE0EEENS1_30default_config_static_selectorELNS0_4arch9wavefront6targetE0EEEvSR_.uses_flat_scratch, 0
	.set _ZN7rocprim17ROCPRIM_400000_NS6detail17trampoline_kernelINS0_14default_configENS1_32segmented_reduce_config_selectorIN3c104HalfEEEZNS1_21segmented_reduce_implIS3_PKS6_PS6_PKlS6_N6hipcub16HIPCUB_304000_NS6detail27convert_result_type_wrapperISA_SB_N2at6native12_GLOBAL__N_19CustomSumEEEEE10hipError_tPvRmT0_T1_jT2_SS_T4_T3_P12ihipStream_tbEUlT_E_NS1_11comp_targetILNS1_3genE4ELNS1_11target_archE910ELNS1_3gpuE8ELNS1_3repE0EEENS1_30default_config_static_selectorELNS0_4arch9wavefront6targetE0EEEvSR_.has_dyn_sized_stack, 0
	.set _ZN7rocprim17ROCPRIM_400000_NS6detail17trampoline_kernelINS0_14default_configENS1_32segmented_reduce_config_selectorIN3c104HalfEEEZNS1_21segmented_reduce_implIS3_PKS6_PS6_PKlS6_N6hipcub16HIPCUB_304000_NS6detail27convert_result_type_wrapperISA_SB_N2at6native12_GLOBAL__N_19CustomSumEEEEE10hipError_tPvRmT0_T1_jT2_SS_T4_T3_P12ihipStream_tbEUlT_E_NS1_11comp_targetILNS1_3genE4ELNS1_11target_archE910ELNS1_3gpuE8ELNS1_3repE0EEENS1_30default_config_static_selectorELNS0_4arch9wavefront6targetE0EEEvSR_.has_recursion, 0
	.set _ZN7rocprim17ROCPRIM_400000_NS6detail17trampoline_kernelINS0_14default_configENS1_32segmented_reduce_config_selectorIN3c104HalfEEEZNS1_21segmented_reduce_implIS3_PKS6_PS6_PKlS6_N6hipcub16HIPCUB_304000_NS6detail27convert_result_type_wrapperISA_SB_N2at6native12_GLOBAL__N_19CustomSumEEEEE10hipError_tPvRmT0_T1_jT2_SS_T4_T3_P12ihipStream_tbEUlT_E_NS1_11comp_targetILNS1_3genE4ELNS1_11target_archE910ELNS1_3gpuE8ELNS1_3repE0EEENS1_30default_config_static_selectorELNS0_4arch9wavefront6targetE0EEEvSR_.has_indirect_call, 0
	.section	.AMDGPU.csdata,"",@progbits
; Kernel info:
; codeLenInByte = 0
; TotalNumSgprs: 0
; NumVgprs: 0
; ScratchSize: 0
; MemoryBound: 0
; FloatMode: 240
; IeeeMode: 1
; LDSByteSize: 0 bytes/workgroup (compile time only)
; SGPRBlocks: 0
; VGPRBlocks: 0
; NumSGPRsForWavesPerEU: 1
; NumVGPRsForWavesPerEU: 1
; NamedBarCnt: 0
; Occupancy: 16
; WaveLimiterHint : 0
; COMPUTE_PGM_RSRC2:SCRATCH_EN: 0
; COMPUTE_PGM_RSRC2:USER_SGPR: 2
; COMPUTE_PGM_RSRC2:TRAP_HANDLER: 0
; COMPUTE_PGM_RSRC2:TGID_X_EN: 1
; COMPUTE_PGM_RSRC2:TGID_Y_EN: 0
; COMPUTE_PGM_RSRC2:TGID_Z_EN: 0
; COMPUTE_PGM_RSRC2:TIDIG_COMP_CNT: 0
	.section	.text._ZN7rocprim17ROCPRIM_400000_NS6detail17trampoline_kernelINS0_14default_configENS1_32segmented_reduce_config_selectorIN3c104HalfEEEZNS1_21segmented_reduce_implIS3_PKS6_PS6_PKlS6_N6hipcub16HIPCUB_304000_NS6detail27convert_result_type_wrapperISA_SB_N2at6native12_GLOBAL__N_19CustomSumEEEEE10hipError_tPvRmT0_T1_jT2_SS_T4_T3_P12ihipStream_tbEUlT_E_NS1_11comp_targetILNS1_3genE3ELNS1_11target_archE908ELNS1_3gpuE7ELNS1_3repE0EEENS1_30default_config_static_selectorELNS0_4arch9wavefront6targetE0EEEvSR_,"axG",@progbits,_ZN7rocprim17ROCPRIM_400000_NS6detail17trampoline_kernelINS0_14default_configENS1_32segmented_reduce_config_selectorIN3c104HalfEEEZNS1_21segmented_reduce_implIS3_PKS6_PS6_PKlS6_N6hipcub16HIPCUB_304000_NS6detail27convert_result_type_wrapperISA_SB_N2at6native12_GLOBAL__N_19CustomSumEEEEE10hipError_tPvRmT0_T1_jT2_SS_T4_T3_P12ihipStream_tbEUlT_E_NS1_11comp_targetILNS1_3genE3ELNS1_11target_archE908ELNS1_3gpuE7ELNS1_3repE0EEENS1_30default_config_static_selectorELNS0_4arch9wavefront6targetE0EEEvSR_,comdat
	.globl	_ZN7rocprim17ROCPRIM_400000_NS6detail17trampoline_kernelINS0_14default_configENS1_32segmented_reduce_config_selectorIN3c104HalfEEEZNS1_21segmented_reduce_implIS3_PKS6_PS6_PKlS6_N6hipcub16HIPCUB_304000_NS6detail27convert_result_type_wrapperISA_SB_N2at6native12_GLOBAL__N_19CustomSumEEEEE10hipError_tPvRmT0_T1_jT2_SS_T4_T3_P12ihipStream_tbEUlT_E_NS1_11comp_targetILNS1_3genE3ELNS1_11target_archE908ELNS1_3gpuE7ELNS1_3repE0EEENS1_30default_config_static_selectorELNS0_4arch9wavefront6targetE0EEEvSR_ ; -- Begin function _ZN7rocprim17ROCPRIM_400000_NS6detail17trampoline_kernelINS0_14default_configENS1_32segmented_reduce_config_selectorIN3c104HalfEEEZNS1_21segmented_reduce_implIS3_PKS6_PS6_PKlS6_N6hipcub16HIPCUB_304000_NS6detail27convert_result_type_wrapperISA_SB_N2at6native12_GLOBAL__N_19CustomSumEEEEE10hipError_tPvRmT0_T1_jT2_SS_T4_T3_P12ihipStream_tbEUlT_E_NS1_11comp_targetILNS1_3genE3ELNS1_11target_archE908ELNS1_3gpuE7ELNS1_3repE0EEENS1_30default_config_static_selectorELNS0_4arch9wavefront6targetE0EEEvSR_
	.p2align	8
	.type	_ZN7rocprim17ROCPRIM_400000_NS6detail17trampoline_kernelINS0_14default_configENS1_32segmented_reduce_config_selectorIN3c104HalfEEEZNS1_21segmented_reduce_implIS3_PKS6_PS6_PKlS6_N6hipcub16HIPCUB_304000_NS6detail27convert_result_type_wrapperISA_SB_N2at6native12_GLOBAL__N_19CustomSumEEEEE10hipError_tPvRmT0_T1_jT2_SS_T4_T3_P12ihipStream_tbEUlT_E_NS1_11comp_targetILNS1_3genE3ELNS1_11target_archE908ELNS1_3gpuE7ELNS1_3repE0EEENS1_30default_config_static_selectorELNS0_4arch9wavefront6targetE0EEEvSR_,@function
_ZN7rocprim17ROCPRIM_400000_NS6detail17trampoline_kernelINS0_14default_configENS1_32segmented_reduce_config_selectorIN3c104HalfEEEZNS1_21segmented_reduce_implIS3_PKS6_PS6_PKlS6_N6hipcub16HIPCUB_304000_NS6detail27convert_result_type_wrapperISA_SB_N2at6native12_GLOBAL__N_19CustomSumEEEEE10hipError_tPvRmT0_T1_jT2_SS_T4_T3_P12ihipStream_tbEUlT_E_NS1_11comp_targetILNS1_3genE3ELNS1_11target_archE908ELNS1_3gpuE7ELNS1_3repE0EEENS1_30default_config_static_selectorELNS0_4arch9wavefront6targetE0EEEvSR_: ; @_ZN7rocprim17ROCPRIM_400000_NS6detail17trampoline_kernelINS0_14default_configENS1_32segmented_reduce_config_selectorIN3c104HalfEEEZNS1_21segmented_reduce_implIS3_PKS6_PS6_PKlS6_N6hipcub16HIPCUB_304000_NS6detail27convert_result_type_wrapperISA_SB_N2at6native12_GLOBAL__N_19CustomSumEEEEE10hipError_tPvRmT0_T1_jT2_SS_T4_T3_P12ihipStream_tbEUlT_E_NS1_11comp_targetILNS1_3genE3ELNS1_11target_archE908ELNS1_3gpuE7ELNS1_3repE0EEENS1_30default_config_static_selectorELNS0_4arch9wavefront6targetE0EEEvSR_
; %bb.0:
	.section	.rodata,"a",@progbits
	.p2align	6, 0x0
	.amdhsa_kernel _ZN7rocprim17ROCPRIM_400000_NS6detail17trampoline_kernelINS0_14default_configENS1_32segmented_reduce_config_selectorIN3c104HalfEEEZNS1_21segmented_reduce_implIS3_PKS6_PS6_PKlS6_N6hipcub16HIPCUB_304000_NS6detail27convert_result_type_wrapperISA_SB_N2at6native12_GLOBAL__N_19CustomSumEEEEE10hipError_tPvRmT0_T1_jT2_SS_T4_T3_P12ihipStream_tbEUlT_E_NS1_11comp_targetILNS1_3genE3ELNS1_11target_archE908ELNS1_3gpuE7ELNS1_3repE0EEENS1_30default_config_static_selectorELNS0_4arch9wavefront6targetE0EEEvSR_
		.amdhsa_group_segment_fixed_size 0
		.amdhsa_private_segment_fixed_size 0
		.amdhsa_kernarg_size 48
		.amdhsa_user_sgpr_count 2
		.amdhsa_user_sgpr_dispatch_ptr 0
		.amdhsa_user_sgpr_queue_ptr 0
		.amdhsa_user_sgpr_kernarg_segment_ptr 1
		.amdhsa_user_sgpr_dispatch_id 0
		.amdhsa_user_sgpr_kernarg_preload_length 0
		.amdhsa_user_sgpr_kernarg_preload_offset 0
		.amdhsa_user_sgpr_private_segment_size 0
		.amdhsa_wavefront_size32 1
		.amdhsa_uses_dynamic_stack 0
		.amdhsa_enable_private_segment 0
		.amdhsa_system_sgpr_workgroup_id_x 1
		.amdhsa_system_sgpr_workgroup_id_y 0
		.amdhsa_system_sgpr_workgroup_id_z 0
		.amdhsa_system_sgpr_workgroup_info 0
		.amdhsa_system_vgpr_workitem_id 0
		.amdhsa_next_free_vgpr 1
		.amdhsa_next_free_sgpr 1
		.amdhsa_named_barrier_count 0
		.amdhsa_reserve_vcc 0
		.amdhsa_float_round_mode_32 0
		.amdhsa_float_round_mode_16_64 0
		.amdhsa_float_denorm_mode_32 3
		.amdhsa_float_denorm_mode_16_64 3
		.amdhsa_fp16_overflow 0
		.amdhsa_memory_ordered 1
		.amdhsa_forward_progress 1
		.amdhsa_inst_pref_size 0
		.amdhsa_round_robin_scheduling 0
		.amdhsa_exception_fp_ieee_invalid_op 0
		.amdhsa_exception_fp_denorm_src 0
		.amdhsa_exception_fp_ieee_div_zero 0
		.amdhsa_exception_fp_ieee_overflow 0
		.amdhsa_exception_fp_ieee_underflow 0
		.amdhsa_exception_fp_ieee_inexact 0
		.amdhsa_exception_int_div_zero 0
	.end_amdhsa_kernel
	.section	.text._ZN7rocprim17ROCPRIM_400000_NS6detail17trampoline_kernelINS0_14default_configENS1_32segmented_reduce_config_selectorIN3c104HalfEEEZNS1_21segmented_reduce_implIS3_PKS6_PS6_PKlS6_N6hipcub16HIPCUB_304000_NS6detail27convert_result_type_wrapperISA_SB_N2at6native12_GLOBAL__N_19CustomSumEEEEE10hipError_tPvRmT0_T1_jT2_SS_T4_T3_P12ihipStream_tbEUlT_E_NS1_11comp_targetILNS1_3genE3ELNS1_11target_archE908ELNS1_3gpuE7ELNS1_3repE0EEENS1_30default_config_static_selectorELNS0_4arch9wavefront6targetE0EEEvSR_,"axG",@progbits,_ZN7rocprim17ROCPRIM_400000_NS6detail17trampoline_kernelINS0_14default_configENS1_32segmented_reduce_config_selectorIN3c104HalfEEEZNS1_21segmented_reduce_implIS3_PKS6_PS6_PKlS6_N6hipcub16HIPCUB_304000_NS6detail27convert_result_type_wrapperISA_SB_N2at6native12_GLOBAL__N_19CustomSumEEEEE10hipError_tPvRmT0_T1_jT2_SS_T4_T3_P12ihipStream_tbEUlT_E_NS1_11comp_targetILNS1_3genE3ELNS1_11target_archE908ELNS1_3gpuE7ELNS1_3repE0EEENS1_30default_config_static_selectorELNS0_4arch9wavefront6targetE0EEEvSR_,comdat
.Lfunc_end225:
	.size	_ZN7rocprim17ROCPRIM_400000_NS6detail17trampoline_kernelINS0_14default_configENS1_32segmented_reduce_config_selectorIN3c104HalfEEEZNS1_21segmented_reduce_implIS3_PKS6_PS6_PKlS6_N6hipcub16HIPCUB_304000_NS6detail27convert_result_type_wrapperISA_SB_N2at6native12_GLOBAL__N_19CustomSumEEEEE10hipError_tPvRmT0_T1_jT2_SS_T4_T3_P12ihipStream_tbEUlT_E_NS1_11comp_targetILNS1_3genE3ELNS1_11target_archE908ELNS1_3gpuE7ELNS1_3repE0EEENS1_30default_config_static_selectorELNS0_4arch9wavefront6targetE0EEEvSR_, .Lfunc_end225-_ZN7rocprim17ROCPRIM_400000_NS6detail17trampoline_kernelINS0_14default_configENS1_32segmented_reduce_config_selectorIN3c104HalfEEEZNS1_21segmented_reduce_implIS3_PKS6_PS6_PKlS6_N6hipcub16HIPCUB_304000_NS6detail27convert_result_type_wrapperISA_SB_N2at6native12_GLOBAL__N_19CustomSumEEEEE10hipError_tPvRmT0_T1_jT2_SS_T4_T3_P12ihipStream_tbEUlT_E_NS1_11comp_targetILNS1_3genE3ELNS1_11target_archE908ELNS1_3gpuE7ELNS1_3repE0EEENS1_30default_config_static_selectorELNS0_4arch9wavefront6targetE0EEEvSR_
                                        ; -- End function
	.set _ZN7rocprim17ROCPRIM_400000_NS6detail17trampoline_kernelINS0_14default_configENS1_32segmented_reduce_config_selectorIN3c104HalfEEEZNS1_21segmented_reduce_implIS3_PKS6_PS6_PKlS6_N6hipcub16HIPCUB_304000_NS6detail27convert_result_type_wrapperISA_SB_N2at6native12_GLOBAL__N_19CustomSumEEEEE10hipError_tPvRmT0_T1_jT2_SS_T4_T3_P12ihipStream_tbEUlT_E_NS1_11comp_targetILNS1_3genE3ELNS1_11target_archE908ELNS1_3gpuE7ELNS1_3repE0EEENS1_30default_config_static_selectorELNS0_4arch9wavefront6targetE0EEEvSR_.num_vgpr, 0
	.set _ZN7rocprim17ROCPRIM_400000_NS6detail17trampoline_kernelINS0_14default_configENS1_32segmented_reduce_config_selectorIN3c104HalfEEEZNS1_21segmented_reduce_implIS3_PKS6_PS6_PKlS6_N6hipcub16HIPCUB_304000_NS6detail27convert_result_type_wrapperISA_SB_N2at6native12_GLOBAL__N_19CustomSumEEEEE10hipError_tPvRmT0_T1_jT2_SS_T4_T3_P12ihipStream_tbEUlT_E_NS1_11comp_targetILNS1_3genE3ELNS1_11target_archE908ELNS1_3gpuE7ELNS1_3repE0EEENS1_30default_config_static_selectorELNS0_4arch9wavefront6targetE0EEEvSR_.num_agpr, 0
	.set _ZN7rocprim17ROCPRIM_400000_NS6detail17trampoline_kernelINS0_14default_configENS1_32segmented_reduce_config_selectorIN3c104HalfEEEZNS1_21segmented_reduce_implIS3_PKS6_PS6_PKlS6_N6hipcub16HIPCUB_304000_NS6detail27convert_result_type_wrapperISA_SB_N2at6native12_GLOBAL__N_19CustomSumEEEEE10hipError_tPvRmT0_T1_jT2_SS_T4_T3_P12ihipStream_tbEUlT_E_NS1_11comp_targetILNS1_3genE3ELNS1_11target_archE908ELNS1_3gpuE7ELNS1_3repE0EEENS1_30default_config_static_selectorELNS0_4arch9wavefront6targetE0EEEvSR_.numbered_sgpr, 0
	.set _ZN7rocprim17ROCPRIM_400000_NS6detail17trampoline_kernelINS0_14default_configENS1_32segmented_reduce_config_selectorIN3c104HalfEEEZNS1_21segmented_reduce_implIS3_PKS6_PS6_PKlS6_N6hipcub16HIPCUB_304000_NS6detail27convert_result_type_wrapperISA_SB_N2at6native12_GLOBAL__N_19CustomSumEEEEE10hipError_tPvRmT0_T1_jT2_SS_T4_T3_P12ihipStream_tbEUlT_E_NS1_11comp_targetILNS1_3genE3ELNS1_11target_archE908ELNS1_3gpuE7ELNS1_3repE0EEENS1_30default_config_static_selectorELNS0_4arch9wavefront6targetE0EEEvSR_.num_named_barrier, 0
	.set _ZN7rocprim17ROCPRIM_400000_NS6detail17trampoline_kernelINS0_14default_configENS1_32segmented_reduce_config_selectorIN3c104HalfEEEZNS1_21segmented_reduce_implIS3_PKS6_PS6_PKlS6_N6hipcub16HIPCUB_304000_NS6detail27convert_result_type_wrapperISA_SB_N2at6native12_GLOBAL__N_19CustomSumEEEEE10hipError_tPvRmT0_T1_jT2_SS_T4_T3_P12ihipStream_tbEUlT_E_NS1_11comp_targetILNS1_3genE3ELNS1_11target_archE908ELNS1_3gpuE7ELNS1_3repE0EEENS1_30default_config_static_selectorELNS0_4arch9wavefront6targetE0EEEvSR_.private_seg_size, 0
	.set _ZN7rocprim17ROCPRIM_400000_NS6detail17trampoline_kernelINS0_14default_configENS1_32segmented_reduce_config_selectorIN3c104HalfEEEZNS1_21segmented_reduce_implIS3_PKS6_PS6_PKlS6_N6hipcub16HIPCUB_304000_NS6detail27convert_result_type_wrapperISA_SB_N2at6native12_GLOBAL__N_19CustomSumEEEEE10hipError_tPvRmT0_T1_jT2_SS_T4_T3_P12ihipStream_tbEUlT_E_NS1_11comp_targetILNS1_3genE3ELNS1_11target_archE908ELNS1_3gpuE7ELNS1_3repE0EEENS1_30default_config_static_selectorELNS0_4arch9wavefront6targetE0EEEvSR_.uses_vcc, 0
	.set _ZN7rocprim17ROCPRIM_400000_NS6detail17trampoline_kernelINS0_14default_configENS1_32segmented_reduce_config_selectorIN3c104HalfEEEZNS1_21segmented_reduce_implIS3_PKS6_PS6_PKlS6_N6hipcub16HIPCUB_304000_NS6detail27convert_result_type_wrapperISA_SB_N2at6native12_GLOBAL__N_19CustomSumEEEEE10hipError_tPvRmT0_T1_jT2_SS_T4_T3_P12ihipStream_tbEUlT_E_NS1_11comp_targetILNS1_3genE3ELNS1_11target_archE908ELNS1_3gpuE7ELNS1_3repE0EEENS1_30default_config_static_selectorELNS0_4arch9wavefront6targetE0EEEvSR_.uses_flat_scratch, 0
	.set _ZN7rocprim17ROCPRIM_400000_NS6detail17trampoline_kernelINS0_14default_configENS1_32segmented_reduce_config_selectorIN3c104HalfEEEZNS1_21segmented_reduce_implIS3_PKS6_PS6_PKlS6_N6hipcub16HIPCUB_304000_NS6detail27convert_result_type_wrapperISA_SB_N2at6native12_GLOBAL__N_19CustomSumEEEEE10hipError_tPvRmT0_T1_jT2_SS_T4_T3_P12ihipStream_tbEUlT_E_NS1_11comp_targetILNS1_3genE3ELNS1_11target_archE908ELNS1_3gpuE7ELNS1_3repE0EEENS1_30default_config_static_selectorELNS0_4arch9wavefront6targetE0EEEvSR_.has_dyn_sized_stack, 0
	.set _ZN7rocprim17ROCPRIM_400000_NS6detail17trampoline_kernelINS0_14default_configENS1_32segmented_reduce_config_selectorIN3c104HalfEEEZNS1_21segmented_reduce_implIS3_PKS6_PS6_PKlS6_N6hipcub16HIPCUB_304000_NS6detail27convert_result_type_wrapperISA_SB_N2at6native12_GLOBAL__N_19CustomSumEEEEE10hipError_tPvRmT0_T1_jT2_SS_T4_T3_P12ihipStream_tbEUlT_E_NS1_11comp_targetILNS1_3genE3ELNS1_11target_archE908ELNS1_3gpuE7ELNS1_3repE0EEENS1_30default_config_static_selectorELNS0_4arch9wavefront6targetE0EEEvSR_.has_recursion, 0
	.set _ZN7rocprim17ROCPRIM_400000_NS6detail17trampoline_kernelINS0_14default_configENS1_32segmented_reduce_config_selectorIN3c104HalfEEEZNS1_21segmented_reduce_implIS3_PKS6_PS6_PKlS6_N6hipcub16HIPCUB_304000_NS6detail27convert_result_type_wrapperISA_SB_N2at6native12_GLOBAL__N_19CustomSumEEEEE10hipError_tPvRmT0_T1_jT2_SS_T4_T3_P12ihipStream_tbEUlT_E_NS1_11comp_targetILNS1_3genE3ELNS1_11target_archE908ELNS1_3gpuE7ELNS1_3repE0EEENS1_30default_config_static_selectorELNS0_4arch9wavefront6targetE0EEEvSR_.has_indirect_call, 0
	.section	.AMDGPU.csdata,"",@progbits
; Kernel info:
; codeLenInByte = 0
; TotalNumSgprs: 0
; NumVgprs: 0
; ScratchSize: 0
; MemoryBound: 0
; FloatMode: 240
; IeeeMode: 1
; LDSByteSize: 0 bytes/workgroup (compile time only)
; SGPRBlocks: 0
; VGPRBlocks: 0
; NumSGPRsForWavesPerEU: 1
; NumVGPRsForWavesPerEU: 1
; NamedBarCnt: 0
; Occupancy: 16
; WaveLimiterHint : 0
; COMPUTE_PGM_RSRC2:SCRATCH_EN: 0
; COMPUTE_PGM_RSRC2:USER_SGPR: 2
; COMPUTE_PGM_RSRC2:TRAP_HANDLER: 0
; COMPUTE_PGM_RSRC2:TGID_X_EN: 1
; COMPUTE_PGM_RSRC2:TGID_Y_EN: 0
; COMPUTE_PGM_RSRC2:TGID_Z_EN: 0
; COMPUTE_PGM_RSRC2:TIDIG_COMP_CNT: 0
	.section	.text._ZN7rocprim17ROCPRIM_400000_NS6detail17trampoline_kernelINS0_14default_configENS1_32segmented_reduce_config_selectorIN3c104HalfEEEZNS1_21segmented_reduce_implIS3_PKS6_PS6_PKlS6_N6hipcub16HIPCUB_304000_NS6detail27convert_result_type_wrapperISA_SB_N2at6native12_GLOBAL__N_19CustomSumEEEEE10hipError_tPvRmT0_T1_jT2_SS_T4_T3_P12ihipStream_tbEUlT_E_NS1_11comp_targetILNS1_3genE2ELNS1_11target_archE906ELNS1_3gpuE6ELNS1_3repE0EEENS1_30default_config_static_selectorELNS0_4arch9wavefront6targetE0EEEvSR_,"axG",@progbits,_ZN7rocprim17ROCPRIM_400000_NS6detail17trampoline_kernelINS0_14default_configENS1_32segmented_reduce_config_selectorIN3c104HalfEEEZNS1_21segmented_reduce_implIS3_PKS6_PS6_PKlS6_N6hipcub16HIPCUB_304000_NS6detail27convert_result_type_wrapperISA_SB_N2at6native12_GLOBAL__N_19CustomSumEEEEE10hipError_tPvRmT0_T1_jT2_SS_T4_T3_P12ihipStream_tbEUlT_E_NS1_11comp_targetILNS1_3genE2ELNS1_11target_archE906ELNS1_3gpuE6ELNS1_3repE0EEENS1_30default_config_static_selectorELNS0_4arch9wavefront6targetE0EEEvSR_,comdat
	.globl	_ZN7rocprim17ROCPRIM_400000_NS6detail17trampoline_kernelINS0_14default_configENS1_32segmented_reduce_config_selectorIN3c104HalfEEEZNS1_21segmented_reduce_implIS3_PKS6_PS6_PKlS6_N6hipcub16HIPCUB_304000_NS6detail27convert_result_type_wrapperISA_SB_N2at6native12_GLOBAL__N_19CustomSumEEEEE10hipError_tPvRmT0_T1_jT2_SS_T4_T3_P12ihipStream_tbEUlT_E_NS1_11comp_targetILNS1_3genE2ELNS1_11target_archE906ELNS1_3gpuE6ELNS1_3repE0EEENS1_30default_config_static_selectorELNS0_4arch9wavefront6targetE0EEEvSR_ ; -- Begin function _ZN7rocprim17ROCPRIM_400000_NS6detail17trampoline_kernelINS0_14default_configENS1_32segmented_reduce_config_selectorIN3c104HalfEEEZNS1_21segmented_reduce_implIS3_PKS6_PS6_PKlS6_N6hipcub16HIPCUB_304000_NS6detail27convert_result_type_wrapperISA_SB_N2at6native12_GLOBAL__N_19CustomSumEEEEE10hipError_tPvRmT0_T1_jT2_SS_T4_T3_P12ihipStream_tbEUlT_E_NS1_11comp_targetILNS1_3genE2ELNS1_11target_archE906ELNS1_3gpuE6ELNS1_3repE0EEENS1_30default_config_static_selectorELNS0_4arch9wavefront6targetE0EEEvSR_
	.p2align	8
	.type	_ZN7rocprim17ROCPRIM_400000_NS6detail17trampoline_kernelINS0_14default_configENS1_32segmented_reduce_config_selectorIN3c104HalfEEEZNS1_21segmented_reduce_implIS3_PKS6_PS6_PKlS6_N6hipcub16HIPCUB_304000_NS6detail27convert_result_type_wrapperISA_SB_N2at6native12_GLOBAL__N_19CustomSumEEEEE10hipError_tPvRmT0_T1_jT2_SS_T4_T3_P12ihipStream_tbEUlT_E_NS1_11comp_targetILNS1_3genE2ELNS1_11target_archE906ELNS1_3gpuE6ELNS1_3repE0EEENS1_30default_config_static_selectorELNS0_4arch9wavefront6targetE0EEEvSR_,@function
_ZN7rocprim17ROCPRIM_400000_NS6detail17trampoline_kernelINS0_14default_configENS1_32segmented_reduce_config_selectorIN3c104HalfEEEZNS1_21segmented_reduce_implIS3_PKS6_PS6_PKlS6_N6hipcub16HIPCUB_304000_NS6detail27convert_result_type_wrapperISA_SB_N2at6native12_GLOBAL__N_19CustomSumEEEEE10hipError_tPvRmT0_T1_jT2_SS_T4_T3_P12ihipStream_tbEUlT_E_NS1_11comp_targetILNS1_3genE2ELNS1_11target_archE906ELNS1_3gpuE6ELNS1_3repE0EEENS1_30default_config_static_selectorELNS0_4arch9wavefront6targetE0EEEvSR_: ; @_ZN7rocprim17ROCPRIM_400000_NS6detail17trampoline_kernelINS0_14default_configENS1_32segmented_reduce_config_selectorIN3c104HalfEEEZNS1_21segmented_reduce_implIS3_PKS6_PS6_PKlS6_N6hipcub16HIPCUB_304000_NS6detail27convert_result_type_wrapperISA_SB_N2at6native12_GLOBAL__N_19CustomSumEEEEE10hipError_tPvRmT0_T1_jT2_SS_T4_T3_P12ihipStream_tbEUlT_E_NS1_11comp_targetILNS1_3genE2ELNS1_11target_archE906ELNS1_3gpuE6ELNS1_3repE0EEENS1_30default_config_static_selectorELNS0_4arch9wavefront6targetE0EEEvSR_
; %bb.0:
	.section	.rodata,"a",@progbits
	.p2align	6, 0x0
	.amdhsa_kernel _ZN7rocprim17ROCPRIM_400000_NS6detail17trampoline_kernelINS0_14default_configENS1_32segmented_reduce_config_selectorIN3c104HalfEEEZNS1_21segmented_reduce_implIS3_PKS6_PS6_PKlS6_N6hipcub16HIPCUB_304000_NS6detail27convert_result_type_wrapperISA_SB_N2at6native12_GLOBAL__N_19CustomSumEEEEE10hipError_tPvRmT0_T1_jT2_SS_T4_T3_P12ihipStream_tbEUlT_E_NS1_11comp_targetILNS1_3genE2ELNS1_11target_archE906ELNS1_3gpuE6ELNS1_3repE0EEENS1_30default_config_static_selectorELNS0_4arch9wavefront6targetE0EEEvSR_
		.amdhsa_group_segment_fixed_size 0
		.amdhsa_private_segment_fixed_size 0
		.amdhsa_kernarg_size 48
		.amdhsa_user_sgpr_count 2
		.amdhsa_user_sgpr_dispatch_ptr 0
		.amdhsa_user_sgpr_queue_ptr 0
		.amdhsa_user_sgpr_kernarg_segment_ptr 1
		.amdhsa_user_sgpr_dispatch_id 0
		.amdhsa_user_sgpr_kernarg_preload_length 0
		.amdhsa_user_sgpr_kernarg_preload_offset 0
		.amdhsa_user_sgpr_private_segment_size 0
		.amdhsa_wavefront_size32 1
		.amdhsa_uses_dynamic_stack 0
		.amdhsa_enable_private_segment 0
		.amdhsa_system_sgpr_workgroup_id_x 1
		.amdhsa_system_sgpr_workgroup_id_y 0
		.amdhsa_system_sgpr_workgroup_id_z 0
		.amdhsa_system_sgpr_workgroup_info 0
		.amdhsa_system_vgpr_workitem_id 0
		.amdhsa_next_free_vgpr 1
		.amdhsa_next_free_sgpr 1
		.amdhsa_named_barrier_count 0
		.amdhsa_reserve_vcc 0
		.amdhsa_float_round_mode_32 0
		.amdhsa_float_round_mode_16_64 0
		.amdhsa_float_denorm_mode_32 3
		.amdhsa_float_denorm_mode_16_64 3
		.amdhsa_fp16_overflow 0
		.amdhsa_memory_ordered 1
		.amdhsa_forward_progress 1
		.amdhsa_inst_pref_size 0
		.amdhsa_round_robin_scheduling 0
		.amdhsa_exception_fp_ieee_invalid_op 0
		.amdhsa_exception_fp_denorm_src 0
		.amdhsa_exception_fp_ieee_div_zero 0
		.amdhsa_exception_fp_ieee_overflow 0
		.amdhsa_exception_fp_ieee_underflow 0
		.amdhsa_exception_fp_ieee_inexact 0
		.amdhsa_exception_int_div_zero 0
	.end_amdhsa_kernel
	.section	.text._ZN7rocprim17ROCPRIM_400000_NS6detail17trampoline_kernelINS0_14default_configENS1_32segmented_reduce_config_selectorIN3c104HalfEEEZNS1_21segmented_reduce_implIS3_PKS6_PS6_PKlS6_N6hipcub16HIPCUB_304000_NS6detail27convert_result_type_wrapperISA_SB_N2at6native12_GLOBAL__N_19CustomSumEEEEE10hipError_tPvRmT0_T1_jT2_SS_T4_T3_P12ihipStream_tbEUlT_E_NS1_11comp_targetILNS1_3genE2ELNS1_11target_archE906ELNS1_3gpuE6ELNS1_3repE0EEENS1_30default_config_static_selectorELNS0_4arch9wavefront6targetE0EEEvSR_,"axG",@progbits,_ZN7rocprim17ROCPRIM_400000_NS6detail17trampoline_kernelINS0_14default_configENS1_32segmented_reduce_config_selectorIN3c104HalfEEEZNS1_21segmented_reduce_implIS3_PKS6_PS6_PKlS6_N6hipcub16HIPCUB_304000_NS6detail27convert_result_type_wrapperISA_SB_N2at6native12_GLOBAL__N_19CustomSumEEEEE10hipError_tPvRmT0_T1_jT2_SS_T4_T3_P12ihipStream_tbEUlT_E_NS1_11comp_targetILNS1_3genE2ELNS1_11target_archE906ELNS1_3gpuE6ELNS1_3repE0EEENS1_30default_config_static_selectorELNS0_4arch9wavefront6targetE0EEEvSR_,comdat
.Lfunc_end226:
	.size	_ZN7rocprim17ROCPRIM_400000_NS6detail17trampoline_kernelINS0_14default_configENS1_32segmented_reduce_config_selectorIN3c104HalfEEEZNS1_21segmented_reduce_implIS3_PKS6_PS6_PKlS6_N6hipcub16HIPCUB_304000_NS6detail27convert_result_type_wrapperISA_SB_N2at6native12_GLOBAL__N_19CustomSumEEEEE10hipError_tPvRmT0_T1_jT2_SS_T4_T3_P12ihipStream_tbEUlT_E_NS1_11comp_targetILNS1_3genE2ELNS1_11target_archE906ELNS1_3gpuE6ELNS1_3repE0EEENS1_30default_config_static_selectorELNS0_4arch9wavefront6targetE0EEEvSR_, .Lfunc_end226-_ZN7rocprim17ROCPRIM_400000_NS6detail17trampoline_kernelINS0_14default_configENS1_32segmented_reduce_config_selectorIN3c104HalfEEEZNS1_21segmented_reduce_implIS3_PKS6_PS6_PKlS6_N6hipcub16HIPCUB_304000_NS6detail27convert_result_type_wrapperISA_SB_N2at6native12_GLOBAL__N_19CustomSumEEEEE10hipError_tPvRmT0_T1_jT2_SS_T4_T3_P12ihipStream_tbEUlT_E_NS1_11comp_targetILNS1_3genE2ELNS1_11target_archE906ELNS1_3gpuE6ELNS1_3repE0EEENS1_30default_config_static_selectorELNS0_4arch9wavefront6targetE0EEEvSR_
                                        ; -- End function
	.set _ZN7rocprim17ROCPRIM_400000_NS6detail17trampoline_kernelINS0_14default_configENS1_32segmented_reduce_config_selectorIN3c104HalfEEEZNS1_21segmented_reduce_implIS3_PKS6_PS6_PKlS6_N6hipcub16HIPCUB_304000_NS6detail27convert_result_type_wrapperISA_SB_N2at6native12_GLOBAL__N_19CustomSumEEEEE10hipError_tPvRmT0_T1_jT2_SS_T4_T3_P12ihipStream_tbEUlT_E_NS1_11comp_targetILNS1_3genE2ELNS1_11target_archE906ELNS1_3gpuE6ELNS1_3repE0EEENS1_30default_config_static_selectorELNS0_4arch9wavefront6targetE0EEEvSR_.num_vgpr, 0
	.set _ZN7rocprim17ROCPRIM_400000_NS6detail17trampoline_kernelINS0_14default_configENS1_32segmented_reduce_config_selectorIN3c104HalfEEEZNS1_21segmented_reduce_implIS3_PKS6_PS6_PKlS6_N6hipcub16HIPCUB_304000_NS6detail27convert_result_type_wrapperISA_SB_N2at6native12_GLOBAL__N_19CustomSumEEEEE10hipError_tPvRmT0_T1_jT2_SS_T4_T3_P12ihipStream_tbEUlT_E_NS1_11comp_targetILNS1_3genE2ELNS1_11target_archE906ELNS1_3gpuE6ELNS1_3repE0EEENS1_30default_config_static_selectorELNS0_4arch9wavefront6targetE0EEEvSR_.num_agpr, 0
	.set _ZN7rocprim17ROCPRIM_400000_NS6detail17trampoline_kernelINS0_14default_configENS1_32segmented_reduce_config_selectorIN3c104HalfEEEZNS1_21segmented_reduce_implIS3_PKS6_PS6_PKlS6_N6hipcub16HIPCUB_304000_NS6detail27convert_result_type_wrapperISA_SB_N2at6native12_GLOBAL__N_19CustomSumEEEEE10hipError_tPvRmT0_T1_jT2_SS_T4_T3_P12ihipStream_tbEUlT_E_NS1_11comp_targetILNS1_3genE2ELNS1_11target_archE906ELNS1_3gpuE6ELNS1_3repE0EEENS1_30default_config_static_selectorELNS0_4arch9wavefront6targetE0EEEvSR_.numbered_sgpr, 0
	.set _ZN7rocprim17ROCPRIM_400000_NS6detail17trampoline_kernelINS0_14default_configENS1_32segmented_reduce_config_selectorIN3c104HalfEEEZNS1_21segmented_reduce_implIS3_PKS6_PS6_PKlS6_N6hipcub16HIPCUB_304000_NS6detail27convert_result_type_wrapperISA_SB_N2at6native12_GLOBAL__N_19CustomSumEEEEE10hipError_tPvRmT0_T1_jT2_SS_T4_T3_P12ihipStream_tbEUlT_E_NS1_11comp_targetILNS1_3genE2ELNS1_11target_archE906ELNS1_3gpuE6ELNS1_3repE0EEENS1_30default_config_static_selectorELNS0_4arch9wavefront6targetE0EEEvSR_.num_named_barrier, 0
	.set _ZN7rocprim17ROCPRIM_400000_NS6detail17trampoline_kernelINS0_14default_configENS1_32segmented_reduce_config_selectorIN3c104HalfEEEZNS1_21segmented_reduce_implIS3_PKS6_PS6_PKlS6_N6hipcub16HIPCUB_304000_NS6detail27convert_result_type_wrapperISA_SB_N2at6native12_GLOBAL__N_19CustomSumEEEEE10hipError_tPvRmT0_T1_jT2_SS_T4_T3_P12ihipStream_tbEUlT_E_NS1_11comp_targetILNS1_3genE2ELNS1_11target_archE906ELNS1_3gpuE6ELNS1_3repE0EEENS1_30default_config_static_selectorELNS0_4arch9wavefront6targetE0EEEvSR_.private_seg_size, 0
	.set _ZN7rocprim17ROCPRIM_400000_NS6detail17trampoline_kernelINS0_14default_configENS1_32segmented_reduce_config_selectorIN3c104HalfEEEZNS1_21segmented_reduce_implIS3_PKS6_PS6_PKlS6_N6hipcub16HIPCUB_304000_NS6detail27convert_result_type_wrapperISA_SB_N2at6native12_GLOBAL__N_19CustomSumEEEEE10hipError_tPvRmT0_T1_jT2_SS_T4_T3_P12ihipStream_tbEUlT_E_NS1_11comp_targetILNS1_3genE2ELNS1_11target_archE906ELNS1_3gpuE6ELNS1_3repE0EEENS1_30default_config_static_selectorELNS0_4arch9wavefront6targetE0EEEvSR_.uses_vcc, 0
	.set _ZN7rocprim17ROCPRIM_400000_NS6detail17trampoline_kernelINS0_14default_configENS1_32segmented_reduce_config_selectorIN3c104HalfEEEZNS1_21segmented_reduce_implIS3_PKS6_PS6_PKlS6_N6hipcub16HIPCUB_304000_NS6detail27convert_result_type_wrapperISA_SB_N2at6native12_GLOBAL__N_19CustomSumEEEEE10hipError_tPvRmT0_T1_jT2_SS_T4_T3_P12ihipStream_tbEUlT_E_NS1_11comp_targetILNS1_3genE2ELNS1_11target_archE906ELNS1_3gpuE6ELNS1_3repE0EEENS1_30default_config_static_selectorELNS0_4arch9wavefront6targetE0EEEvSR_.uses_flat_scratch, 0
	.set _ZN7rocprim17ROCPRIM_400000_NS6detail17trampoline_kernelINS0_14default_configENS1_32segmented_reduce_config_selectorIN3c104HalfEEEZNS1_21segmented_reduce_implIS3_PKS6_PS6_PKlS6_N6hipcub16HIPCUB_304000_NS6detail27convert_result_type_wrapperISA_SB_N2at6native12_GLOBAL__N_19CustomSumEEEEE10hipError_tPvRmT0_T1_jT2_SS_T4_T3_P12ihipStream_tbEUlT_E_NS1_11comp_targetILNS1_3genE2ELNS1_11target_archE906ELNS1_3gpuE6ELNS1_3repE0EEENS1_30default_config_static_selectorELNS0_4arch9wavefront6targetE0EEEvSR_.has_dyn_sized_stack, 0
	.set _ZN7rocprim17ROCPRIM_400000_NS6detail17trampoline_kernelINS0_14default_configENS1_32segmented_reduce_config_selectorIN3c104HalfEEEZNS1_21segmented_reduce_implIS3_PKS6_PS6_PKlS6_N6hipcub16HIPCUB_304000_NS6detail27convert_result_type_wrapperISA_SB_N2at6native12_GLOBAL__N_19CustomSumEEEEE10hipError_tPvRmT0_T1_jT2_SS_T4_T3_P12ihipStream_tbEUlT_E_NS1_11comp_targetILNS1_3genE2ELNS1_11target_archE906ELNS1_3gpuE6ELNS1_3repE0EEENS1_30default_config_static_selectorELNS0_4arch9wavefront6targetE0EEEvSR_.has_recursion, 0
	.set _ZN7rocprim17ROCPRIM_400000_NS6detail17trampoline_kernelINS0_14default_configENS1_32segmented_reduce_config_selectorIN3c104HalfEEEZNS1_21segmented_reduce_implIS3_PKS6_PS6_PKlS6_N6hipcub16HIPCUB_304000_NS6detail27convert_result_type_wrapperISA_SB_N2at6native12_GLOBAL__N_19CustomSumEEEEE10hipError_tPvRmT0_T1_jT2_SS_T4_T3_P12ihipStream_tbEUlT_E_NS1_11comp_targetILNS1_3genE2ELNS1_11target_archE906ELNS1_3gpuE6ELNS1_3repE0EEENS1_30default_config_static_selectorELNS0_4arch9wavefront6targetE0EEEvSR_.has_indirect_call, 0
	.section	.AMDGPU.csdata,"",@progbits
; Kernel info:
; codeLenInByte = 0
; TotalNumSgprs: 0
; NumVgprs: 0
; ScratchSize: 0
; MemoryBound: 0
; FloatMode: 240
; IeeeMode: 1
; LDSByteSize: 0 bytes/workgroup (compile time only)
; SGPRBlocks: 0
; VGPRBlocks: 0
; NumSGPRsForWavesPerEU: 1
; NumVGPRsForWavesPerEU: 1
; NamedBarCnt: 0
; Occupancy: 16
; WaveLimiterHint : 0
; COMPUTE_PGM_RSRC2:SCRATCH_EN: 0
; COMPUTE_PGM_RSRC2:USER_SGPR: 2
; COMPUTE_PGM_RSRC2:TRAP_HANDLER: 0
; COMPUTE_PGM_RSRC2:TGID_X_EN: 1
; COMPUTE_PGM_RSRC2:TGID_Y_EN: 0
; COMPUTE_PGM_RSRC2:TGID_Z_EN: 0
; COMPUTE_PGM_RSRC2:TIDIG_COMP_CNT: 0
	.section	.text._ZN7rocprim17ROCPRIM_400000_NS6detail17trampoline_kernelINS0_14default_configENS1_32segmented_reduce_config_selectorIN3c104HalfEEEZNS1_21segmented_reduce_implIS3_PKS6_PS6_PKlS6_N6hipcub16HIPCUB_304000_NS6detail27convert_result_type_wrapperISA_SB_N2at6native12_GLOBAL__N_19CustomSumEEEEE10hipError_tPvRmT0_T1_jT2_SS_T4_T3_P12ihipStream_tbEUlT_E_NS1_11comp_targetILNS1_3genE9ELNS1_11target_archE1100ELNS1_3gpuE3ELNS1_3repE0EEENS1_30default_config_static_selectorELNS0_4arch9wavefront6targetE0EEEvSR_,"axG",@progbits,_ZN7rocprim17ROCPRIM_400000_NS6detail17trampoline_kernelINS0_14default_configENS1_32segmented_reduce_config_selectorIN3c104HalfEEEZNS1_21segmented_reduce_implIS3_PKS6_PS6_PKlS6_N6hipcub16HIPCUB_304000_NS6detail27convert_result_type_wrapperISA_SB_N2at6native12_GLOBAL__N_19CustomSumEEEEE10hipError_tPvRmT0_T1_jT2_SS_T4_T3_P12ihipStream_tbEUlT_E_NS1_11comp_targetILNS1_3genE9ELNS1_11target_archE1100ELNS1_3gpuE3ELNS1_3repE0EEENS1_30default_config_static_selectorELNS0_4arch9wavefront6targetE0EEEvSR_,comdat
	.globl	_ZN7rocprim17ROCPRIM_400000_NS6detail17trampoline_kernelINS0_14default_configENS1_32segmented_reduce_config_selectorIN3c104HalfEEEZNS1_21segmented_reduce_implIS3_PKS6_PS6_PKlS6_N6hipcub16HIPCUB_304000_NS6detail27convert_result_type_wrapperISA_SB_N2at6native12_GLOBAL__N_19CustomSumEEEEE10hipError_tPvRmT0_T1_jT2_SS_T4_T3_P12ihipStream_tbEUlT_E_NS1_11comp_targetILNS1_3genE9ELNS1_11target_archE1100ELNS1_3gpuE3ELNS1_3repE0EEENS1_30default_config_static_selectorELNS0_4arch9wavefront6targetE0EEEvSR_ ; -- Begin function _ZN7rocprim17ROCPRIM_400000_NS6detail17trampoline_kernelINS0_14default_configENS1_32segmented_reduce_config_selectorIN3c104HalfEEEZNS1_21segmented_reduce_implIS3_PKS6_PS6_PKlS6_N6hipcub16HIPCUB_304000_NS6detail27convert_result_type_wrapperISA_SB_N2at6native12_GLOBAL__N_19CustomSumEEEEE10hipError_tPvRmT0_T1_jT2_SS_T4_T3_P12ihipStream_tbEUlT_E_NS1_11comp_targetILNS1_3genE9ELNS1_11target_archE1100ELNS1_3gpuE3ELNS1_3repE0EEENS1_30default_config_static_selectorELNS0_4arch9wavefront6targetE0EEEvSR_
	.p2align	8
	.type	_ZN7rocprim17ROCPRIM_400000_NS6detail17trampoline_kernelINS0_14default_configENS1_32segmented_reduce_config_selectorIN3c104HalfEEEZNS1_21segmented_reduce_implIS3_PKS6_PS6_PKlS6_N6hipcub16HIPCUB_304000_NS6detail27convert_result_type_wrapperISA_SB_N2at6native12_GLOBAL__N_19CustomSumEEEEE10hipError_tPvRmT0_T1_jT2_SS_T4_T3_P12ihipStream_tbEUlT_E_NS1_11comp_targetILNS1_3genE9ELNS1_11target_archE1100ELNS1_3gpuE3ELNS1_3repE0EEENS1_30default_config_static_selectorELNS0_4arch9wavefront6targetE0EEEvSR_,@function
_ZN7rocprim17ROCPRIM_400000_NS6detail17trampoline_kernelINS0_14default_configENS1_32segmented_reduce_config_selectorIN3c104HalfEEEZNS1_21segmented_reduce_implIS3_PKS6_PS6_PKlS6_N6hipcub16HIPCUB_304000_NS6detail27convert_result_type_wrapperISA_SB_N2at6native12_GLOBAL__N_19CustomSumEEEEE10hipError_tPvRmT0_T1_jT2_SS_T4_T3_P12ihipStream_tbEUlT_E_NS1_11comp_targetILNS1_3genE9ELNS1_11target_archE1100ELNS1_3gpuE3ELNS1_3repE0EEENS1_30default_config_static_selectorELNS0_4arch9wavefront6targetE0EEEvSR_: ; @_ZN7rocprim17ROCPRIM_400000_NS6detail17trampoline_kernelINS0_14default_configENS1_32segmented_reduce_config_selectorIN3c104HalfEEEZNS1_21segmented_reduce_implIS3_PKS6_PS6_PKlS6_N6hipcub16HIPCUB_304000_NS6detail27convert_result_type_wrapperISA_SB_N2at6native12_GLOBAL__N_19CustomSumEEEEE10hipError_tPvRmT0_T1_jT2_SS_T4_T3_P12ihipStream_tbEUlT_E_NS1_11comp_targetILNS1_3genE9ELNS1_11target_archE1100ELNS1_3gpuE3ELNS1_3repE0EEENS1_30default_config_static_selectorELNS0_4arch9wavefront6targetE0EEEvSR_
; %bb.0:
	.section	.rodata,"a",@progbits
	.p2align	6, 0x0
	.amdhsa_kernel _ZN7rocprim17ROCPRIM_400000_NS6detail17trampoline_kernelINS0_14default_configENS1_32segmented_reduce_config_selectorIN3c104HalfEEEZNS1_21segmented_reduce_implIS3_PKS6_PS6_PKlS6_N6hipcub16HIPCUB_304000_NS6detail27convert_result_type_wrapperISA_SB_N2at6native12_GLOBAL__N_19CustomSumEEEEE10hipError_tPvRmT0_T1_jT2_SS_T4_T3_P12ihipStream_tbEUlT_E_NS1_11comp_targetILNS1_3genE9ELNS1_11target_archE1100ELNS1_3gpuE3ELNS1_3repE0EEENS1_30default_config_static_selectorELNS0_4arch9wavefront6targetE0EEEvSR_
		.amdhsa_group_segment_fixed_size 0
		.amdhsa_private_segment_fixed_size 0
		.amdhsa_kernarg_size 48
		.amdhsa_user_sgpr_count 2
		.amdhsa_user_sgpr_dispatch_ptr 0
		.amdhsa_user_sgpr_queue_ptr 0
		.amdhsa_user_sgpr_kernarg_segment_ptr 1
		.amdhsa_user_sgpr_dispatch_id 0
		.amdhsa_user_sgpr_kernarg_preload_length 0
		.amdhsa_user_sgpr_kernarg_preload_offset 0
		.amdhsa_user_sgpr_private_segment_size 0
		.amdhsa_wavefront_size32 1
		.amdhsa_uses_dynamic_stack 0
		.amdhsa_enable_private_segment 0
		.amdhsa_system_sgpr_workgroup_id_x 1
		.amdhsa_system_sgpr_workgroup_id_y 0
		.amdhsa_system_sgpr_workgroup_id_z 0
		.amdhsa_system_sgpr_workgroup_info 0
		.amdhsa_system_vgpr_workitem_id 0
		.amdhsa_next_free_vgpr 1
		.amdhsa_next_free_sgpr 1
		.amdhsa_named_barrier_count 0
		.amdhsa_reserve_vcc 0
		.amdhsa_float_round_mode_32 0
		.amdhsa_float_round_mode_16_64 0
		.amdhsa_float_denorm_mode_32 3
		.amdhsa_float_denorm_mode_16_64 3
		.amdhsa_fp16_overflow 0
		.amdhsa_memory_ordered 1
		.amdhsa_forward_progress 1
		.amdhsa_inst_pref_size 0
		.amdhsa_round_robin_scheduling 0
		.amdhsa_exception_fp_ieee_invalid_op 0
		.amdhsa_exception_fp_denorm_src 0
		.amdhsa_exception_fp_ieee_div_zero 0
		.amdhsa_exception_fp_ieee_overflow 0
		.amdhsa_exception_fp_ieee_underflow 0
		.amdhsa_exception_fp_ieee_inexact 0
		.amdhsa_exception_int_div_zero 0
	.end_amdhsa_kernel
	.section	.text._ZN7rocprim17ROCPRIM_400000_NS6detail17trampoline_kernelINS0_14default_configENS1_32segmented_reduce_config_selectorIN3c104HalfEEEZNS1_21segmented_reduce_implIS3_PKS6_PS6_PKlS6_N6hipcub16HIPCUB_304000_NS6detail27convert_result_type_wrapperISA_SB_N2at6native12_GLOBAL__N_19CustomSumEEEEE10hipError_tPvRmT0_T1_jT2_SS_T4_T3_P12ihipStream_tbEUlT_E_NS1_11comp_targetILNS1_3genE9ELNS1_11target_archE1100ELNS1_3gpuE3ELNS1_3repE0EEENS1_30default_config_static_selectorELNS0_4arch9wavefront6targetE0EEEvSR_,"axG",@progbits,_ZN7rocprim17ROCPRIM_400000_NS6detail17trampoline_kernelINS0_14default_configENS1_32segmented_reduce_config_selectorIN3c104HalfEEEZNS1_21segmented_reduce_implIS3_PKS6_PS6_PKlS6_N6hipcub16HIPCUB_304000_NS6detail27convert_result_type_wrapperISA_SB_N2at6native12_GLOBAL__N_19CustomSumEEEEE10hipError_tPvRmT0_T1_jT2_SS_T4_T3_P12ihipStream_tbEUlT_E_NS1_11comp_targetILNS1_3genE9ELNS1_11target_archE1100ELNS1_3gpuE3ELNS1_3repE0EEENS1_30default_config_static_selectorELNS0_4arch9wavefront6targetE0EEEvSR_,comdat
.Lfunc_end227:
	.size	_ZN7rocprim17ROCPRIM_400000_NS6detail17trampoline_kernelINS0_14default_configENS1_32segmented_reduce_config_selectorIN3c104HalfEEEZNS1_21segmented_reduce_implIS3_PKS6_PS6_PKlS6_N6hipcub16HIPCUB_304000_NS6detail27convert_result_type_wrapperISA_SB_N2at6native12_GLOBAL__N_19CustomSumEEEEE10hipError_tPvRmT0_T1_jT2_SS_T4_T3_P12ihipStream_tbEUlT_E_NS1_11comp_targetILNS1_3genE9ELNS1_11target_archE1100ELNS1_3gpuE3ELNS1_3repE0EEENS1_30default_config_static_selectorELNS0_4arch9wavefront6targetE0EEEvSR_, .Lfunc_end227-_ZN7rocprim17ROCPRIM_400000_NS6detail17trampoline_kernelINS0_14default_configENS1_32segmented_reduce_config_selectorIN3c104HalfEEEZNS1_21segmented_reduce_implIS3_PKS6_PS6_PKlS6_N6hipcub16HIPCUB_304000_NS6detail27convert_result_type_wrapperISA_SB_N2at6native12_GLOBAL__N_19CustomSumEEEEE10hipError_tPvRmT0_T1_jT2_SS_T4_T3_P12ihipStream_tbEUlT_E_NS1_11comp_targetILNS1_3genE9ELNS1_11target_archE1100ELNS1_3gpuE3ELNS1_3repE0EEENS1_30default_config_static_selectorELNS0_4arch9wavefront6targetE0EEEvSR_
                                        ; -- End function
	.set _ZN7rocprim17ROCPRIM_400000_NS6detail17trampoline_kernelINS0_14default_configENS1_32segmented_reduce_config_selectorIN3c104HalfEEEZNS1_21segmented_reduce_implIS3_PKS6_PS6_PKlS6_N6hipcub16HIPCUB_304000_NS6detail27convert_result_type_wrapperISA_SB_N2at6native12_GLOBAL__N_19CustomSumEEEEE10hipError_tPvRmT0_T1_jT2_SS_T4_T3_P12ihipStream_tbEUlT_E_NS1_11comp_targetILNS1_3genE9ELNS1_11target_archE1100ELNS1_3gpuE3ELNS1_3repE0EEENS1_30default_config_static_selectorELNS0_4arch9wavefront6targetE0EEEvSR_.num_vgpr, 0
	.set _ZN7rocprim17ROCPRIM_400000_NS6detail17trampoline_kernelINS0_14default_configENS1_32segmented_reduce_config_selectorIN3c104HalfEEEZNS1_21segmented_reduce_implIS3_PKS6_PS6_PKlS6_N6hipcub16HIPCUB_304000_NS6detail27convert_result_type_wrapperISA_SB_N2at6native12_GLOBAL__N_19CustomSumEEEEE10hipError_tPvRmT0_T1_jT2_SS_T4_T3_P12ihipStream_tbEUlT_E_NS1_11comp_targetILNS1_3genE9ELNS1_11target_archE1100ELNS1_3gpuE3ELNS1_3repE0EEENS1_30default_config_static_selectorELNS0_4arch9wavefront6targetE0EEEvSR_.num_agpr, 0
	.set _ZN7rocprim17ROCPRIM_400000_NS6detail17trampoline_kernelINS0_14default_configENS1_32segmented_reduce_config_selectorIN3c104HalfEEEZNS1_21segmented_reduce_implIS3_PKS6_PS6_PKlS6_N6hipcub16HIPCUB_304000_NS6detail27convert_result_type_wrapperISA_SB_N2at6native12_GLOBAL__N_19CustomSumEEEEE10hipError_tPvRmT0_T1_jT2_SS_T4_T3_P12ihipStream_tbEUlT_E_NS1_11comp_targetILNS1_3genE9ELNS1_11target_archE1100ELNS1_3gpuE3ELNS1_3repE0EEENS1_30default_config_static_selectorELNS0_4arch9wavefront6targetE0EEEvSR_.numbered_sgpr, 0
	.set _ZN7rocprim17ROCPRIM_400000_NS6detail17trampoline_kernelINS0_14default_configENS1_32segmented_reduce_config_selectorIN3c104HalfEEEZNS1_21segmented_reduce_implIS3_PKS6_PS6_PKlS6_N6hipcub16HIPCUB_304000_NS6detail27convert_result_type_wrapperISA_SB_N2at6native12_GLOBAL__N_19CustomSumEEEEE10hipError_tPvRmT0_T1_jT2_SS_T4_T3_P12ihipStream_tbEUlT_E_NS1_11comp_targetILNS1_3genE9ELNS1_11target_archE1100ELNS1_3gpuE3ELNS1_3repE0EEENS1_30default_config_static_selectorELNS0_4arch9wavefront6targetE0EEEvSR_.num_named_barrier, 0
	.set _ZN7rocprim17ROCPRIM_400000_NS6detail17trampoline_kernelINS0_14default_configENS1_32segmented_reduce_config_selectorIN3c104HalfEEEZNS1_21segmented_reduce_implIS3_PKS6_PS6_PKlS6_N6hipcub16HIPCUB_304000_NS6detail27convert_result_type_wrapperISA_SB_N2at6native12_GLOBAL__N_19CustomSumEEEEE10hipError_tPvRmT0_T1_jT2_SS_T4_T3_P12ihipStream_tbEUlT_E_NS1_11comp_targetILNS1_3genE9ELNS1_11target_archE1100ELNS1_3gpuE3ELNS1_3repE0EEENS1_30default_config_static_selectorELNS0_4arch9wavefront6targetE0EEEvSR_.private_seg_size, 0
	.set _ZN7rocprim17ROCPRIM_400000_NS6detail17trampoline_kernelINS0_14default_configENS1_32segmented_reduce_config_selectorIN3c104HalfEEEZNS1_21segmented_reduce_implIS3_PKS6_PS6_PKlS6_N6hipcub16HIPCUB_304000_NS6detail27convert_result_type_wrapperISA_SB_N2at6native12_GLOBAL__N_19CustomSumEEEEE10hipError_tPvRmT0_T1_jT2_SS_T4_T3_P12ihipStream_tbEUlT_E_NS1_11comp_targetILNS1_3genE9ELNS1_11target_archE1100ELNS1_3gpuE3ELNS1_3repE0EEENS1_30default_config_static_selectorELNS0_4arch9wavefront6targetE0EEEvSR_.uses_vcc, 0
	.set _ZN7rocprim17ROCPRIM_400000_NS6detail17trampoline_kernelINS0_14default_configENS1_32segmented_reduce_config_selectorIN3c104HalfEEEZNS1_21segmented_reduce_implIS3_PKS6_PS6_PKlS6_N6hipcub16HIPCUB_304000_NS6detail27convert_result_type_wrapperISA_SB_N2at6native12_GLOBAL__N_19CustomSumEEEEE10hipError_tPvRmT0_T1_jT2_SS_T4_T3_P12ihipStream_tbEUlT_E_NS1_11comp_targetILNS1_3genE9ELNS1_11target_archE1100ELNS1_3gpuE3ELNS1_3repE0EEENS1_30default_config_static_selectorELNS0_4arch9wavefront6targetE0EEEvSR_.uses_flat_scratch, 0
	.set _ZN7rocprim17ROCPRIM_400000_NS6detail17trampoline_kernelINS0_14default_configENS1_32segmented_reduce_config_selectorIN3c104HalfEEEZNS1_21segmented_reduce_implIS3_PKS6_PS6_PKlS6_N6hipcub16HIPCUB_304000_NS6detail27convert_result_type_wrapperISA_SB_N2at6native12_GLOBAL__N_19CustomSumEEEEE10hipError_tPvRmT0_T1_jT2_SS_T4_T3_P12ihipStream_tbEUlT_E_NS1_11comp_targetILNS1_3genE9ELNS1_11target_archE1100ELNS1_3gpuE3ELNS1_3repE0EEENS1_30default_config_static_selectorELNS0_4arch9wavefront6targetE0EEEvSR_.has_dyn_sized_stack, 0
	.set _ZN7rocprim17ROCPRIM_400000_NS6detail17trampoline_kernelINS0_14default_configENS1_32segmented_reduce_config_selectorIN3c104HalfEEEZNS1_21segmented_reduce_implIS3_PKS6_PS6_PKlS6_N6hipcub16HIPCUB_304000_NS6detail27convert_result_type_wrapperISA_SB_N2at6native12_GLOBAL__N_19CustomSumEEEEE10hipError_tPvRmT0_T1_jT2_SS_T4_T3_P12ihipStream_tbEUlT_E_NS1_11comp_targetILNS1_3genE9ELNS1_11target_archE1100ELNS1_3gpuE3ELNS1_3repE0EEENS1_30default_config_static_selectorELNS0_4arch9wavefront6targetE0EEEvSR_.has_recursion, 0
	.set _ZN7rocprim17ROCPRIM_400000_NS6detail17trampoline_kernelINS0_14default_configENS1_32segmented_reduce_config_selectorIN3c104HalfEEEZNS1_21segmented_reduce_implIS3_PKS6_PS6_PKlS6_N6hipcub16HIPCUB_304000_NS6detail27convert_result_type_wrapperISA_SB_N2at6native12_GLOBAL__N_19CustomSumEEEEE10hipError_tPvRmT0_T1_jT2_SS_T4_T3_P12ihipStream_tbEUlT_E_NS1_11comp_targetILNS1_3genE9ELNS1_11target_archE1100ELNS1_3gpuE3ELNS1_3repE0EEENS1_30default_config_static_selectorELNS0_4arch9wavefront6targetE0EEEvSR_.has_indirect_call, 0
	.section	.AMDGPU.csdata,"",@progbits
; Kernel info:
; codeLenInByte = 0
; TotalNumSgprs: 0
; NumVgprs: 0
; ScratchSize: 0
; MemoryBound: 0
; FloatMode: 240
; IeeeMode: 1
; LDSByteSize: 0 bytes/workgroup (compile time only)
; SGPRBlocks: 0
; VGPRBlocks: 0
; NumSGPRsForWavesPerEU: 1
; NumVGPRsForWavesPerEU: 1
; NamedBarCnt: 0
; Occupancy: 16
; WaveLimiterHint : 0
; COMPUTE_PGM_RSRC2:SCRATCH_EN: 0
; COMPUTE_PGM_RSRC2:USER_SGPR: 2
; COMPUTE_PGM_RSRC2:TRAP_HANDLER: 0
; COMPUTE_PGM_RSRC2:TGID_X_EN: 1
; COMPUTE_PGM_RSRC2:TGID_Y_EN: 0
; COMPUTE_PGM_RSRC2:TGID_Z_EN: 0
; COMPUTE_PGM_RSRC2:TIDIG_COMP_CNT: 0
	.section	.text._ZN7rocprim17ROCPRIM_400000_NS6detail17trampoline_kernelINS0_14default_configENS1_32segmented_reduce_config_selectorIN3c104HalfEEEZNS1_21segmented_reduce_implIS3_PKS6_PS6_PKlS6_N6hipcub16HIPCUB_304000_NS6detail27convert_result_type_wrapperISA_SB_N2at6native12_GLOBAL__N_19CustomSumEEEEE10hipError_tPvRmT0_T1_jT2_SS_T4_T3_P12ihipStream_tbEUlT_E_NS1_11comp_targetILNS1_3genE8ELNS1_11target_archE1030ELNS1_3gpuE2ELNS1_3repE0EEENS1_30default_config_static_selectorELNS0_4arch9wavefront6targetE0EEEvSR_,"axG",@progbits,_ZN7rocprim17ROCPRIM_400000_NS6detail17trampoline_kernelINS0_14default_configENS1_32segmented_reduce_config_selectorIN3c104HalfEEEZNS1_21segmented_reduce_implIS3_PKS6_PS6_PKlS6_N6hipcub16HIPCUB_304000_NS6detail27convert_result_type_wrapperISA_SB_N2at6native12_GLOBAL__N_19CustomSumEEEEE10hipError_tPvRmT0_T1_jT2_SS_T4_T3_P12ihipStream_tbEUlT_E_NS1_11comp_targetILNS1_3genE8ELNS1_11target_archE1030ELNS1_3gpuE2ELNS1_3repE0EEENS1_30default_config_static_selectorELNS0_4arch9wavefront6targetE0EEEvSR_,comdat
	.globl	_ZN7rocprim17ROCPRIM_400000_NS6detail17trampoline_kernelINS0_14default_configENS1_32segmented_reduce_config_selectorIN3c104HalfEEEZNS1_21segmented_reduce_implIS3_PKS6_PS6_PKlS6_N6hipcub16HIPCUB_304000_NS6detail27convert_result_type_wrapperISA_SB_N2at6native12_GLOBAL__N_19CustomSumEEEEE10hipError_tPvRmT0_T1_jT2_SS_T4_T3_P12ihipStream_tbEUlT_E_NS1_11comp_targetILNS1_3genE8ELNS1_11target_archE1030ELNS1_3gpuE2ELNS1_3repE0EEENS1_30default_config_static_selectorELNS0_4arch9wavefront6targetE0EEEvSR_ ; -- Begin function _ZN7rocprim17ROCPRIM_400000_NS6detail17trampoline_kernelINS0_14default_configENS1_32segmented_reduce_config_selectorIN3c104HalfEEEZNS1_21segmented_reduce_implIS3_PKS6_PS6_PKlS6_N6hipcub16HIPCUB_304000_NS6detail27convert_result_type_wrapperISA_SB_N2at6native12_GLOBAL__N_19CustomSumEEEEE10hipError_tPvRmT0_T1_jT2_SS_T4_T3_P12ihipStream_tbEUlT_E_NS1_11comp_targetILNS1_3genE8ELNS1_11target_archE1030ELNS1_3gpuE2ELNS1_3repE0EEENS1_30default_config_static_selectorELNS0_4arch9wavefront6targetE0EEEvSR_
	.p2align	8
	.type	_ZN7rocprim17ROCPRIM_400000_NS6detail17trampoline_kernelINS0_14default_configENS1_32segmented_reduce_config_selectorIN3c104HalfEEEZNS1_21segmented_reduce_implIS3_PKS6_PS6_PKlS6_N6hipcub16HIPCUB_304000_NS6detail27convert_result_type_wrapperISA_SB_N2at6native12_GLOBAL__N_19CustomSumEEEEE10hipError_tPvRmT0_T1_jT2_SS_T4_T3_P12ihipStream_tbEUlT_E_NS1_11comp_targetILNS1_3genE8ELNS1_11target_archE1030ELNS1_3gpuE2ELNS1_3repE0EEENS1_30default_config_static_selectorELNS0_4arch9wavefront6targetE0EEEvSR_,@function
_ZN7rocprim17ROCPRIM_400000_NS6detail17trampoline_kernelINS0_14default_configENS1_32segmented_reduce_config_selectorIN3c104HalfEEEZNS1_21segmented_reduce_implIS3_PKS6_PS6_PKlS6_N6hipcub16HIPCUB_304000_NS6detail27convert_result_type_wrapperISA_SB_N2at6native12_GLOBAL__N_19CustomSumEEEEE10hipError_tPvRmT0_T1_jT2_SS_T4_T3_P12ihipStream_tbEUlT_E_NS1_11comp_targetILNS1_3genE8ELNS1_11target_archE1030ELNS1_3gpuE2ELNS1_3repE0EEENS1_30default_config_static_selectorELNS0_4arch9wavefront6targetE0EEEvSR_: ; @_ZN7rocprim17ROCPRIM_400000_NS6detail17trampoline_kernelINS0_14default_configENS1_32segmented_reduce_config_selectorIN3c104HalfEEEZNS1_21segmented_reduce_implIS3_PKS6_PS6_PKlS6_N6hipcub16HIPCUB_304000_NS6detail27convert_result_type_wrapperISA_SB_N2at6native12_GLOBAL__N_19CustomSumEEEEE10hipError_tPvRmT0_T1_jT2_SS_T4_T3_P12ihipStream_tbEUlT_E_NS1_11comp_targetILNS1_3genE8ELNS1_11target_archE1030ELNS1_3gpuE2ELNS1_3repE0EEENS1_30default_config_static_selectorELNS0_4arch9wavefront6targetE0EEEvSR_
; %bb.0:
	.section	.rodata,"a",@progbits
	.p2align	6, 0x0
	.amdhsa_kernel _ZN7rocprim17ROCPRIM_400000_NS6detail17trampoline_kernelINS0_14default_configENS1_32segmented_reduce_config_selectorIN3c104HalfEEEZNS1_21segmented_reduce_implIS3_PKS6_PS6_PKlS6_N6hipcub16HIPCUB_304000_NS6detail27convert_result_type_wrapperISA_SB_N2at6native12_GLOBAL__N_19CustomSumEEEEE10hipError_tPvRmT0_T1_jT2_SS_T4_T3_P12ihipStream_tbEUlT_E_NS1_11comp_targetILNS1_3genE8ELNS1_11target_archE1030ELNS1_3gpuE2ELNS1_3repE0EEENS1_30default_config_static_selectorELNS0_4arch9wavefront6targetE0EEEvSR_
		.amdhsa_group_segment_fixed_size 0
		.amdhsa_private_segment_fixed_size 0
		.amdhsa_kernarg_size 48
		.amdhsa_user_sgpr_count 2
		.amdhsa_user_sgpr_dispatch_ptr 0
		.amdhsa_user_sgpr_queue_ptr 0
		.amdhsa_user_sgpr_kernarg_segment_ptr 1
		.amdhsa_user_sgpr_dispatch_id 0
		.amdhsa_user_sgpr_kernarg_preload_length 0
		.amdhsa_user_sgpr_kernarg_preload_offset 0
		.amdhsa_user_sgpr_private_segment_size 0
		.amdhsa_wavefront_size32 1
		.amdhsa_uses_dynamic_stack 0
		.amdhsa_enable_private_segment 0
		.amdhsa_system_sgpr_workgroup_id_x 1
		.amdhsa_system_sgpr_workgroup_id_y 0
		.amdhsa_system_sgpr_workgroup_id_z 0
		.amdhsa_system_sgpr_workgroup_info 0
		.amdhsa_system_vgpr_workitem_id 0
		.amdhsa_next_free_vgpr 1
		.amdhsa_next_free_sgpr 1
		.amdhsa_named_barrier_count 0
		.amdhsa_reserve_vcc 0
		.amdhsa_float_round_mode_32 0
		.amdhsa_float_round_mode_16_64 0
		.amdhsa_float_denorm_mode_32 3
		.amdhsa_float_denorm_mode_16_64 3
		.amdhsa_fp16_overflow 0
		.amdhsa_memory_ordered 1
		.amdhsa_forward_progress 1
		.amdhsa_inst_pref_size 0
		.amdhsa_round_robin_scheduling 0
		.amdhsa_exception_fp_ieee_invalid_op 0
		.amdhsa_exception_fp_denorm_src 0
		.amdhsa_exception_fp_ieee_div_zero 0
		.amdhsa_exception_fp_ieee_overflow 0
		.amdhsa_exception_fp_ieee_underflow 0
		.amdhsa_exception_fp_ieee_inexact 0
		.amdhsa_exception_int_div_zero 0
	.end_amdhsa_kernel
	.section	.text._ZN7rocprim17ROCPRIM_400000_NS6detail17trampoline_kernelINS0_14default_configENS1_32segmented_reduce_config_selectorIN3c104HalfEEEZNS1_21segmented_reduce_implIS3_PKS6_PS6_PKlS6_N6hipcub16HIPCUB_304000_NS6detail27convert_result_type_wrapperISA_SB_N2at6native12_GLOBAL__N_19CustomSumEEEEE10hipError_tPvRmT0_T1_jT2_SS_T4_T3_P12ihipStream_tbEUlT_E_NS1_11comp_targetILNS1_3genE8ELNS1_11target_archE1030ELNS1_3gpuE2ELNS1_3repE0EEENS1_30default_config_static_selectorELNS0_4arch9wavefront6targetE0EEEvSR_,"axG",@progbits,_ZN7rocprim17ROCPRIM_400000_NS6detail17trampoline_kernelINS0_14default_configENS1_32segmented_reduce_config_selectorIN3c104HalfEEEZNS1_21segmented_reduce_implIS3_PKS6_PS6_PKlS6_N6hipcub16HIPCUB_304000_NS6detail27convert_result_type_wrapperISA_SB_N2at6native12_GLOBAL__N_19CustomSumEEEEE10hipError_tPvRmT0_T1_jT2_SS_T4_T3_P12ihipStream_tbEUlT_E_NS1_11comp_targetILNS1_3genE8ELNS1_11target_archE1030ELNS1_3gpuE2ELNS1_3repE0EEENS1_30default_config_static_selectorELNS0_4arch9wavefront6targetE0EEEvSR_,comdat
.Lfunc_end228:
	.size	_ZN7rocprim17ROCPRIM_400000_NS6detail17trampoline_kernelINS0_14default_configENS1_32segmented_reduce_config_selectorIN3c104HalfEEEZNS1_21segmented_reduce_implIS3_PKS6_PS6_PKlS6_N6hipcub16HIPCUB_304000_NS6detail27convert_result_type_wrapperISA_SB_N2at6native12_GLOBAL__N_19CustomSumEEEEE10hipError_tPvRmT0_T1_jT2_SS_T4_T3_P12ihipStream_tbEUlT_E_NS1_11comp_targetILNS1_3genE8ELNS1_11target_archE1030ELNS1_3gpuE2ELNS1_3repE0EEENS1_30default_config_static_selectorELNS0_4arch9wavefront6targetE0EEEvSR_, .Lfunc_end228-_ZN7rocprim17ROCPRIM_400000_NS6detail17trampoline_kernelINS0_14default_configENS1_32segmented_reduce_config_selectorIN3c104HalfEEEZNS1_21segmented_reduce_implIS3_PKS6_PS6_PKlS6_N6hipcub16HIPCUB_304000_NS6detail27convert_result_type_wrapperISA_SB_N2at6native12_GLOBAL__N_19CustomSumEEEEE10hipError_tPvRmT0_T1_jT2_SS_T4_T3_P12ihipStream_tbEUlT_E_NS1_11comp_targetILNS1_3genE8ELNS1_11target_archE1030ELNS1_3gpuE2ELNS1_3repE0EEENS1_30default_config_static_selectorELNS0_4arch9wavefront6targetE0EEEvSR_
                                        ; -- End function
	.set _ZN7rocprim17ROCPRIM_400000_NS6detail17trampoline_kernelINS0_14default_configENS1_32segmented_reduce_config_selectorIN3c104HalfEEEZNS1_21segmented_reduce_implIS3_PKS6_PS6_PKlS6_N6hipcub16HIPCUB_304000_NS6detail27convert_result_type_wrapperISA_SB_N2at6native12_GLOBAL__N_19CustomSumEEEEE10hipError_tPvRmT0_T1_jT2_SS_T4_T3_P12ihipStream_tbEUlT_E_NS1_11comp_targetILNS1_3genE8ELNS1_11target_archE1030ELNS1_3gpuE2ELNS1_3repE0EEENS1_30default_config_static_selectorELNS0_4arch9wavefront6targetE0EEEvSR_.num_vgpr, 0
	.set _ZN7rocprim17ROCPRIM_400000_NS6detail17trampoline_kernelINS0_14default_configENS1_32segmented_reduce_config_selectorIN3c104HalfEEEZNS1_21segmented_reduce_implIS3_PKS6_PS6_PKlS6_N6hipcub16HIPCUB_304000_NS6detail27convert_result_type_wrapperISA_SB_N2at6native12_GLOBAL__N_19CustomSumEEEEE10hipError_tPvRmT0_T1_jT2_SS_T4_T3_P12ihipStream_tbEUlT_E_NS1_11comp_targetILNS1_3genE8ELNS1_11target_archE1030ELNS1_3gpuE2ELNS1_3repE0EEENS1_30default_config_static_selectorELNS0_4arch9wavefront6targetE0EEEvSR_.num_agpr, 0
	.set _ZN7rocprim17ROCPRIM_400000_NS6detail17trampoline_kernelINS0_14default_configENS1_32segmented_reduce_config_selectorIN3c104HalfEEEZNS1_21segmented_reduce_implIS3_PKS6_PS6_PKlS6_N6hipcub16HIPCUB_304000_NS6detail27convert_result_type_wrapperISA_SB_N2at6native12_GLOBAL__N_19CustomSumEEEEE10hipError_tPvRmT0_T1_jT2_SS_T4_T3_P12ihipStream_tbEUlT_E_NS1_11comp_targetILNS1_3genE8ELNS1_11target_archE1030ELNS1_3gpuE2ELNS1_3repE0EEENS1_30default_config_static_selectorELNS0_4arch9wavefront6targetE0EEEvSR_.numbered_sgpr, 0
	.set _ZN7rocprim17ROCPRIM_400000_NS6detail17trampoline_kernelINS0_14default_configENS1_32segmented_reduce_config_selectorIN3c104HalfEEEZNS1_21segmented_reduce_implIS3_PKS6_PS6_PKlS6_N6hipcub16HIPCUB_304000_NS6detail27convert_result_type_wrapperISA_SB_N2at6native12_GLOBAL__N_19CustomSumEEEEE10hipError_tPvRmT0_T1_jT2_SS_T4_T3_P12ihipStream_tbEUlT_E_NS1_11comp_targetILNS1_3genE8ELNS1_11target_archE1030ELNS1_3gpuE2ELNS1_3repE0EEENS1_30default_config_static_selectorELNS0_4arch9wavefront6targetE0EEEvSR_.num_named_barrier, 0
	.set _ZN7rocprim17ROCPRIM_400000_NS6detail17trampoline_kernelINS0_14default_configENS1_32segmented_reduce_config_selectorIN3c104HalfEEEZNS1_21segmented_reduce_implIS3_PKS6_PS6_PKlS6_N6hipcub16HIPCUB_304000_NS6detail27convert_result_type_wrapperISA_SB_N2at6native12_GLOBAL__N_19CustomSumEEEEE10hipError_tPvRmT0_T1_jT2_SS_T4_T3_P12ihipStream_tbEUlT_E_NS1_11comp_targetILNS1_3genE8ELNS1_11target_archE1030ELNS1_3gpuE2ELNS1_3repE0EEENS1_30default_config_static_selectorELNS0_4arch9wavefront6targetE0EEEvSR_.private_seg_size, 0
	.set _ZN7rocprim17ROCPRIM_400000_NS6detail17trampoline_kernelINS0_14default_configENS1_32segmented_reduce_config_selectorIN3c104HalfEEEZNS1_21segmented_reduce_implIS3_PKS6_PS6_PKlS6_N6hipcub16HIPCUB_304000_NS6detail27convert_result_type_wrapperISA_SB_N2at6native12_GLOBAL__N_19CustomSumEEEEE10hipError_tPvRmT0_T1_jT2_SS_T4_T3_P12ihipStream_tbEUlT_E_NS1_11comp_targetILNS1_3genE8ELNS1_11target_archE1030ELNS1_3gpuE2ELNS1_3repE0EEENS1_30default_config_static_selectorELNS0_4arch9wavefront6targetE0EEEvSR_.uses_vcc, 0
	.set _ZN7rocprim17ROCPRIM_400000_NS6detail17trampoline_kernelINS0_14default_configENS1_32segmented_reduce_config_selectorIN3c104HalfEEEZNS1_21segmented_reduce_implIS3_PKS6_PS6_PKlS6_N6hipcub16HIPCUB_304000_NS6detail27convert_result_type_wrapperISA_SB_N2at6native12_GLOBAL__N_19CustomSumEEEEE10hipError_tPvRmT0_T1_jT2_SS_T4_T3_P12ihipStream_tbEUlT_E_NS1_11comp_targetILNS1_3genE8ELNS1_11target_archE1030ELNS1_3gpuE2ELNS1_3repE0EEENS1_30default_config_static_selectorELNS0_4arch9wavefront6targetE0EEEvSR_.uses_flat_scratch, 0
	.set _ZN7rocprim17ROCPRIM_400000_NS6detail17trampoline_kernelINS0_14default_configENS1_32segmented_reduce_config_selectorIN3c104HalfEEEZNS1_21segmented_reduce_implIS3_PKS6_PS6_PKlS6_N6hipcub16HIPCUB_304000_NS6detail27convert_result_type_wrapperISA_SB_N2at6native12_GLOBAL__N_19CustomSumEEEEE10hipError_tPvRmT0_T1_jT2_SS_T4_T3_P12ihipStream_tbEUlT_E_NS1_11comp_targetILNS1_3genE8ELNS1_11target_archE1030ELNS1_3gpuE2ELNS1_3repE0EEENS1_30default_config_static_selectorELNS0_4arch9wavefront6targetE0EEEvSR_.has_dyn_sized_stack, 0
	.set _ZN7rocprim17ROCPRIM_400000_NS6detail17trampoline_kernelINS0_14default_configENS1_32segmented_reduce_config_selectorIN3c104HalfEEEZNS1_21segmented_reduce_implIS3_PKS6_PS6_PKlS6_N6hipcub16HIPCUB_304000_NS6detail27convert_result_type_wrapperISA_SB_N2at6native12_GLOBAL__N_19CustomSumEEEEE10hipError_tPvRmT0_T1_jT2_SS_T4_T3_P12ihipStream_tbEUlT_E_NS1_11comp_targetILNS1_3genE8ELNS1_11target_archE1030ELNS1_3gpuE2ELNS1_3repE0EEENS1_30default_config_static_selectorELNS0_4arch9wavefront6targetE0EEEvSR_.has_recursion, 0
	.set _ZN7rocprim17ROCPRIM_400000_NS6detail17trampoline_kernelINS0_14default_configENS1_32segmented_reduce_config_selectorIN3c104HalfEEEZNS1_21segmented_reduce_implIS3_PKS6_PS6_PKlS6_N6hipcub16HIPCUB_304000_NS6detail27convert_result_type_wrapperISA_SB_N2at6native12_GLOBAL__N_19CustomSumEEEEE10hipError_tPvRmT0_T1_jT2_SS_T4_T3_P12ihipStream_tbEUlT_E_NS1_11comp_targetILNS1_3genE8ELNS1_11target_archE1030ELNS1_3gpuE2ELNS1_3repE0EEENS1_30default_config_static_selectorELNS0_4arch9wavefront6targetE0EEEvSR_.has_indirect_call, 0
	.section	.AMDGPU.csdata,"",@progbits
; Kernel info:
; codeLenInByte = 0
; TotalNumSgprs: 0
; NumVgprs: 0
; ScratchSize: 0
; MemoryBound: 0
; FloatMode: 240
; IeeeMode: 1
; LDSByteSize: 0 bytes/workgroup (compile time only)
; SGPRBlocks: 0
; VGPRBlocks: 0
; NumSGPRsForWavesPerEU: 1
; NumVGPRsForWavesPerEU: 1
; NamedBarCnt: 0
; Occupancy: 16
; WaveLimiterHint : 0
; COMPUTE_PGM_RSRC2:SCRATCH_EN: 0
; COMPUTE_PGM_RSRC2:USER_SGPR: 2
; COMPUTE_PGM_RSRC2:TRAP_HANDLER: 0
; COMPUTE_PGM_RSRC2:TGID_X_EN: 1
; COMPUTE_PGM_RSRC2:TGID_Y_EN: 0
; COMPUTE_PGM_RSRC2:TGID_Z_EN: 0
; COMPUTE_PGM_RSRC2:TIDIG_COMP_CNT: 0
	.section	.text._ZN2at6native12_GLOBAL__N_119post_sum_div_kernelIN3c104HalfElEEvPT_PKT0_lbS5_,"axG",@progbits,_ZN2at6native12_GLOBAL__N_119post_sum_div_kernelIN3c104HalfElEEvPT_PKT0_lbS5_,comdat
	.globl	_ZN2at6native12_GLOBAL__N_119post_sum_div_kernelIN3c104HalfElEEvPT_PKT0_lbS5_ ; -- Begin function _ZN2at6native12_GLOBAL__N_119post_sum_div_kernelIN3c104HalfElEEvPT_PKT0_lbS5_
	.p2align	8
	.type	_ZN2at6native12_GLOBAL__N_119post_sum_div_kernelIN3c104HalfElEEvPT_PKT0_lbS5_,@function
_ZN2at6native12_GLOBAL__N_119post_sum_div_kernelIN3c104HalfElEEvPT_PKT0_lbS5_: ; @_ZN2at6native12_GLOBAL__N_119post_sum_div_kernelIN3c104HalfElEEvPT_PKT0_lbS5_
; %bb.0:
	s_clause 0x1
	s_load_b32 s4, s[0:1], 0x2c
	s_load_b64 s[2:3], s[0:1], 0x10
	s_bfe_u32 s5, ttmp6, 0x4000c
	s_and_b32 s6, ttmp6, 15
	s_add_co_i32 s5, s5, 1
	s_getreg_b32 s7, hwreg(HW_REG_IB_STS2, 6, 4)
	s_mul_i32 s5, ttmp9, s5
	v_mov_b32_e32 v1, 0
	s_add_co_i32 s6, s6, s5
	s_mov_b32 s9, 0
	s_wait_kmcnt 0x0
	s_and_b32 s8, s4, 0xffff
	s_cmp_eq_u32 s7, 0
	s_cselect_b32 s4, ttmp9, s6
	s_delay_alu instid0(SALU_CYCLE_1) | instskip(SKIP_1) | instid1(VALU_DEP_1)
	v_mad_nc_u64_u32 v[2:3], s8, s4, v[0:1]
	s_mov_b32 s4, exec_lo
	v_cmpx_gt_i64_e64 s[2:3], v[2:3]
	s_cbranch_execz .LBB229_15
; %bb.1:
	s_load_b32 s12, s[0:1], 0x18
	s_add_nc_u64 s[10:11], s[0:1], 32
	s_load_b32 s13, s[10:11], 0x0
	s_load_b128 s[4:7], s[0:1], 0x0
	v_dual_mov_b32 v0, v1 :: v_dual_mov_b32 v1, v2
	v_mov_b32_e32 v8, 0x7e00
	s_wait_xcnt 0x0
	s_mov_b32 s0, s9
                                        ; implicit-def: $sgpr15
                                        ; implicit-def: $sgpr14
	s_wait_kmcnt 0x0
	s_bitcmp1_b32 s12, 0
	s_mul_i32 s8, s13, s8
	s_cselect_b32 s1, -1, 0
	s_lshr_b32 s10, s12, 16
	s_xor_b32 s11, s1, -1
	s_mov_b32 s1, s8
	s_mov_b32 s12, s9
                                        ; implicit-def: $sgpr13
.LBB229_2:                              ; =>This Inner Loop Header: Depth=1
	v_ashrrev_i64 v[4:5], 29, v[0:1]
	s_or_b32 s14, s14, exec_lo
	s_or_b32 s15, s15, exec_lo
	s_mov_b32 s16, exec_lo
	s_delay_alu instid0(VALU_DEP_1)
	v_add_nc_u64_e32 v[4:5], s[6:7], v[4:5]
	global_load_b64 v[6:7], v[4:5], off
	s_wait_loadcnt 0x0
	s_wait_xcnt 0x0
	v_cmpx_lt_i64_e32 -1, v[6:7]
	s_cbranch_execz .LBB229_13
; %bb.3:                                ;   in Loop: Header=BB229_2 Depth=1
	v_dual_mov_b32 v4, v1 :: v_dual_ashrrev_i32 v5, 31, v1
	s_mov_b32 s17, exec_lo
	s_delay_alu instid0(VALU_DEP_1)
	v_lshl_add_u64 v[4:5], v[4:5], 1, s[4:5]
	v_cmpx_ne_u64_e32 0, v[6:7]
	s_xor_b32 s17, exec_lo, s17
	s_cbranch_execz .LBB229_7
; %bb.4:                                ;   in Loop: Header=BB229_2 Depth=1
	global_load_u16 v9, v[4:5], off
	s_mov_b32 s18, exec_lo
	s_wait_loadcnt 0x0
	s_wait_xcnt 0x0
	v_cmpx_o_f16_e32 v9, v9
	s_cbranch_execz .LBB229_6
; %bb.5:                                ;   in Loop: Header=BB229_2 Depth=1
	v_clz_i32_u32_e32 v10, v7
	s_delay_alu instid0(VALU_DEP_1) | instskip(NEXT) | instid1(VALU_DEP_1)
	v_min_u32_e32 v10, 32, v10
	v_lshlrev_b64_e32 v[6:7], v10, v[6:7]
	s_delay_alu instid0(VALU_DEP_1) | instskip(NEXT) | instid1(VALU_DEP_1)
	v_min_u32_e32 v6, 1, v6
	v_or_b32_e32 v6, v7, v6
	v_sub_nc_u32_e32 v7, 32, v10
	v_cvt_f32_f16_e32 v10, v9
	s_delay_alu instid0(VALU_DEP_3) | instskip(NEXT) | instid1(VALU_DEP_1)
	v_cvt_f32_u32_e32 v6, v6
	v_ldexp_f32 v6, v6, v7
	s_delay_alu instid0(VALU_DEP_1) | instskip(NEXT) | instid1(VALU_DEP_1)
	v_cvt_f16_f32_e32 v6, v6
	v_cvt_f32_f16_e32 v7, v6
	s_delay_alu instid0(VALU_DEP_1) | instskip(SKIP_1) | instid1(TRANS32_DEP_1)
	v_rcp_f32_e32 v7, v7
	v_nop
	v_mul_f32_e32 v10, v10, v7
	s_delay_alu instid0(VALU_DEP_1) | instskip(NEXT) | instid1(VALU_DEP_1)
	v_fma_mix_f32 v11, -v6, v10, v9 op_sel_hi:[1,0,1]
	v_fmac_f32_e32 v10, v11, v7
	s_delay_alu instid0(VALU_DEP_1) | instskip(NEXT) | instid1(VALU_DEP_1)
	v_fma_mix_f32 v11, -v6, v10, v9 op_sel_hi:[1,0,1]
	v_mul_f32_e32 v7, v11, v7
	s_delay_alu instid0(VALU_DEP_1) | instskip(NEXT) | instid1(VALU_DEP_1)
	v_and_b32_e32 v7, 0xff800000, v7
	v_add_f32_e32 v7, v7, v10
	s_delay_alu instid0(VALU_DEP_1) | instskip(NEXT) | instid1(VALU_DEP_1)
	v_cvt_f16_f32_e32 v7, v7
	v_div_fixup_f16 v6, v7, v6, v9
	global_store_b16 v[4:5], v6, off
.LBB229_6:                              ;   in Loop: Header=BB229_2 Depth=1
	s_wait_xcnt 0x0
	s_or_b32 exec_lo, exec_lo, s18
                                        ; implicit-def: $vgpr4_vgpr5
.LBB229_7:                              ;   in Loop: Header=BB229_2 Depth=1
	s_and_not1_saveexec_b32 s17, s17
	s_cbranch_execz .LBB229_12
; %bb.8:                                ;   in Loop: Header=BB229_2 Depth=1
	s_and_b32 vcc_lo, exec_lo, s11
	s_mov_b32 s18, -1
	s_cbranch_vccz .LBB229_10
; %bb.9:                                ;   in Loop: Header=BB229_2 Depth=1
	s_mov_b32 s18, 0
	global_store_b16 v[4:5], v8, off
.LBB229_10:                             ;   in Loop: Header=BB229_2 Depth=1
	s_and_not1_b32 vcc_lo, exec_lo, s18
	s_cbranch_vccnz .LBB229_12
; %bb.11:                               ;   in Loop: Header=BB229_2 Depth=1
	v_mov_b32_e32 v6, s10
	global_store_b16 v[4:5], v6, off
.LBB229_12:                             ;   in Loop: Header=BB229_2 Depth=1
	s_wait_xcnt 0x0
	s_or_b32 exec_lo, exec_lo, s17
	v_add_nc_u64_e32 v[2:3], s[8:9], v[2:3]
	v_add_nc_u64_e32 v[0:1], s[0:1], v[0:1]
	s_and_not1_b32 s15, s15, exec_lo
	s_and_not1_b32 s14, s14, exec_lo
	s_delay_alu instid0(VALU_DEP_2) | instskip(SKIP_1) | instid1(SALU_CYCLE_1)
	v_cmp_le_i64_e32 vcc_lo, s[2:3], v[2:3]
	s_and_b32 s17, vcc_lo, exec_lo
	s_or_b32 s15, s15, s17
.LBB229_13:                             ;   in Loop: Header=BB229_2 Depth=1
	s_or_b32 exec_lo, exec_lo, s16
	s_delay_alu instid0(SALU_CYCLE_1) | instskip(NEXT) | instid1(SALU_CYCLE_1)
	s_and_b32 s16, exec_lo, s15
	s_or_b32 s12, s16, s12
	s_and_not1_b32 s13, s13, exec_lo
	s_and_b32 s16, s14, exec_lo
	s_delay_alu instid0(SALU_CYCLE_1)
	s_or_b32 s13, s13, s16
	s_and_not1_b32 exec_lo, exec_lo, s12
	s_cbranch_execnz .LBB229_2
; %bb.14:
	s_or_b32 exec_lo, exec_lo, s12
	s_and_saveexec_b32 s0, s13
	s_delay_alu instid0(SALU_CYCLE_1)
	s_xor_b32 s0, exec_lo, s0
	s_cbranch_execnz .LBB229_16
.LBB229_15:
	s_endpgm
.LBB229_16:
	s_trap 2
	; divergent unreachable
	s_endpgm
	.section	.rodata,"a",@progbits
	.p2align	6, 0x0
	.amdhsa_kernel _ZN2at6native12_GLOBAL__N_119post_sum_div_kernelIN3c104HalfElEEvPT_PKT0_lbS5_
		.amdhsa_group_segment_fixed_size 0
		.amdhsa_private_segment_fixed_size 0
		.amdhsa_kernarg_size 288
		.amdhsa_user_sgpr_count 2
		.amdhsa_user_sgpr_dispatch_ptr 0
		.amdhsa_user_sgpr_queue_ptr 0
		.amdhsa_user_sgpr_kernarg_segment_ptr 1
		.amdhsa_user_sgpr_dispatch_id 0
		.amdhsa_user_sgpr_kernarg_preload_length 0
		.amdhsa_user_sgpr_kernarg_preload_offset 0
		.amdhsa_user_sgpr_private_segment_size 0
		.amdhsa_wavefront_size32 1
		.amdhsa_uses_dynamic_stack 0
		.amdhsa_enable_private_segment 0
		.amdhsa_system_sgpr_workgroup_id_x 1
		.amdhsa_system_sgpr_workgroup_id_y 0
		.amdhsa_system_sgpr_workgroup_id_z 0
		.amdhsa_system_sgpr_workgroup_info 0
		.amdhsa_system_vgpr_workitem_id 0
		.amdhsa_next_free_vgpr 12
		.amdhsa_next_free_sgpr 19
		.amdhsa_named_barrier_count 0
		.amdhsa_reserve_vcc 1
		.amdhsa_float_round_mode_32 0
		.amdhsa_float_round_mode_16_64 0
		.amdhsa_float_denorm_mode_32 3
		.amdhsa_float_denorm_mode_16_64 3
		.amdhsa_fp16_overflow 0
		.amdhsa_memory_ordered 1
		.amdhsa_forward_progress 1
		.amdhsa_inst_pref_size 6
		.amdhsa_round_robin_scheduling 0
		.amdhsa_exception_fp_ieee_invalid_op 0
		.amdhsa_exception_fp_denorm_src 0
		.amdhsa_exception_fp_ieee_div_zero 0
		.amdhsa_exception_fp_ieee_overflow 0
		.amdhsa_exception_fp_ieee_underflow 0
		.amdhsa_exception_fp_ieee_inexact 0
		.amdhsa_exception_int_div_zero 0
	.end_amdhsa_kernel
	.section	.text._ZN2at6native12_GLOBAL__N_119post_sum_div_kernelIN3c104HalfElEEvPT_PKT0_lbS5_,"axG",@progbits,_ZN2at6native12_GLOBAL__N_119post_sum_div_kernelIN3c104HalfElEEvPT_PKT0_lbS5_,comdat
.Lfunc_end229:
	.size	_ZN2at6native12_GLOBAL__N_119post_sum_div_kernelIN3c104HalfElEEvPT_PKT0_lbS5_, .Lfunc_end229-_ZN2at6native12_GLOBAL__N_119post_sum_div_kernelIN3c104HalfElEEvPT_PKT0_lbS5_
                                        ; -- End function
	.set _ZN2at6native12_GLOBAL__N_119post_sum_div_kernelIN3c104HalfElEEvPT_PKT0_lbS5_.num_vgpr, 12
	.set _ZN2at6native12_GLOBAL__N_119post_sum_div_kernelIN3c104HalfElEEvPT_PKT0_lbS5_.num_agpr, 0
	.set _ZN2at6native12_GLOBAL__N_119post_sum_div_kernelIN3c104HalfElEEvPT_PKT0_lbS5_.numbered_sgpr, 19
	.set _ZN2at6native12_GLOBAL__N_119post_sum_div_kernelIN3c104HalfElEEvPT_PKT0_lbS5_.num_named_barrier, 0
	.set _ZN2at6native12_GLOBAL__N_119post_sum_div_kernelIN3c104HalfElEEvPT_PKT0_lbS5_.private_seg_size, 0
	.set _ZN2at6native12_GLOBAL__N_119post_sum_div_kernelIN3c104HalfElEEvPT_PKT0_lbS5_.uses_vcc, 1
	.set _ZN2at6native12_GLOBAL__N_119post_sum_div_kernelIN3c104HalfElEEvPT_PKT0_lbS5_.uses_flat_scratch, 0
	.set _ZN2at6native12_GLOBAL__N_119post_sum_div_kernelIN3c104HalfElEEvPT_PKT0_lbS5_.has_dyn_sized_stack, 0
	.set _ZN2at6native12_GLOBAL__N_119post_sum_div_kernelIN3c104HalfElEEvPT_PKT0_lbS5_.has_recursion, 0
	.set _ZN2at6native12_GLOBAL__N_119post_sum_div_kernelIN3c104HalfElEEvPT_PKT0_lbS5_.has_indirect_call, 0
	.section	.AMDGPU.csdata,"",@progbits
; Kernel info:
; codeLenInByte = 648
; TotalNumSgprs: 21
; NumVgprs: 12
; ScratchSize: 0
; MemoryBound: 0
; FloatMode: 240
; IeeeMode: 1
; LDSByteSize: 0 bytes/workgroup (compile time only)
; SGPRBlocks: 0
; VGPRBlocks: 0
; NumSGPRsForWavesPerEU: 21
; NumVGPRsForWavesPerEU: 12
; NamedBarCnt: 0
; Occupancy: 16
; WaveLimiterHint : 0
; COMPUTE_PGM_RSRC2:SCRATCH_EN: 0
; COMPUTE_PGM_RSRC2:USER_SGPR: 2
; COMPUTE_PGM_RSRC2:TRAP_HANDLER: 0
; COMPUTE_PGM_RSRC2:TGID_X_EN: 1
; COMPUTE_PGM_RSRC2:TGID_Y_EN: 0
; COMPUTE_PGM_RSRC2:TGID_Z_EN: 0
; COMPUTE_PGM_RSRC2:TIDIG_COMP_CNT: 0
	.section	.text._ZN7rocprim17ROCPRIM_400000_NS6detail17trampoline_kernelINS0_14default_configENS1_32segmented_reduce_config_selectorIN3c104HalfEEEZNS1_21segmented_reduce_implIS3_PKS6_PS6_PKlS6_N6hipcub16HIPCUB_304000_NS6detail27convert_result_type_wrapperISA_SB_N2at6native12_GLOBAL__N_19CustomMinEEEEE10hipError_tPvRmT0_T1_jT2_SS_T4_T3_P12ihipStream_tbEUlT_E_NS1_11comp_targetILNS1_3genE0ELNS1_11target_archE4294967295ELNS1_3gpuE0ELNS1_3repE0EEENS1_30default_config_static_selectorELNS0_4arch9wavefront6targetE0EEEvSR_,"axG",@progbits,_ZN7rocprim17ROCPRIM_400000_NS6detail17trampoline_kernelINS0_14default_configENS1_32segmented_reduce_config_selectorIN3c104HalfEEEZNS1_21segmented_reduce_implIS3_PKS6_PS6_PKlS6_N6hipcub16HIPCUB_304000_NS6detail27convert_result_type_wrapperISA_SB_N2at6native12_GLOBAL__N_19CustomMinEEEEE10hipError_tPvRmT0_T1_jT2_SS_T4_T3_P12ihipStream_tbEUlT_E_NS1_11comp_targetILNS1_3genE0ELNS1_11target_archE4294967295ELNS1_3gpuE0ELNS1_3repE0EEENS1_30default_config_static_selectorELNS0_4arch9wavefront6targetE0EEEvSR_,comdat
	.globl	_ZN7rocprim17ROCPRIM_400000_NS6detail17trampoline_kernelINS0_14default_configENS1_32segmented_reduce_config_selectorIN3c104HalfEEEZNS1_21segmented_reduce_implIS3_PKS6_PS6_PKlS6_N6hipcub16HIPCUB_304000_NS6detail27convert_result_type_wrapperISA_SB_N2at6native12_GLOBAL__N_19CustomMinEEEEE10hipError_tPvRmT0_T1_jT2_SS_T4_T3_P12ihipStream_tbEUlT_E_NS1_11comp_targetILNS1_3genE0ELNS1_11target_archE4294967295ELNS1_3gpuE0ELNS1_3repE0EEENS1_30default_config_static_selectorELNS0_4arch9wavefront6targetE0EEEvSR_ ; -- Begin function _ZN7rocprim17ROCPRIM_400000_NS6detail17trampoline_kernelINS0_14default_configENS1_32segmented_reduce_config_selectorIN3c104HalfEEEZNS1_21segmented_reduce_implIS3_PKS6_PS6_PKlS6_N6hipcub16HIPCUB_304000_NS6detail27convert_result_type_wrapperISA_SB_N2at6native12_GLOBAL__N_19CustomMinEEEEE10hipError_tPvRmT0_T1_jT2_SS_T4_T3_P12ihipStream_tbEUlT_E_NS1_11comp_targetILNS1_3genE0ELNS1_11target_archE4294967295ELNS1_3gpuE0ELNS1_3repE0EEENS1_30default_config_static_selectorELNS0_4arch9wavefront6targetE0EEEvSR_
	.p2align	8
	.type	_ZN7rocprim17ROCPRIM_400000_NS6detail17trampoline_kernelINS0_14default_configENS1_32segmented_reduce_config_selectorIN3c104HalfEEEZNS1_21segmented_reduce_implIS3_PKS6_PS6_PKlS6_N6hipcub16HIPCUB_304000_NS6detail27convert_result_type_wrapperISA_SB_N2at6native12_GLOBAL__N_19CustomMinEEEEE10hipError_tPvRmT0_T1_jT2_SS_T4_T3_P12ihipStream_tbEUlT_E_NS1_11comp_targetILNS1_3genE0ELNS1_11target_archE4294967295ELNS1_3gpuE0ELNS1_3repE0EEENS1_30default_config_static_selectorELNS0_4arch9wavefront6targetE0EEEvSR_,@function
_ZN7rocprim17ROCPRIM_400000_NS6detail17trampoline_kernelINS0_14default_configENS1_32segmented_reduce_config_selectorIN3c104HalfEEEZNS1_21segmented_reduce_implIS3_PKS6_PS6_PKlS6_N6hipcub16HIPCUB_304000_NS6detail27convert_result_type_wrapperISA_SB_N2at6native12_GLOBAL__N_19CustomMinEEEEE10hipError_tPvRmT0_T1_jT2_SS_T4_T3_P12ihipStream_tbEUlT_E_NS1_11comp_targetILNS1_3genE0ELNS1_11target_archE4294967295ELNS1_3gpuE0ELNS1_3repE0EEENS1_30default_config_static_selectorELNS0_4arch9wavefront6targetE0EEEvSR_: ; @_ZN7rocprim17ROCPRIM_400000_NS6detail17trampoline_kernelINS0_14default_configENS1_32segmented_reduce_config_selectorIN3c104HalfEEEZNS1_21segmented_reduce_implIS3_PKS6_PS6_PKlS6_N6hipcub16HIPCUB_304000_NS6detail27convert_result_type_wrapperISA_SB_N2at6native12_GLOBAL__N_19CustomMinEEEEE10hipError_tPvRmT0_T1_jT2_SS_T4_T3_P12ihipStream_tbEUlT_E_NS1_11comp_targetILNS1_3genE0ELNS1_11target_archE4294967295ELNS1_3gpuE0ELNS1_3repE0EEENS1_30default_config_static_selectorELNS0_4arch9wavefront6targetE0EEEvSR_
; %bb.0:
	v_mov_b32_e32 v1, 0
	s_clause 0x1
	s_load_b256 s[16:23], s[0:1], 0x0
	s_load_b64 s[2:3], s[0:1], 0x20
	s_bfe_u32 s4, ttmp6, 0x4000c
	s_and_b32 s5, ttmp6, 15
	s_add_co_i32 s4, s4, 1
	global_load_u16 v6, v1, s[0:1] offset:42
	s_mul_i32 s4, ttmp9, s4
	s_getreg_b32 s6, hwreg(HW_REG_IB_STS2, 6, 4)
	s_add_co_i32 s7, s5, s4
	s_mov_b32 s15, 0
	s_wait_kmcnt 0x0
	s_lshl_b64 s[0:1], s[20:21], 3
	s_cmp_eq_u32 s6, 0
	s_add_nc_u64 s[4:5], s[22:23], s[0:1]
	s_cselect_b32 s22, ttmp9, s7
	s_add_nc_u64 s[0:1], s[2:3], s[0:1]
	s_load_b64 s[26:27], s[4:5], s22 offset:0x0 scale_offset
	s_load_b64 s[24:25], s[0:1], s22 offset:0x0 scale_offset
	s_mov_b32 s23, 0
	s_wait_xcnt 0x0
	s_mov_b32 s1, -1
	s_wait_kmcnt 0x0
	v_cmp_gt_i64_e64 s0, s[24:25], s[26:27]
	s_and_b32 vcc_lo, exec_lo, s0
	v_cmp_eq_u32_e64 s0, 0, v0
	s_cbranch_vccz .LBB230_4
; %bb.1:
	s_and_not1_b32 vcc_lo, exec_lo, s1
	s_cbranch_vccz .LBB230_5
.LBB230_2:
	s_and_saveexec_b32 s0, s15
	s_cbranch_execnz .LBB230_408
.LBB230_3:
	s_endpgm
.LBB230_4:
	s_and_b32 s15, s0, exec_lo
	s_cbranch_execnz .LBB230_2
.LBB230_5:
	s_add_nc_u64 s[0:1], s[26:27], 0x1000
	s_delay_alu instid0(SALU_CYCLE_1)
	v_cmp_le_i64_e64 s2, s[0:1], s[24:25]
	s_and_b32 vcc_lo, exec_lo, s2
	s_cbranch_vccz .LBB230_133
; %bb.6:
	s_lshl_b64 s[2:3], s[26:27], 1
	s_mov_b32 s4, exec_lo
	s_add_nc_u64 s[2:3], s[16:17], s[2:3]
	s_clause 0xf
	global_load_u16 v20, v0, s[2:3] scale_offset
	global_load_u16 v19, v0, s[2:3] offset:512 scale_offset
	global_load_u16 v18, v0, s[2:3] offset:1024 scale_offset
	;; [unrolled: 1-line block ×15, first 2 shown]
	s_wait_loadcnt 0xf
	v_mov_b32_e32 v12, v20
	s_wait_xcnt 0x0
	v_cmpx_o_f16_e32 v20, v20
	s_cbranch_execz .LBB230_10
; %bb.7:
	s_wait_loadcnt 0xe
	v_mov_b32_e32 v12, v19
	s_mov_b32 s5, exec_lo
	v_cmpx_o_f16_e32 v19, v19
; %bb.8:
	v_cmp_lt_f16_e32 vcc_lo, v19, v20
	v_cndmask_b32_e32 v12, v20, v19, vcc_lo
; %bb.9:
	s_or_b32 exec_lo, exec_lo, s5
.LBB230_10:
	s_delay_alu instid0(SALU_CYCLE_1) | instskip(NEXT) | instid1(SALU_CYCLE_1)
	s_or_b32 exec_lo, exec_lo, s4
	s_mov_b32 s4, exec_lo
	s_delay_alu instid0(VALU_DEP_1)
	v_cmpx_o_f16_e32 v12, v12
	s_cbranch_execz .LBB230_14
; %bb.11:
	s_wait_loadcnt 0xd
	v_mov_b32_e32 v2, v18
	s_mov_b32 s5, exec_lo
	v_cmpx_o_f16_e32 v18, v18
; %bb.12:
	v_cmp_gt_f16_e32 vcc_lo, v12, v18
	v_cndmask_b32_e32 v2, v12, v18, vcc_lo
; %bb.13:
	s_or_b32 exec_lo, exec_lo, s5
	s_delay_alu instid0(VALU_DEP_1)
	v_mov_b32_e32 v12, v2
.LBB230_14:
	s_or_b32 exec_lo, exec_lo, s4
	s_delay_alu instid0(SALU_CYCLE_1) | instskip(NEXT) | instid1(VALU_DEP_1)
	s_mov_b32 s4, exec_lo
	v_cmpx_o_f16_e32 v12, v12
	s_cbranch_execz .LBB230_18
; %bb.15:
	s_wait_loadcnt 0xc
	v_mov_b32_e32 v2, v17
	s_mov_b32 s5, exec_lo
	v_cmpx_o_f16_e32 v17, v17
; %bb.16:
	v_cmp_gt_f16_e32 vcc_lo, v12, v17
	v_cndmask_b32_e32 v2, v12, v17, vcc_lo
; %bb.17:
	s_or_b32 exec_lo, exec_lo, s5
	s_delay_alu instid0(VALU_DEP_1)
	v_mov_b32_e32 v12, v2
.LBB230_18:
	s_or_b32 exec_lo, exec_lo, s4
	s_delay_alu instid0(SALU_CYCLE_1) | instskip(NEXT) | instid1(VALU_DEP_1)
	s_mov_b32 s4, exec_lo
	;; [unrolled: 18-line block ×13, first 2 shown]
	v_cmpx_o_f16_e32 v12, v12
	s_cbranch_execz .LBB230_66
; %bb.63:
	s_wait_loadcnt 0x0
	v_mov_b32_e32 v2, v1
	s_mov_b32 s5, exec_lo
	v_cmpx_o_f16_e32 v1, v1
; %bb.64:
	v_cmp_gt_f16_e32 vcc_lo, v12, v1
	v_cndmask_b32_e32 v2, v12, v1, vcc_lo
; %bb.65:
	s_or_b32 exec_lo, exec_lo, s5
	s_delay_alu instid0(VALU_DEP_1)
	v_mov_b32_e32 v12, v2
.LBB230_66:
	s_or_b32 exec_lo, exec_lo, s4
	s_add_nc_u64 s[4:5], s[26:27], 0x2000
	s_delay_alu instid0(SALU_CYCLE_1)
	v_cmp_ge_i64_e64 s4, s[4:5], s[24:25]
	s_and_b32 vcc_lo, exec_lo, s4
	s_cbranch_vccnz .LBB230_134
; %bb.67:
	v_dual_mov_b32 v3, 0 :: v_dual_lshlrev_b32 v2, 1, v0
	s_delay_alu instid0(VALU_DEP_1) | instskip(NEXT) | instid1(VALU_DEP_1)
	v_add_nc_u64_e32 v[2:3], s[2:3], v[2:3]
	v_add_nc_u64_e32 v[2:3], 0x2000, v[2:3]
	s_branch .LBB230_70
.LBB230_68:                             ;   in Loop: Header=BB230_70 Depth=1
	s_or_b32 exec_lo, exec_lo, s3
	s_delay_alu instid0(VALU_DEP_1)
	v_mov_b32_e32 v12, v22
.LBB230_69:                             ;   in Loop: Header=BB230_70 Depth=1
	s_or_b32 exec_lo, exec_lo, s2
	s_add_nc_u64 s[2:3], s[0:1], 0x2000
	v_add_nc_u64_e32 v[2:3], 0x2000, v[2:3]
	v_cmp_lt_i64_e64 s2, s[2:3], s[24:25]
	s_add_nc_u64 s[0:1], s[0:1], 0x1000
	s_and_b32 vcc_lo, exec_lo, s2
	s_cbranch_vccz .LBB230_134
.LBB230_70:                             ; =>This Inner Loop Header: Depth=1
	s_wait_loadcnt 0xf
	global_load_u16 v20, v[2:3], off
	s_wait_loadcnt 0xf
	global_load_u16 v19, v[2:3], off offset:512
	s_wait_loadcnt 0xf
	global_load_u16 v18, v[2:3], off offset:1024
	;; [unrolled: 2-line block ×15, first 2 shown]
	v_mov_b32_e32 v21, v12
	s_mov_b32 s2, exec_lo
	s_wait_xcnt 0x0
	v_cmpx_o_f16_e32 v12, v12
	s_cbranch_execz .LBB230_74
; %bb.71:                               ;   in Loop: Header=BB230_70 Depth=1
	s_wait_loadcnt 0xf
	v_mov_b32_e32 v21, v20
	s_mov_b32 s3, exec_lo
	v_cmpx_o_f16_e32 v20, v20
; %bb.72:                               ;   in Loop: Header=BB230_70 Depth=1
	v_cmp_lt_f16_e32 vcc_lo, v20, v12
	v_cndmask_b32_e32 v21, v12, v20, vcc_lo
; %bb.73:                               ;   in Loop: Header=BB230_70 Depth=1
	s_or_b32 exec_lo, exec_lo, s3
	s_delay_alu instid0(VALU_DEP_1)
	v_mov_b32_e32 v12, v21
.LBB230_74:                             ;   in Loop: Header=BB230_70 Depth=1
	s_or_b32 exec_lo, exec_lo, s2
	s_delay_alu instid0(SALU_CYCLE_1)
	s_mov_b32 s2, exec_lo
	v_cmpx_o_f16_e32 v21, v21
	s_cbranch_execz .LBB230_78
; %bb.75:                               ;   in Loop: Header=BB230_70 Depth=1
	s_wait_loadcnt 0xe
	v_mov_b32_e32 v22, v19
	s_mov_b32 s3, exec_lo
	v_cmpx_o_f16_e32 v19, v19
; %bb.76:                               ;   in Loop: Header=BB230_70 Depth=1
	v_cmp_gt_f16_e32 vcc_lo, v21, v19
	v_cndmask_b32_e32 v22, v12, v19, vcc_lo
; %bb.77:                               ;   in Loop: Header=BB230_70 Depth=1
	s_or_b32 exec_lo, exec_lo, s3
	s_delay_alu instid0(VALU_DEP_1)
	v_dual_mov_b32 v21, v22 :: v_dual_mov_b32 v12, v22
.LBB230_78:                             ;   in Loop: Header=BB230_70 Depth=1
	s_or_b32 exec_lo, exec_lo, s2
	s_delay_alu instid0(SALU_CYCLE_1) | instskip(NEXT) | instid1(VALU_DEP_1)
	s_mov_b32 s2, exec_lo
	v_cmpx_o_f16_e32 v21, v21
	s_cbranch_execz .LBB230_82
; %bb.79:                               ;   in Loop: Header=BB230_70 Depth=1
	s_wait_loadcnt 0xd
	v_mov_b32_e32 v22, v18
	s_mov_b32 s3, exec_lo
	v_cmpx_o_f16_e32 v18, v18
; %bb.80:                               ;   in Loop: Header=BB230_70 Depth=1
	v_cmp_gt_f16_e32 vcc_lo, v21, v18
	v_cndmask_b32_e32 v22, v12, v18, vcc_lo
; %bb.81:                               ;   in Loop: Header=BB230_70 Depth=1
	s_or_b32 exec_lo, exec_lo, s3
	s_delay_alu instid0(VALU_DEP_1)
	v_dual_mov_b32 v21, v22 :: v_dual_mov_b32 v12, v22
.LBB230_82:                             ;   in Loop: Header=BB230_70 Depth=1
	s_or_b32 exec_lo, exec_lo, s2
	s_delay_alu instid0(SALU_CYCLE_1) | instskip(NEXT) | instid1(VALU_DEP_1)
	;; [unrolled: 18-line block ×6, first 2 shown]
	s_mov_b32 s2, exec_lo
	v_cmpx_o_f16_e32 v21, v21
	s_cbranch_execz .LBB230_102
; %bb.99:                               ;   in Loop: Header=BB230_70 Depth=1
	s_wait_loadcnt 0x8
	v_mov_b32_e32 v22, v13
	s_mov_b32 s3, exec_lo
	v_cmpx_o_f16_e32 v13, v13
; %bb.100:                              ;   in Loop: Header=BB230_70 Depth=1
	v_cmp_gt_f16_e32 vcc_lo, v21, v13
	v_cndmask_b32_e32 v22, v12, v13, vcc_lo
; %bb.101:                              ;   in Loop: Header=BB230_70 Depth=1
	s_or_b32 exec_lo, exec_lo, s3
	s_delay_alu instid0(VALU_DEP_1)
	v_dual_mov_b32 v21, v22 :: v_dual_mov_b32 v12, v22
.LBB230_102:                            ;   in Loop: Header=BB230_70 Depth=1
	s_or_b32 exec_lo, exec_lo, s2
	s_delay_alu instid0(SALU_CYCLE_1) | instskip(NEXT) | instid1(VALU_DEP_1)
	s_mov_b32 s2, exec_lo
	v_cmpx_o_f16_e32 v21, v21
	s_cbranch_execz .LBB230_106
; %bb.103:                              ;   in Loop: Header=BB230_70 Depth=1
	s_wait_loadcnt 0x7
	v_mov_b32_e32 v22, v11
	s_mov_b32 s3, exec_lo
	v_cmpx_o_f16_e32 v11, v11
; %bb.104:                              ;   in Loop: Header=BB230_70 Depth=1
	v_cmp_gt_f16_e32 vcc_lo, v21, v11
	v_cndmask_b32_e32 v22, v12, v11, vcc_lo
; %bb.105:                              ;   in Loop: Header=BB230_70 Depth=1
	s_or_b32 exec_lo, exec_lo, s3
	s_delay_alu instid0(VALU_DEP_1)
	v_dual_mov_b32 v21, v22 :: v_dual_mov_b32 v12, v22
.LBB230_106:                            ;   in Loop: Header=BB230_70 Depth=1
	s_or_b32 exec_lo, exec_lo, s2
	s_delay_alu instid0(SALU_CYCLE_1) | instskip(NEXT) | instid1(VALU_DEP_1)
	s_mov_b32 s2, exec_lo
	v_cmpx_o_f16_e32 v21, v21
	s_cbranch_execz .LBB230_110
; %bb.107:                              ;   in Loop: Header=BB230_70 Depth=1
	s_wait_loadcnt 0x6
	v_mov_b32_e32 v22, v10
	s_mov_b32 s3, exec_lo
	v_cmpx_o_f16_e32 v10, v10
; %bb.108:                              ;   in Loop: Header=BB230_70 Depth=1
	v_cmp_gt_f16_e32 vcc_lo, v21, v10
	v_cndmask_b32_e32 v22, v12, v10, vcc_lo
; %bb.109:                              ;   in Loop: Header=BB230_70 Depth=1
	s_or_b32 exec_lo, exec_lo, s3
	s_delay_alu instid0(VALU_DEP_1)
	v_dual_mov_b32 v21, v22 :: v_dual_mov_b32 v12, v22
.LBB230_110:                            ;   in Loop: Header=BB230_70 Depth=1
	;; [unrolled: 18-line block ×7, first 2 shown]
	s_or_b32 exec_lo, exec_lo, s2
	s_delay_alu instid0(SALU_CYCLE_1) | instskip(NEXT) | instid1(VALU_DEP_1)
	s_mov_b32 s2, exec_lo
	v_cmpx_o_f16_e32 v21, v21
	s_cbranch_execz .LBB230_69
; %bb.131:                              ;   in Loop: Header=BB230_70 Depth=1
	s_wait_loadcnt 0x0
	v_mov_b32_e32 v22, v1
	s_mov_b32 s3, exec_lo
	v_cmpx_o_f16_e32 v1, v1
	s_cbranch_execz .LBB230_68
; %bb.132:                              ;   in Loop: Header=BB230_70 Depth=1
	v_cmp_gt_f16_e32 vcc_lo, v21, v1
	v_cndmask_b32_e32 v22, v12, v1, vcc_lo
	s_branch .LBB230_68
.LBB230_133:
                                        ; implicit-def: $vgpr2
	s_cbranch_execnz .LBB230_299
	s_branch .LBB230_401
.LBB230_134:
	s_sub_co_i32 s30, s24, s0
	s_lshl_b64 s[0:1], s[0:1], 1
	v_cmp_gt_u32_e64 s14, s30, v0
	s_add_nc_u64 s[28:29], s[16:17], s[0:1]
	s_and_saveexec_b32 s0, s14
	s_cbranch_execz .LBB230_136
; %bb.135:
	s_wait_loadcnt 0xf
	global_load_u16 v20, v0, s[28:29] scale_offset
.LBB230_136:
	s_wait_xcnt 0x0
	s_or_b32 exec_lo, exec_lo, s0
	v_or_b32_e32 v2, 0x100, v0
	s_delay_alu instid0(VALU_DEP_1)
	v_cmp_gt_u32_e64 s13, s30, v2
	s_and_saveexec_b32 s0, s13
	s_cbranch_execz .LBB230_138
; %bb.137:
	s_wait_loadcnt 0xe
	global_load_u16 v19, v0, s[28:29] offset:512 scale_offset
.LBB230_138:
	s_wait_xcnt 0x0
	s_or_b32 exec_lo, exec_lo, s0
	v_or_b32_e32 v2, 0x200, v0
	s_delay_alu instid0(VALU_DEP_1)
	v_cmp_gt_u32_e64 s12, s30, v2
	s_and_saveexec_b32 s0, s12
	s_cbranch_execz .LBB230_140
; %bb.139:
	s_wait_loadcnt 0xd
	global_load_u16 v18, v0, s[28:29] offset:1024 scale_offset
.LBB230_140:
	s_wait_xcnt 0x0
	s_or_b32 exec_lo, exec_lo, s0
	v_or_b32_e32 v2, 0x300, v0
	s_delay_alu instid0(VALU_DEP_1)
	v_cmp_gt_u32_e64 s11, s30, v2
	s_and_saveexec_b32 s0, s11
	s_cbranch_execz .LBB230_142
; %bb.141:
	s_wait_loadcnt 0xc
	global_load_u16 v17, v0, s[28:29] offset:1536 scale_offset
.LBB230_142:
	s_wait_xcnt 0x0
	s_or_b32 exec_lo, exec_lo, s0
	v_or_b32_e32 v2, 0x400, v0
	s_delay_alu instid0(VALU_DEP_1)
	v_cmp_gt_u32_e64 s10, s30, v2
	s_and_saveexec_b32 s0, s10
	s_cbranch_execz .LBB230_144
; %bb.143:
	s_wait_loadcnt 0xb
	global_load_u16 v16, v0, s[28:29] offset:2048 scale_offset
.LBB230_144:
	s_wait_xcnt 0x0
	s_or_b32 exec_lo, exec_lo, s0
	v_or_b32_e32 v2, 0x500, v0
	s_delay_alu instid0(VALU_DEP_1)
	v_cmp_gt_u32_e64 s9, s30, v2
	s_and_saveexec_b32 s0, s9
	s_cbranch_execz .LBB230_146
; %bb.145:
	s_wait_loadcnt 0xa
	global_load_u16 v15, v0, s[28:29] offset:2560 scale_offset
.LBB230_146:
	s_wait_xcnt 0x0
	s_or_b32 exec_lo, exec_lo, s0
	v_or_b32_e32 v2, 0x600, v0
	s_delay_alu instid0(VALU_DEP_1)
	v_cmp_gt_u32_e64 s8, s30, v2
	s_and_saveexec_b32 s0, s8
	s_cbranch_execz .LBB230_148
; %bb.147:
	s_wait_loadcnt 0x9
	global_load_u16 v14, v0, s[28:29] offset:3072 scale_offset
.LBB230_148:
	s_wait_xcnt 0x0
	s_or_b32 exec_lo, exec_lo, s0
	v_or_b32_e32 v2, 0x700, v0
	s_delay_alu instid0(VALU_DEP_1)
	v_cmp_gt_u32_e64 s7, s30, v2
	s_and_saveexec_b32 s0, s7
	s_cbranch_execz .LBB230_150
; %bb.149:
	s_wait_loadcnt 0x8
	global_load_u16 v13, v0, s[28:29] offset:3584 scale_offset
.LBB230_150:
	s_wait_xcnt 0x0
	s_or_b32 exec_lo, exec_lo, s0
	v_or_b32_e32 v2, 0x800, v0
	s_delay_alu instid0(VALU_DEP_1)
	v_cmp_gt_u32_e64 s6, s30, v2
	s_and_saveexec_b32 s0, s6
	s_cbranch_execz .LBB230_152
; %bb.151:
	s_wait_loadcnt 0x7
	global_load_u16 v11, v0, s[28:29] offset:4096 scale_offset
.LBB230_152:
	s_wait_xcnt 0x0
	s_or_b32 exec_lo, exec_lo, s0
	v_or_b32_e32 v2, 0x900, v0
	s_delay_alu instid0(VALU_DEP_1)
	v_cmp_gt_u32_e64 s5, s30, v2
	s_and_saveexec_b32 s0, s5
	s_cbranch_execz .LBB230_154
; %bb.153:
	s_wait_loadcnt 0x6
	global_load_u16 v10, v0, s[28:29] offset:4608 scale_offset
.LBB230_154:
	s_wait_xcnt 0x0
	s_or_b32 exec_lo, exec_lo, s0
	v_or_b32_e32 v2, 0xa00, v0
	s_delay_alu instid0(VALU_DEP_1)
	v_cmp_gt_u32_e64 s4, s30, v2
	s_and_saveexec_b32 s0, s4
	s_cbranch_execz .LBB230_156
; %bb.155:
	s_wait_loadcnt 0x5
	global_load_u16 v9, v0, s[28:29] offset:5120 scale_offset
.LBB230_156:
	s_wait_xcnt 0x0
	s_or_b32 exec_lo, exec_lo, s0
	v_or_b32_e32 v2, 0xb00, v0
	s_delay_alu instid0(VALU_DEP_1)
	v_cmp_gt_u32_e64 s3, s30, v2
	s_and_saveexec_b32 s0, s3
	s_cbranch_execz .LBB230_158
; %bb.157:
	s_wait_loadcnt 0x4
	global_load_u16 v8, v0, s[28:29] offset:5632 scale_offset
.LBB230_158:
	s_wait_xcnt 0x0
	s_or_b32 exec_lo, exec_lo, s0
	v_or_b32_e32 v2, 0xc00, v0
	s_delay_alu instid0(VALU_DEP_1)
	v_cmp_gt_u32_e64 s2, s30, v2
	s_and_saveexec_b32 s0, s2
	s_cbranch_execz .LBB230_160
; %bb.159:
	s_wait_loadcnt 0x3
	global_load_u16 v7, v0, s[28:29] offset:6144 scale_offset
.LBB230_160:
	s_wait_xcnt 0x0
	s_or_b32 exec_lo, exec_lo, s0
	v_or_b32_e32 v2, 0xd00, v0
	s_delay_alu instid0(VALU_DEP_1)
	v_cmp_gt_u32_e64 s1, s30, v2
	s_and_saveexec_b32 s0, s1
	s_cbranch_execz .LBB230_162
; %bb.161:
	s_wait_loadcnt 0x2
	global_load_u16 v5, v0, s[28:29] offset:6656 scale_offset
.LBB230_162:
	s_wait_xcnt 0x0
	s_or_b32 exec_lo, exec_lo, s0
	v_or_b32_e32 v2, 0xe00, v0
	s_delay_alu instid0(VALU_DEP_1)
	v_cmp_gt_u32_e64 s0, s30, v2
	s_and_saveexec_b32 s31, s0
	s_cbranch_execz .LBB230_164
; %bb.163:
	s_wait_loadcnt 0x1
	global_load_u16 v4, v0, s[28:29] offset:7168 scale_offset
.LBB230_164:
	s_wait_xcnt 0x0
	s_or_b32 exec_lo, exec_lo, s31
	v_or_b32_e32 v2, 0xf00, v0
	s_delay_alu instid0(VALU_DEP_1)
	v_cmp_gt_u32_e32 vcc_lo, s30, v2
	s_and_saveexec_b32 s30, vcc_lo
	s_cbranch_execnz .LBB230_181
; %bb.165:
	s_or_b32 exec_lo, exec_lo, s30
	s_and_saveexec_b32 s28, s14
	s_cbranch_execnz .LBB230_182
.LBB230_166:
	s_or_b32 exec_lo, exec_lo, s28
	s_and_saveexec_b32 s14, s13
	s_cbranch_execnz .LBB230_187
.LBB230_167:
	s_or_b32 exec_lo, exec_lo, s14
	s_and_saveexec_b32 s13, s12
	s_cbranch_execnz .LBB230_192
.LBB230_168:
	s_or_b32 exec_lo, exec_lo, s13
	s_and_saveexec_b32 s12, s11
	s_cbranch_execnz .LBB230_197
.LBB230_169:
	s_or_b32 exec_lo, exec_lo, s12
	s_and_saveexec_b32 s11, s10
	s_cbranch_execnz .LBB230_202
.LBB230_170:
	s_or_b32 exec_lo, exec_lo, s11
	s_and_saveexec_b32 s10, s9
	s_cbranch_execnz .LBB230_207
.LBB230_171:
	s_or_b32 exec_lo, exec_lo, s10
	s_and_saveexec_b32 s9, s8
	s_cbranch_execnz .LBB230_212
.LBB230_172:
	s_or_b32 exec_lo, exec_lo, s9
	s_and_saveexec_b32 s8, s7
	s_cbranch_execnz .LBB230_217
.LBB230_173:
	s_or_b32 exec_lo, exec_lo, s8
	s_and_saveexec_b32 s7, s6
	s_cbranch_execnz .LBB230_222
.LBB230_174:
	s_or_b32 exec_lo, exec_lo, s7
	s_and_saveexec_b32 s6, s5
	s_cbranch_execnz .LBB230_227
.LBB230_175:
	s_or_b32 exec_lo, exec_lo, s6
	s_and_saveexec_b32 s5, s4
	s_cbranch_execnz .LBB230_232
.LBB230_176:
	s_or_b32 exec_lo, exec_lo, s5
	s_and_saveexec_b32 s4, s3
	s_cbranch_execnz .LBB230_237
.LBB230_177:
	s_or_b32 exec_lo, exec_lo, s4
	s_and_saveexec_b32 s3, s2
	s_cbranch_execnz .LBB230_242
.LBB230_178:
	s_or_b32 exec_lo, exec_lo, s3
	s_and_saveexec_b32 s2, s1
	s_cbranch_execnz .LBB230_247
.LBB230_179:
	s_or_b32 exec_lo, exec_lo, s2
	s_and_saveexec_b32 s1, s0
	s_cbranch_execnz .LBB230_252
.LBB230_180:
	s_or_b32 exec_lo, exec_lo, s1
	s_and_saveexec_b32 s0, vcc_lo
	s_cbranch_execnz .LBB230_257
	s_branch .LBB230_262
.LBB230_181:
	s_wait_loadcnt 0x0
	global_load_u16 v1, v0, s[28:29] offset:7680 scale_offset
	s_wait_xcnt 0x0
	s_or_b32 exec_lo, exec_lo, s30
	s_and_saveexec_b32 s28, s14
	s_cbranch_execz .LBB230_166
.LBB230_182:
	s_mov_b32 s29, exec_lo
	v_cmpx_o_f16_e32 v12, v12
	s_cbranch_execz .LBB230_186
; %bb.183:
	s_mov_b32 s30, exec_lo
	s_wait_loadcnt 0x0
	v_cmpx_o_f16_e32 v20, v20
; %bb.184:
	v_cmp_lt_f16_e64 s14, v20, v12
	s_delay_alu instid0(VALU_DEP_1)
	v_cndmask_b32_e64 v20, v12, v20, s14
; %bb.185:
	s_or_b32 exec_lo, exec_lo, s30
	s_delay_alu instid0(VALU_DEP_1)
	v_mov_b32_e32 v12, v20
.LBB230_186:
	s_or_b32 exec_lo, exec_lo, s29
	s_delay_alu instid0(SALU_CYCLE_1)
	s_or_b32 exec_lo, exec_lo, s28
	s_and_saveexec_b32 s14, s13
	s_cbranch_execz .LBB230_167
.LBB230_187:
	s_mov_b32 s28, exec_lo
	v_cmpx_o_f16_e32 v12, v12
	s_cbranch_execz .LBB230_191
; %bb.188:
	s_mov_b32 s29, exec_lo
	s_wait_loadcnt 0x0
	v_cmpx_o_f16_e32 v19, v19
; %bb.189:
	v_cmp_lt_f16_e64 s13, v19, v12
	s_delay_alu instid0(VALU_DEP_1)
	v_cndmask_b32_e64 v19, v12, v19, s13
; %bb.190:
	s_or_b32 exec_lo, exec_lo, s29
	s_delay_alu instid0(VALU_DEP_1)
	v_mov_b32_e32 v12, v19
.LBB230_191:
	s_or_b32 exec_lo, exec_lo, s28
	s_delay_alu instid0(SALU_CYCLE_1)
	s_or_b32 exec_lo, exec_lo, s14
	s_and_saveexec_b32 s13, s12
	s_cbranch_execz .LBB230_168
.LBB230_192:
	s_mov_b32 s14, exec_lo
	v_cmpx_o_f16_e32 v12, v12
	s_cbranch_execz .LBB230_196
; %bb.193:
	s_mov_b32 s28, exec_lo
	s_wait_loadcnt 0x0
	v_cmpx_o_f16_e32 v18, v18
; %bb.194:
	v_cmp_lt_f16_e64 s12, v18, v12
	s_delay_alu instid0(VALU_DEP_1)
	v_cndmask_b32_e64 v18, v12, v18, s12
; %bb.195:
	s_or_b32 exec_lo, exec_lo, s28
	s_delay_alu instid0(VALU_DEP_1)
	v_mov_b32_e32 v12, v18
.LBB230_196:
	s_or_b32 exec_lo, exec_lo, s14
	s_delay_alu instid0(SALU_CYCLE_1)
	s_or_b32 exec_lo, exec_lo, s13
	s_and_saveexec_b32 s12, s11
	s_cbranch_execz .LBB230_169
.LBB230_197:
	s_mov_b32 s13, exec_lo
	v_cmpx_o_f16_e32 v12, v12
	s_cbranch_execz .LBB230_201
; %bb.198:
	s_mov_b32 s14, exec_lo
	s_wait_loadcnt 0x0
	v_cmpx_o_f16_e32 v17, v17
; %bb.199:
	v_cmp_lt_f16_e64 s11, v17, v12
	s_delay_alu instid0(VALU_DEP_1)
	v_cndmask_b32_e64 v17, v12, v17, s11
; %bb.200:
	s_or_b32 exec_lo, exec_lo, s14
	s_delay_alu instid0(VALU_DEP_1)
	v_mov_b32_e32 v12, v17
.LBB230_201:
	s_or_b32 exec_lo, exec_lo, s13
	s_delay_alu instid0(SALU_CYCLE_1)
	s_or_b32 exec_lo, exec_lo, s12
	s_and_saveexec_b32 s11, s10
	s_cbranch_execz .LBB230_170
.LBB230_202:
	s_mov_b32 s12, exec_lo
	v_cmpx_o_f16_e32 v12, v12
	s_cbranch_execz .LBB230_206
; %bb.203:
	s_mov_b32 s13, exec_lo
	s_wait_loadcnt 0x0
	v_cmpx_o_f16_e32 v16, v16
; %bb.204:
	v_cmp_lt_f16_e64 s10, v16, v12
	s_delay_alu instid0(VALU_DEP_1)
	v_cndmask_b32_e64 v16, v12, v16, s10
; %bb.205:
	s_or_b32 exec_lo, exec_lo, s13
	s_delay_alu instid0(VALU_DEP_1)
	v_mov_b32_e32 v12, v16
.LBB230_206:
	s_or_b32 exec_lo, exec_lo, s12
	s_delay_alu instid0(SALU_CYCLE_1)
	s_or_b32 exec_lo, exec_lo, s11
	s_and_saveexec_b32 s10, s9
	s_cbranch_execz .LBB230_171
.LBB230_207:
	s_mov_b32 s11, exec_lo
	v_cmpx_o_f16_e32 v12, v12
	s_cbranch_execz .LBB230_211
; %bb.208:
	s_mov_b32 s12, exec_lo
	s_wait_loadcnt 0x0
	v_cmpx_o_f16_e32 v15, v15
; %bb.209:
	v_cmp_lt_f16_e64 s9, v15, v12
	s_delay_alu instid0(VALU_DEP_1)
	v_cndmask_b32_e64 v15, v12, v15, s9
; %bb.210:
	s_or_b32 exec_lo, exec_lo, s12
	s_delay_alu instid0(VALU_DEP_1)
	v_mov_b32_e32 v12, v15
.LBB230_211:
	s_or_b32 exec_lo, exec_lo, s11
	s_delay_alu instid0(SALU_CYCLE_1)
	s_or_b32 exec_lo, exec_lo, s10
	s_and_saveexec_b32 s9, s8
	s_cbranch_execz .LBB230_172
.LBB230_212:
	s_mov_b32 s10, exec_lo
	v_cmpx_o_f16_e32 v12, v12
	s_cbranch_execz .LBB230_216
; %bb.213:
	s_mov_b32 s11, exec_lo
	s_wait_loadcnt 0x0
	v_cmpx_o_f16_e32 v14, v14
; %bb.214:
	v_cmp_lt_f16_e64 s8, v14, v12
	s_delay_alu instid0(VALU_DEP_1)
	v_cndmask_b32_e64 v14, v12, v14, s8
; %bb.215:
	s_or_b32 exec_lo, exec_lo, s11
	s_delay_alu instid0(VALU_DEP_1)
	v_mov_b32_e32 v12, v14
.LBB230_216:
	s_or_b32 exec_lo, exec_lo, s10
	s_delay_alu instid0(SALU_CYCLE_1)
	s_or_b32 exec_lo, exec_lo, s9
	s_and_saveexec_b32 s8, s7
	s_cbranch_execz .LBB230_173
.LBB230_217:
	s_mov_b32 s9, exec_lo
	v_cmpx_o_f16_e32 v12, v12
	s_cbranch_execz .LBB230_221
; %bb.218:
	s_mov_b32 s10, exec_lo
	s_wait_loadcnt 0x0
	v_cmpx_o_f16_e32 v13, v13
; %bb.219:
	v_cmp_lt_f16_e64 s7, v13, v12
	s_delay_alu instid0(VALU_DEP_1)
	v_cndmask_b32_e64 v13, v12, v13, s7
; %bb.220:
	s_or_b32 exec_lo, exec_lo, s10
	s_delay_alu instid0(VALU_DEP_1)
	v_mov_b32_e32 v12, v13
.LBB230_221:
	s_or_b32 exec_lo, exec_lo, s9
	s_delay_alu instid0(SALU_CYCLE_1)
	s_or_b32 exec_lo, exec_lo, s8
	s_and_saveexec_b32 s7, s6
	s_cbranch_execz .LBB230_174
.LBB230_222:
	s_mov_b32 s8, exec_lo
	v_cmpx_o_f16_e32 v12, v12
	s_cbranch_execz .LBB230_226
; %bb.223:
	s_mov_b32 s9, exec_lo
	s_wait_loadcnt 0x0
	v_cmpx_o_f16_e32 v11, v11
; %bb.224:
	v_cmp_lt_f16_e64 s6, v11, v12
	s_delay_alu instid0(VALU_DEP_1)
	v_cndmask_b32_e64 v11, v12, v11, s6
; %bb.225:
	s_or_b32 exec_lo, exec_lo, s9
	s_delay_alu instid0(VALU_DEP_1)
	v_mov_b32_e32 v12, v11
.LBB230_226:
	s_or_b32 exec_lo, exec_lo, s8
	s_delay_alu instid0(SALU_CYCLE_1)
	s_or_b32 exec_lo, exec_lo, s7
	s_and_saveexec_b32 s6, s5
	s_cbranch_execz .LBB230_175
.LBB230_227:
	s_mov_b32 s7, exec_lo
	v_cmpx_o_f16_e32 v12, v12
	s_cbranch_execz .LBB230_231
; %bb.228:
	s_mov_b32 s8, exec_lo
	s_wait_loadcnt 0x0
	v_cmpx_o_f16_e32 v10, v10
; %bb.229:
	v_cmp_lt_f16_e64 s5, v10, v12
	s_delay_alu instid0(VALU_DEP_1)
	v_cndmask_b32_e64 v10, v12, v10, s5
; %bb.230:
	s_or_b32 exec_lo, exec_lo, s8
	s_delay_alu instid0(VALU_DEP_1)
	v_mov_b32_e32 v12, v10
.LBB230_231:
	s_or_b32 exec_lo, exec_lo, s7
	s_delay_alu instid0(SALU_CYCLE_1)
	s_or_b32 exec_lo, exec_lo, s6
	s_and_saveexec_b32 s5, s4
	s_cbranch_execz .LBB230_176
.LBB230_232:
	s_mov_b32 s6, exec_lo
	v_cmpx_o_f16_e32 v12, v12
	s_cbranch_execz .LBB230_236
; %bb.233:
	s_mov_b32 s7, exec_lo
	s_wait_loadcnt 0x0
	v_cmpx_o_f16_e32 v9, v9
; %bb.234:
	v_cmp_lt_f16_e64 s4, v9, v12
	s_delay_alu instid0(VALU_DEP_1)
	v_cndmask_b32_e64 v9, v12, v9, s4
; %bb.235:
	s_or_b32 exec_lo, exec_lo, s7
	s_delay_alu instid0(VALU_DEP_1)
	v_mov_b32_e32 v12, v9
.LBB230_236:
	s_or_b32 exec_lo, exec_lo, s6
	s_delay_alu instid0(SALU_CYCLE_1)
	s_or_b32 exec_lo, exec_lo, s5
	s_and_saveexec_b32 s4, s3
	s_cbranch_execz .LBB230_177
.LBB230_237:
	s_mov_b32 s5, exec_lo
	v_cmpx_o_f16_e32 v12, v12
	s_cbranch_execz .LBB230_241
; %bb.238:
	s_mov_b32 s6, exec_lo
	s_wait_loadcnt 0x0
	v_cmpx_o_f16_e32 v8, v8
; %bb.239:
	v_cmp_lt_f16_e64 s3, v8, v12
	s_delay_alu instid0(VALU_DEP_1)
	v_cndmask_b32_e64 v8, v12, v8, s3
; %bb.240:
	s_or_b32 exec_lo, exec_lo, s6
	s_delay_alu instid0(VALU_DEP_1)
	v_mov_b32_e32 v12, v8
.LBB230_241:
	s_or_b32 exec_lo, exec_lo, s5
	s_delay_alu instid0(SALU_CYCLE_1)
	s_or_b32 exec_lo, exec_lo, s4
	s_and_saveexec_b32 s3, s2
	s_cbranch_execz .LBB230_178
.LBB230_242:
	s_mov_b32 s4, exec_lo
	v_cmpx_o_f16_e32 v12, v12
	s_cbranch_execz .LBB230_246
; %bb.243:
	s_mov_b32 s5, exec_lo
	s_wait_loadcnt 0x0
	v_cmpx_o_f16_e32 v7, v7
; %bb.244:
	v_cmp_lt_f16_e64 s2, v7, v12
	s_delay_alu instid0(VALU_DEP_1)
	v_cndmask_b32_e64 v7, v12, v7, s2
; %bb.245:
	s_or_b32 exec_lo, exec_lo, s5
	s_delay_alu instid0(VALU_DEP_1)
	v_mov_b32_e32 v12, v7
.LBB230_246:
	s_or_b32 exec_lo, exec_lo, s4
	s_delay_alu instid0(SALU_CYCLE_1)
	s_or_b32 exec_lo, exec_lo, s3
	s_and_saveexec_b32 s2, s1
	s_cbranch_execz .LBB230_179
.LBB230_247:
	s_mov_b32 s3, exec_lo
	v_cmpx_o_f16_e32 v12, v12
	s_cbranch_execz .LBB230_251
; %bb.248:
	s_mov_b32 s4, exec_lo
	s_wait_loadcnt 0x0
	v_cmpx_o_f16_e32 v5, v5
; %bb.249:
	v_cmp_lt_f16_e64 s1, v5, v12
	s_delay_alu instid0(VALU_DEP_1)
	v_cndmask_b32_e64 v5, v12, v5, s1
; %bb.250:
	s_or_b32 exec_lo, exec_lo, s4
	s_delay_alu instid0(VALU_DEP_1)
	v_mov_b32_e32 v12, v5
.LBB230_251:
	s_or_b32 exec_lo, exec_lo, s3
	s_delay_alu instid0(SALU_CYCLE_1)
	s_or_b32 exec_lo, exec_lo, s2
	s_and_saveexec_b32 s1, s0
	s_cbranch_execz .LBB230_180
.LBB230_252:
	s_mov_b32 s2, exec_lo
	v_cmpx_o_f16_e32 v12, v12
	s_cbranch_execz .LBB230_256
; %bb.253:
	s_mov_b32 s3, exec_lo
	s_wait_loadcnt 0x0
	v_cmpx_o_f16_e32 v4, v4
; %bb.254:
	v_cmp_lt_f16_e64 s0, v4, v12
	s_delay_alu instid0(VALU_DEP_1)
	v_cndmask_b32_e64 v4, v12, v4, s0
; %bb.255:
	s_or_b32 exec_lo, exec_lo, s3
	s_delay_alu instid0(VALU_DEP_1)
	v_mov_b32_e32 v12, v4
.LBB230_256:
	s_or_b32 exec_lo, exec_lo, s2
	s_delay_alu instid0(SALU_CYCLE_1)
	s_or_b32 exec_lo, exec_lo, s1
	s_and_saveexec_b32 s0, vcc_lo
	s_cbranch_execz .LBB230_262
.LBB230_257:
	s_mov_b32 s1, exec_lo
	v_cmpx_o_f16_e32 v12, v12
	s_cbranch_execz .LBB230_261
; %bb.258:
	s_mov_b32 s2, exec_lo
	s_wait_loadcnt 0x0
	v_cmpx_o_f16_e32 v1, v1
; %bb.259:
	v_cmp_lt_f16_e32 vcc_lo, v1, v12
	v_cndmask_b32_e32 v1, v12, v1, vcc_lo
; %bb.260:
	s_or_b32 exec_lo, exec_lo, s2
	s_delay_alu instid0(VALU_DEP_1)
	v_mov_b32_e32 v12, v1
.LBB230_261:
	s_or_b32 exec_lo, exec_lo, s1
.LBB230_262:
	s_delay_alu instid0(SALU_CYCLE_1) | instskip(SKIP_1) | instid1(VALU_DEP_1)
	s_or_b32 exec_lo, exec_lo, s0
	s_wait_loadcnt 0x0
	v_and_b32_e32 v1, 0xffff, v12
	s_mov_b32 s0, exec_lo
	s_delay_alu instid0(VALU_DEP_1) | instskip(NEXT) | instid1(VALU_DEP_1)
	v_mov_b32_dpp v1, v1 quad_perm:[1,0,3,2] row_mask:0xf bank_mask:0xf
	v_cmpx_o_f16_e32 v1, v1
	s_xor_b32 s0, exec_lo, s0
	s_cbranch_execz .LBB230_266
; %bb.263:
	s_mov_b32 s1, exec_lo
	v_cmpx_o_f16_e32 v12, v12
; %bb.264:
	v_cmp_lt_f16_e32 vcc_lo, v12, v1
	v_cndmask_b32_e32 v12, v1, v12, vcc_lo
; %bb.265:
	s_or_b32 exec_lo, exec_lo, s1
	s_delay_alu instid0(VALU_DEP_1)
	v_mov_b32_e32 v1, v12
.LBB230_266:
	s_or_b32 exec_lo, exec_lo, s0
	s_delay_alu instid0(VALU_DEP_1) | instskip(SKIP_1) | instid1(VALU_DEP_1)
	v_and_b32_e32 v2, 0xffff, v1
	s_mov_b32 s0, exec_lo
	v_mov_b32_dpp v2, v2 quad_perm:[2,3,0,1] row_mask:0xf bank_mask:0xf
	s_delay_alu instid0(VALU_DEP_1)
	v_cmpx_o_f16_e32 v2, v2
	s_cbranch_execz .LBB230_270
; %bb.267:
	s_mov_b32 s1, exec_lo
	v_cmpx_o_f16_e32 v1, v1
; %bb.268:
	v_cmp_lt_f16_e32 vcc_lo, v1, v2
	v_cndmask_b32_e32 v1, v2, v1, vcc_lo
; %bb.269:
	s_or_b32 exec_lo, exec_lo, s1
	s_delay_alu instid0(VALU_DEP_1)
	v_mov_b32_e32 v2, v1
.LBB230_270:
	s_or_b32 exec_lo, exec_lo, s0
	s_delay_alu instid0(VALU_DEP_1) | instskip(SKIP_1) | instid1(VALU_DEP_1)
	v_and_b32_e32 v1, 0xffff, v2
	s_mov_b32 s0, exec_lo
	v_mov_b32_dpp v1, v1 row_ror:4 row_mask:0xf bank_mask:0xf
	s_delay_alu instid0(VALU_DEP_1)
	v_cmpx_o_f16_e32 v1, v1
	s_cbranch_execz .LBB230_274
; %bb.271:
	s_mov_b32 s1, exec_lo
	v_cmpx_o_f16_e32 v2, v2
; %bb.272:
	v_cmp_lt_f16_e32 vcc_lo, v2, v1
	v_cndmask_b32_e32 v2, v1, v2, vcc_lo
; %bb.273:
	s_or_b32 exec_lo, exec_lo, s1
	s_delay_alu instid0(VALU_DEP_1)
	v_mov_b32_e32 v1, v2
.LBB230_274:
	s_or_b32 exec_lo, exec_lo, s0
	s_delay_alu instid0(VALU_DEP_1) | instskip(SKIP_1) | instid1(VALU_DEP_1)
	v_and_b32_e32 v2, 0xffff, v1
	s_mov_b32 s0, exec_lo
	v_mov_b32_dpp v2, v2 row_ror:8 row_mask:0xf bank_mask:0xf
	s_delay_alu instid0(VALU_DEP_1)
	v_cmpx_o_f16_e32 v2, v2
	s_cbranch_execz .LBB230_278
; %bb.275:
	s_mov_b32 s1, exec_lo
	v_cmpx_o_f16_e32 v1, v1
; %bb.276:
	v_cmp_lt_f16_e32 vcc_lo, v1, v2
	v_cndmask_b32_e32 v1, v2, v1, vcc_lo
; %bb.277:
	s_or_b32 exec_lo, exec_lo, s1
	s_delay_alu instid0(VALU_DEP_1)
	v_mov_b32_e32 v2, v1
.LBB230_278:
	s_or_b32 exec_lo, exec_lo, s0
	s_delay_alu instid0(VALU_DEP_1)
	v_and_b32_e32 v1, 0xffff, v2
	s_mov_b32 s0, exec_lo
	ds_swizzle_b32 v1, v1 offset:swizzle(BROADCAST,32,15)
	s_wait_dscnt 0x0
	v_cmpx_o_f16_e32 v1, v1
	s_cbranch_execz .LBB230_282
; %bb.279:
	s_mov_b32 s1, exec_lo
	v_cmpx_o_f16_e32 v2, v2
; %bb.280:
	v_cmp_lt_f16_e32 vcc_lo, v2, v1
	v_cndmask_b32_e32 v2, v1, v2, vcc_lo
; %bb.281:
	s_or_b32 exec_lo, exec_lo, s1
	s_delay_alu instid0(VALU_DEP_1)
	v_mov_b32_e32 v1, v2
.LBB230_282:
	s_or_b32 exec_lo, exec_lo, s0
	s_delay_alu instid0(VALU_DEP_1) | instskip(SKIP_4) | instid1(VALU_DEP_1)
	v_and_b32_e32 v1, 0xffff, v1
	v_mov_b32_e32 v2, 0
	s_mov_b32 s0, exec_lo
	ds_bpermute_b32 v2, v2, v1 offset:124
	v_mbcnt_lo_u32_b32 v1, -1, 0
	v_cmpx_eq_u32_e32 0, v1
	s_cbranch_execz .LBB230_284
; %bb.283:
	v_lshrrev_b32_e32 v3, 4, v0
	s_delay_alu instid0(VALU_DEP_1)
	v_and_b32_e32 v3, 14, v3
	s_wait_dscnt 0x0
	ds_store_b16 v3, v2
.LBB230_284:
	s_or_b32 exec_lo, exec_lo, s0
	s_delay_alu instid0(SALU_CYCLE_1)
	s_mov_b32 s0, exec_lo
	s_wait_dscnt 0x0
	s_barrier_signal -1
	s_barrier_wait -1
	v_cmpx_gt_u32_e32 32, v0
	s_cbranch_execz .LBB230_298
; %bb.285:
	v_and_b32_e32 v3, 7, v1
	s_mov_b32 s1, exec_lo
	s_delay_alu instid0(VALU_DEP_1) | instskip(SKIP_1) | instid1(VALU_DEP_1)
	v_cmp_ne_u32_e32 vcc_lo, 7, v3
	v_add_co_ci_u32_e64 v4, null, 0, v1, vcc_lo
	v_dual_lshlrev_b32 v4, 2, v4 :: v_dual_lshlrev_b32 v2, 1, v3
	ds_load_u16 v2, v2
	s_wait_dscnt 0x0
	v_and_b32_e32 v5, 0xffff, v2
	ds_bpermute_b32 v4, v4, v5
	v_cmpx_o_f16_e32 v2, v2
	s_cbranch_execz .LBB230_289
; %bb.286:
	s_mov_b32 s2, exec_lo
	s_wait_dscnt 0x0
	v_cmpx_o_f16_e32 v4, v4
; %bb.287:
	v_cmp_gt_f16_e32 vcc_lo, v2, v4
	v_cndmask_b32_e32 v4, v2, v4, vcc_lo
; %bb.288:
	s_or_b32 exec_lo, exec_lo, s2
	s_delay_alu instid0(VALU_DEP_1)
	v_mov_b32_e32 v2, v4
.LBB230_289:
	s_or_b32 exec_lo, exec_lo, s1
	v_cmp_gt_u32_e32 vcc_lo, 6, v3
	s_wait_dscnt 0x0
	s_delay_alu instid0(VALU_DEP_2) | instskip(SKIP_2) | instid1(VALU_DEP_1)
	v_and_b32_e32 v4, 0xffff, v2
	s_mov_b32 s1, exec_lo
	v_cndmask_b32_e64 v3, 0, 2, vcc_lo
	v_add_lshl_u32 v3, v3, v1, 2
	v_lshlrev_b32_e32 v1, 2, v1
	ds_bpermute_b32 v3, v3, v4
	v_cmpx_o_f16_e32 v2, v2
	s_cbranch_execz .LBB230_293
; %bb.290:
	s_mov_b32 s2, exec_lo
	s_wait_dscnt 0x0
	v_cmpx_o_f16_e32 v3, v3
; %bb.291:
	v_cmp_gt_f16_e32 vcc_lo, v2, v3
	v_cndmask_b32_e32 v3, v2, v3, vcc_lo
; %bb.292:
	s_or_b32 exec_lo, exec_lo, s2
	s_delay_alu instid0(VALU_DEP_1)
	v_mov_b32_e32 v2, v3
.LBB230_293:
	s_or_b32 exec_lo, exec_lo, s1
	v_or_b32_e32 v1, 16, v1
	s_wait_dscnt 0x0
	s_delay_alu instid0(VALU_DEP_2)
	v_and_b32_e32 v3, 0xffff, v2
	s_mov_b32 s1, exec_lo
	ds_bpermute_b32 v1, v1, v3
	v_cmpx_o_f16_e32 v2, v2
	s_cbranch_execz .LBB230_297
; %bb.294:
	s_mov_b32 s2, exec_lo
	s_wait_dscnt 0x0
	v_cmpx_o_f16_e32 v1, v1
; %bb.295:
	v_cmp_gt_f16_e32 vcc_lo, v2, v1
	v_cndmask_b32_e32 v1, v2, v1, vcc_lo
; %bb.296:
	s_or_b32 exec_lo, exec_lo, s2
	s_delay_alu instid0(VALU_DEP_1)
	v_mov_b32_e32 v2, v1
.LBB230_297:
	s_or_b32 exec_lo, exec_lo, s1
.LBB230_298:
	s_delay_alu instid0(SALU_CYCLE_1)
	s_or_b32 exec_lo, exec_lo, s0
	s_branch .LBB230_401
.LBB230_299:
	s_sub_co_i32 s0, s24, s26
	s_mov_b32 s1, exec_lo
                                        ; implicit-def: $vgpr7
	v_cmpx_gt_u32_e64 s0, v0
	s_cbranch_execz .LBB230_309
; %bb.300:
	s_wait_dscnt 0x0
	v_mov_b32_e32 v1, 0
	s_mov_b32 s2, exec_lo
	s_delay_alu instid0(VALU_DEP_1) | instskip(NEXT) | instid1(VALU_DEP_1)
	v_add_nc_u64_e32 v[2:3], s[26:27], v[0:1]
	v_lshl_add_u64 v[4:5], v[2:3], 1, s[16:17]
	v_add_nc_u64_e32 v[2:3], 0x100, v[2:3]
	global_load_u16 v7, v[4:5], off
	s_wait_xcnt 0x0
	v_cmpx_gt_i64_e64 s[24:25], v[2:3]
	s_cbranch_execz .LBB230_308
; %bb.301:
	v_add_nc_u64_e32 v[4:5], 0x200, v[4:5]
	s_mov_b32 s3, 0
	s_branch .LBB230_304
.LBB230_302:                            ;   in Loop: Header=BB230_304 Depth=1
	s_or_b32 exec_lo, exec_lo, s5
	s_delay_alu instid0(VALU_DEP_1)
	v_mov_b32_e32 v7, v1
.LBB230_303:                            ;   in Loop: Header=BB230_304 Depth=1
	s_or_b32 exec_lo, exec_lo, s4
	v_add_nc_u64_e32 v[2:3], 0x100, v[2:3]
	v_add_nc_u64_e32 v[4:5], 0x200, v[4:5]
	s_delay_alu instid0(VALU_DEP_2) | instskip(SKIP_1) | instid1(SALU_CYCLE_1)
	v_cmp_le_i64_e32 vcc_lo, s[24:25], v[2:3]
	s_or_b32 s3, vcc_lo, s3
	s_and_not1_b32 exec_lo, exec_lo, s3
	s_cbranch_execz .LBB230_307
.LBB230_304:                            ; =>This Inner Loop Header: Depth=1
	s_mov_b32 s4, exec_lo
	s_wait_loadcnt 0x0
	v_cmpx_o_f16_e32 v7, v7
	s_cbranch_execz .LBB230_303
; %bb.305:                              ;   in Loop: Header=BB230_304 Depth=1
	global_load_u16 v1, v[4:5], off
	s_mov_b32 s5, exec_lo
	s_wait_loadcnt 0x0
	v_cmpx_o_f16_e32 v1, v1
	s_cbranch_execz .LBB230_302
; %bb.306:                              ;   in Loop: Header=BB230_304 Depth=1
	v_cmp_lt_f16_e32 vcc_lo, v1, v7
	v_cndmask_b32_e32 v1, v7, v1, vcc_lo
	s_branch .LBB230_302
.LBB230_307:
	s_or_b32 exec_lo, exec_lo, s3
.LBB230_308:
	s_delay_alu instid0(SALU_CYCLE_1)
	s_or_b32 exec_lo, exec_lo, s2
.LBB230_309:
	s_delay_alu instid0(SALU_CYCLE_1)
	s_or_b32 exec_lo, exec_lo, s1
	v_lshrrev_b32_e32 v3, 5, v0
	s_wait_dscnt 0x0
	v_mbcnt_lo_u32_b32 v1, -1, 0
	s_wait_loadcnt 0x0
	v_and_b32_e32 v4, 0xffff, v7
	s_cmp_lt_u32 s0, 0x100
	s_mov_b32 s1, -1
                                        ; implicit-def: $vgpr2
	s_cbranch_scc0 .LBB230_363
; %bb.310:
	v_cmp_ne_u32_e32 vcc_lo, 31, v1
	v_mov_b32_e32 v9, v4
	v_add_co_ci_u32_e64 v2, null, 0, v1, vcc_lo
	s_delay_alu instid0(VALU_DEP_1) | instskip(SKIP_2) | instid1(VALU_DEP_1)
	v_lshlrev_b32_e32 v2, 2, v2
	ds_bpermute_b32 v8, v2, v4
	v_and_b32_e32 v2, 0xe0, v0
	v_sub_nc_u32_e64 v5, s0, v2 clamp
	v_add_nc_u32_e32 v2, 1, v1
	s_delay_alu instid0(VALU_DEP_1)
	v_cmp_lt_u32_e32 vcc_lo, v2, v5
	v_mov_b32_e32 v2, v7
	s_and_saveexec_b32 s1, vcc_lo
	s_cbranch_execz .LBB230_316
; %bb.311:
	v_mov_b32_e32 v2, v7
	s_mov_b32 s2, exec_lo
	v_cmpx_o_f16_e32 v7, v7
	s_cbranch_execz .LBB230_315
; %bb.312:
	s_mov_b32 s3, exec_lo
	s_wait_dscnt 0x0
	v_cmpx_o_f16_e32 v8, v8
; %bb.313:
	v_cmp_gt_f16_e32 vcc_lo, v7, v8
	v_cndmask_b32_e32 v8, v7, v8, vcc_lo
; %bb.314:
	s_or_b32 exec_lo, exec_lo, s3
	s_delay_alu instid0(VALU_DEP_1)
	v_mov_b32_e32 v2, v8
.LBB230_315:
	s_or_b32 exec_lo, exec_lo, s2
	s_delay_alu instid0(VALU_DEP_1)
	v_and_b32_e32 v9, 0xffff, v2
.LBB230_316:
	s_or_b32 exec_lo, exec_lo, s1
	v_cmp_gt_u32_e32 vcc_lo, 30, v1
	v_add_nc_u32_e32 v10, 2, v1
	s_mov_b32 s1, exec_lo
	s_wait_dscnt 0x0
	v_cndmask_b32_e64 v8, 0, 2, vcc_lo
	s_delay_alu instid0(VALU_DEP_1)
	v_add_lshl_u32 v8, v8, v1, 2
	ds_bpermute_b32 v8, v8, v9
	v_cmpx_lt_u32_e64 v10, v5
	s_cbranch_execz .LBB230_322
; %bb.317:
	s_mov_b32 s2, exec_lo
	v_cmpx_o_f16_e32 v2, v2
	s_cbranch_execz .LBB230_321
; %bb.318:
	s_mov_b32 s3, exec_lo
	s_wait_dscnt 0x0
	v_cmpx_o_f16_e32 v8, v8
; %bb.319:
	v_cmp_gt_f16_e32 vcc_lo, v2, v8
	v_cndmask_b32_e32 v8, v2, v8, vcc_lo
; %bb.320:
	s_or_b32 exec_lo, exec_lo, s3
	s_delay_alu instid0(VALU_DEP_1)
	v_mov_b32_e32 v2, v8
.LBB230_321:
	s_or_b32 exec_lo, exec_lo, s2
	s_delay_alu instid0(VALU_DEP_1)
	v_and_b32_e32 v9, 0xffff, v2
.LBB230_322:
	s_or_b32 exec_lo, exec_lo, s1
	v_cmp_gt_u32_e32 vcc_lo, 28, v1
	v_add_nc_u32_e32 v10, 4, v1
	s_mov_b32 s1, exec_lo
	s_wait_dscnt 0x0
	v_cndmask_b32_e64 v8, 0, 4, vcc_lo
	s_delay_alu instid0(VALU_DEP_1)
	v_add_lshl_u32 v8, v8, v1, 2
	ds_bpermute_b32 v8, v8, v9
	v_cmpx_lt_u32_e64 v10, v5
	s_cbranch_execz .LBB230_328
; %bb.323:
	s_mov_b32 s2, exec_lo
	v_cmpx_o_f16_e32 v2, v2
	s_cbranch_execz .LBB230_327
; %bb.324:
	s_mov_b32 s3, exec_lo
	s_wait_dscnt 0x0
	v_cmpx_o_f16_e32 v8, v8
; %bb.325:
	v_cmp_gt_f16_e32 vcc_lo, v2, v8
	v_cndmask_b32_e32 v8, v2, v8, vcc_lo
; %bb.326:
	s_or_b32 exec_lo, exec_lo, s3
	s_delay_alu instid0(VALU_DEP_1)
	v_mov_b32_e32 v2, v8
.LBB230_327:
	s_or_b32 exec_lo, exec_lo, s2
	s_delay_alu instid0(VALU_DEP_1)
	v_and_b32_e32 v9, 0xffff, v2
.LBB230_328:
	;; [unrolled: 31-line block ×3, first 2 shown]
	s_or_b32 exec_lo, exec_lo, s1
	s_wait_dscnt 0x0
	v_lshlrev_b32_e32 v8, 2, v1
	s_mov_b32 s1, exec_lo
	s_delay_alu instid0(VALU_DEP_1) | instskip(SKIP_2) | instid1(VALU_DEP_1)
	v_or_b32_e32 v10, 64, v8
	ds_bpermute_b32 v9, v10, v9
	v_add_nc_u32_e32 v10, 16, v1
	v_cmpx_lt_u32_e64 v10, v5
	s_cbranch_execz .LBB230_340
; %bb.335:
	s_mov_b32 s2, exec_lo
	v_cmpx_o_f16_e32 v2, v2
	s_cbranch_execz .LBB230_339
; %bb.336:
	s_mov_b32 s3, exec_lo
	s_wait_dscnt 0x0
	v_cmpx_o_f16_e32 v9, v9
; %bb.337:
	v_cmp_gt_f16_e32 vcc_lo, v2, v9
	v_cndmask_b32_e32 v9, v2, v9, vcc_lo
; %bb.338:
	s_or_b32 exec_lo, exec_lo, s3
	s_delay_alu instid0(VALU_DEP_1)
	v_mov_b32_e32 v2, v9
.LBB230_339:
	s_or_b32 exec_lo, exec_lo, s2
.LBB230_340:
	s_delay_alu instid0(SALU_CYCLE_1) | instskip(NEXT) | instid1(SALU_CYCLE_1)
	s_or_b32 exec_lo, exec_lo, s1
	s_mov_b32 s1, exec_lo
	v_cmpx_eq_u32_e32 0, v1
; %bb.341:
	v_lshlrev_b32_e32 v5, 1, v3
	ds_store_b16 v5, v2
; %bb.342:
	s_or_b32 exec_lo, exec_lo, s1
	s_delay_alu instid0(SALU_CYCLE_1)
	s_mov_b32 s1, exec_lo
	s_wait_dscnt 0x0
	s_barrier_signal -1
	s_barrier_wait -1
	v_cmpx_gt_u32_e32 8, v0
	s_cbranch_execz .LBB230_362
; %bb.343:
	v_dual_lshlrev_b32 v2, 1, v1 :: v_dual_bitop2_b32 v5, 7, v1 bitop3:0x40
	s_add_co_i32 s0, s0, 31
	s_mov_b32 s2, exec_lo
	s_lshr_b32 s0, s0, 5
	ds_load_u16 v2, v2
	v_cmp_ne_u32_e32 vcc_lo, 7, v5
	v_add_nc_u32_e32 v11, 1, v5
	v_add_co_ci_u32_e64 v9, null, 0, v1, vcc_lo
	s_delay_alu instid0(VALU_DEP_1)
	v_lshlrev_b32_e32 v10, 2, v9
	s_wait_dscnt 0x0
	v_and_b32_e32 v9, 0xffff, v2
	ds_bpermute_b32 v10, v10, v9
	v_cmpx_gt_u32_e64 s0, v11
	s_cbranch_execz .LBB230_349
; %bb.344:
	s_mov_b32 s3, exec_lo
	v_cmpx_o_f16_e32 v2, v2
	s_cbranch_execz .LBB230_348
; %bb.345:
	s_mov_b32 s4, exec_lo
	s_wait_dscnt 0x0
	v_cmpx_o_f16_e32 v10, v10
; %bb.346:
	v_cmp_gt_f16_e32 vcc_lo, v2, v10
	v_cndmask_b32_e32 v10, v2, v10, vcc_lo
; %bb.347:
	s_or_b32 exec_lo, exec_lo, s4
	s_delay_alu instid0(VALU_DEP_1)
	v_mov_b32_e32 v2, v10
.LBB230_348:
	s_or_b32 exec_lo, exec_lo, s3
	s_delay_alu instid0(VALU_DEP_1)
	v_and_b32_e32 v9, 0xffff, v2
.LBB230_349:
	s_or_b32 exec_lo, exec_lo, s2
	v_cmp_gt_u32_e32 vcc_lo, 6, v5
	v_add_nc_u32_e32 v11, 2, v5
	s_mov_b32 s2, exec_lo
	s_wait_dscnt 0x0
	v_cndmask_b32_e64 v10, 0, 2, vcc_lo
	s_delay_alu instid0(VALU_DEP_1)
	v_add_lshl_u32 v10, v10, v1, 2
	ds_bpermute_b32 v10, v10, v9
	v_cmpx_gt_u32_e64 s0, v11
	s_cbranch_execz .LBB230_355
; %bb.350:
	s_mov_b32 s3, exec_lo
	v_cmpx_o_f16_e32 v2, v2
	s_cbranch_execz .LBB230_354
; %bb.351:
	s_mov_b32 s4, exec_lo
	s_wait_dscnt 0x0
	v_cmpx_o_f16_e32 v10, v10
; %bb.352:
	v_cmp_gt_f16_e32 vcc_lo, v2, v10
	v_cndmask_b32_e32 v10, v2, v10, vcc_lo
; %bb.353:
	s_or_b32 exec_lo, exec_lo, s4
	s_delay_alu instid0(VALU_DEP_1)
	v_mov_b32_e32 v2, v10
.LBB230_354:
	s_or_b32 exec_lo, exec_lo, s3
	s_delay_alu instid0(VALU_DEP_1)
	v_and_b32_e32 v9, 0xffff, v2
.LBB230_355:
	s_or_b32 exec_lo, exec_lo, s2
	v_dual_add_nc_u32 v5, 4, v5 :: v_dual_bitop2_b32 v8, 16, v8 bitop3:0x54
	ds_bpermute_b32 v8, v8, v9
	v_cmp_gt_u32_e32 vcc_lo, s0, v5
	s_and_saveexec_b32 s0, vcc_lo
	s_cbranch_execz .LBB230_361
; %bb.356:
	s_mov_b32 s2, exec_lo
	v_cmpx_o_f16_e32 v2, v2
	s_cbranch_execz .LBB230_360
; %bb.357:
	s_mov_b32 s3, exec_lo
	s_wait_dscnt 0x0
	v_cmpx_o_f16_e32 v8, v8
; %bb.358:
	v_cmp_gt_f16_e32 vcc_lo, v2, v8
	v_cndmask_b32_e32 v8, v2, v8, vcc_lo
; %bb.359:
	s_or_b32 exec_lo, exec_lo, s3
	s_delay_alu instid0(VALU_DEP_1)
	v_mov_b32_e32 v2, v8
.LBB230_360:
	s_or_b32 exec_lo, exec_lo, s2
.LBB230_361:
	s_delay_alu instid0(SALU_CYCLE_1)
	s_or_b32 exec_lo, exec_lo, s0
.LBB230_362:
	s_delay_alu instid0(SALU_CYCLE_1)
	s_or_b32 exec_lo, exec_lo, s1
	s_mov_b32 s1, 0
.LBB230_363:
	s_delay_alu instid0(SALU_CYCLE_1)
	s_and_b32 vcc_lo, exec_lo, s1
	s_cbranch_vccz .LBB230_401
; %bb.364:
	v_mov_b32_dpp v2, v4 quad_perm:[1,0,3,2] row_mask:0xf bank_mask:0xf
	s_mov_b32 s0, exec_lo
	s_delay_alu instid0(VALU_DEP_1)
	v_cmpx_o_f16_e32 v2, v2
	s_cbranch_execz .LBB230_368
; %bb.365:
	s_mov_b32 s1, exec_lo
	v_cmpx_o_f16_e32 v7, v7
; %bb.366:
	v_cmp_lt_f16_e32 vcc_lo, v7, v2
	v_cndmask_b32_e32 v7, v2, v7, vcc_lo
; %bb.367:
	s_or_b32 exec_lo, exec_lo, s1
	s_delay_alu instid0(VALU_DEP_1)
	v_mov_b32_e32 v2, v7
.LBB230_368:
	s_or_b32 exec_lo, exec_lo, s0
	s_delay_alu instid0(VALU_DEP_1) | instskip(SKIP_1) | instid1(VALU_DEP_1)
	v_and_b32_e32 v4, 0xffff, v2
	s_mov_b32 s0, exec_lo
	v_mov_b32_dpp v4, v4 quad_perm:[2,3,0,1] row_mask:0xf bank_mask:0xf
	s_delay_alu instid0(VALU_DEP_1)
	v_cmpx_o_f16_e32 v4, v4
	s_cbranch_execz .LBB230_372
; %bb.369:
	s_mov_b32 s1, exec_lo
	v_cmpx_o_f16_e32 v2, v2
; %bb.370:
	v_cmp_lt_f16_e32 vcc_lo, v2, v4
	v_cndmask_b32_e32 v2, v4, v2, vcc_lo
; %bb.371:
	s_or_b32 exec_lo, exec_lo, s1
	s_delay_alu instid0(VALU_DEP_1)
	v_mov_b32_e32 v4, v2
.LBB230_372:
	s_or_b32 exec_lo, exec_lo, s0
	s_delay_alu instid0(VALU_DEP_1) | instskip(SKIP_1) | instid1(VALU_DEP_1)
	v_and_b32_e32 v2, 0xffff, v4
	s_mov_b32 s0, exec_lo
	v_mov_b32_dpp v2, v2 row_ror:4 row_mask:0xf bank_mask:0xf
	s_delay_alu instid0(VALU_DEP_1)
	v_cmpx_o_f16_e32 v2, v2
	s_cbranch_execz .LBB230_376
; %bb.373:
	s_mov_b32 s1, exec_lo
	v_cmpx_o_f16_e32 v4, v4
; %bb.374:
	v_cmp_lt_f16_e32 vcc_lo, v4, v2
	v_cndmask_b32_e32 v4, v2, v4, vcc_lo
; %bb.375:
	s_or_b32 exec_lo, exec_lo, s1
	s_delay_alu instid0(VALU_DEP_1)
	v_mov_b32_e32 v2, v4
.LBB230_376:
	s_or_b32 exec_lo, exec_lo, s0
	s_delay_alu instid0(VALU_DEP_1) | instskip(SKIP_1) | instid1(VALU_DEP_1)
	v_and_b32_e32 v4, 0xffff, v2
	s_mov_b32 s0, exec_lo
	v_mov_b32_dpp v4, v4 row_ror:8 row_mask:0xf bank_mask:0xf
	s_delay_alu instid0(VALU_DEP_1)
	v_cmpx_o_f16_e32 v4, v4
	s_cbranch_execz .LBB230_380
; %bb.377:
	s_mov_b32 s1, exec_lo
	v_cmpx_o_f16_e32 v2, v2
; %bb.378:
	v_cmp_lt_f16_e32 vcc_lo, v2, v4
	v_cndmask_b32_e32 v2, v4, v2, vcc_lo
; %bb.379:
	s_or_b32 exec_lo, exec_lo, s1
	s_delay_alu instid0(VALU_DEP_1)
	v_mov_b32_e32 v4, v2
.LBB230_380:
	s_or_b32 exec_lo, exec_lo, s0
	s_delay_alu instid0(VALU_DEP_1)
	v_and_b32_e32 v2, 0xffff, v4
	s_mov_b32 s0, exec_lo
	ds_swizzle_b32 v2, v2 offset:swizzle(BROADCAST,32,15)
	s_wait_dscnt 0x0
	v_cmpx_o_f16_e32 v2, v2
	s_cbranch_execz .LBB230_384
; %bb.381:
	s_mov_b32 s1, exec_lo
	v_cmpx_o_f16_e32 v4, v4
; %bb.382:
	v_cmp_lt_f16_e32 vcc_lo, v4, v2
	v_cndmask_b32_e32 v4, v2, v4, vcc_lo
; %bb.383:
	s_or_b32 exec_lo, exec_lo, s1
	s_delay_alu instid0(VALU_DEP_1)
	v_mov_b32_e32 v2, v4
.LBB230_384:
	s_or_b32 exec_lo, exec_lo, s0
	s_delay_alu instid0(VALU_DEP_1)
	v_and_b32_e32 v2, 0xffff, v2
	v_mov_b32_e32 v4, 0
	s_mov_b32 s0, exec_lo
	ds_bpermute_b32 v2, v4, v2 offset:124
	v_cmpx_eq_u32_e32 0, v1
	s_cbranch_execz .LBB230_386
; %bb.385:
	v_lshlrev_b32_e32 v3, 1, v3
	s_wait_dscnt 0x0
	ds_store_b16 v3, v2
.LBB230_386:
	s_or_b32 exec_lo, exec_lo, s0
	s_delay_alu instid0(SALU_CYCLE_1)
	s_mov_b32 s0, exec_lo
	s_wait_dscnt 0x0
	s_barrier_signal -1
	s_barrier_wait -1
	v_cmpx_gt_u32_e32 32, v0
	s_cbranch_execz .LBB230_400
; %bb.387:
	v_and_b32_e32 v3, 7, v1
	s_mov_b32 s1, exec_lo
	s_delay_alu instid0(VALU_DEP_1) | instskip(SKIP_1) | instid1(VALU_DEP_1)
	v_cmp_ne_u32_e32 vcc_lo, 7, v3
	v_add_co_ci_u32_e64 v4, null, 0, v1, vcc_lo
	v_dual_lshlrev_b32 v4, 2, v4 :: v_dual_lshlrev_b32 v2, 1, v3
	ds_load_u16 v2, v2
	s_wait_dscnt 0x0
	v_and_b32_e32 v5, 0xffff, v2
	ds_bpermute_b32 v4, v4, v5
	v_cmpx_o_f16_e32 v2, v2
	s_cbranch_execz .LBB230_391
; %bb.388:
	s_mov_b32 s2, exec_lo
	s_wait_dscnt 0x0
	v_cmpx_o_f16_e32 v4, v4
; %bb.389:
	v_cmp_gt_f16_e32 vcc_lo, v2, v4
	v_cndmask_b32_e32 v4, v2, v4, vcc_lo
; %bb.390:
	s_or_b32 exec_lo, exec_lo, s2
	s_delay_alu instid0(VALU_DEP_1)
	v_mov_b32_e32 v2, v4
.LBB230_391:
	s_or_b32 exec_lo, exec_lo, s1
	v_cmp_gt_u32_e32 vcc_lo, 6, v3
	s_wait_dscnt 0x0
	s_delay_alu instid0(VALU_DEP_2) | instskip(SKIP_2) | instid1(VALU_DEP_1)
	v_and_b32_e32 v4, 0xffff, v2
	s_mov_b32 s1, exec_lo
	v_cndmask_b32_e64 v3, 0, 2, vcc_lo
	v_add_lshl_u32 v3, v3, v1, 2
	v_lshlrev_b32_e32 v1, 2, v1
	ds_bpermute_b32 v3, v3, v4
	v_cmpx_o_f16_e32 v2, v2
	s_cbranch_execz .LBB230_395
; %bb.392:
	s_mov_b32 s2, exec_lo
	s_wait_dscnt 0x0
	v_cmpx_o_f16_e32 v3, v3
; %bb.393:
	v_cmp_gt_f16_e32 vcc_lo, v2, v3
	v_cndmask_b32_e32 v3, v2, v3, vcc_lo
; %bb.394:
	s_or_b32 exec_lo, exec_lo, s2
	s_delay_alu instid0(VALU_DEP_1)
	v_mov_b32_e32 v2, v3
.LBB230_395:
	s_or_b32 exec_lo, exec_lo, s1
	v_or_b32_e32 v1, 16, v1
	s_wait_dscnt 0x0
	s_delay_alu instid0(VALU_DEP_2)
	v_and_b32_e32 v3, 0xffff, v2
	s_mov_b32 s1, exec_lo
	ds_bpermute_b32 v1, v1, v3
	v_cmpx_o_f16_e32 v2, v2
	s_cbranch_execz .LBB230_399
; %bb.396:
	s_mov_b32 s2, exec_lo
	s_wait_dscnt 0x0
	v_cmpx_o_f16_e32 v1, v1
; %bb.397:
	v_cmp_gt_f16_e32 vcc_lo, v2, v1
	v_cndmask_b32_e32 v1, v2, v1, vcc_lo
; %bb.398:
	s_or_b32 exec_lo, exec_lo, s2
	s_delay_alu instid0(VALU_DEP_1)
	v_mov_b32_e32 v2, v1
.LBB230_399:
	s_or_b32 exec_lo, exec_lo, s1
.LBB230_400:
	s_delay_alu instid0(SALU_CYCLE_1)
	s_or_b32 exec_lo, exec_lo, s0
.LBB230_401:
	s_delay_alu instid0(SALU_CYCLE_1)
	s_mov_b32 s0, exec_lo
	v_cmpx_eq_u32_e32 0, v0
	s_cbranch_execz .LBB230_407
; %bb.402:
	s_wait_loadcnt 0x0
	v_cmp_u_f16_e32 vcc_lo, v6, v6
	s_cbranch_vccnz .LBB230_406
; %bb.403:
	s_mov_b32 s1, exec_lo
	v_cmpx_o_f16_e32 v2, v2
; %bb.404:
	v_cmp_lt_f16_e32 vcc_lo, v2, v6
	v_cndmask_b32_e32 v2, v6, v2, vcc_lo
; %bb.405:
	s_or_b32 exec_lo, exec_lo, s1
	s_delay_alu instid0(VALU_DEP_1)
	v_mov_b32_e32 v6, v2
.LBB230_406:
	s_or_b32 s15, s15, exec_lo
.LBB230_407:
	s_or_b32 exec_lo, exec_lo, s0
	s_and_saveexec_b32 s0, s15
	s_cbranch_execz .LBB230_3
.LBB230_408:
	s_lshl_b64 s[0:1], s[20:21], 1
	v_mov_b32_e32 v0, 0
	s_add_nc_u64 s[0:1], s[18:19], s[0:1]
	s_lshl_b64 s[2:3], s[22:23], 1
	s_delay_alu instid0(SALU_CYCLE_1)
	s_add_nc_u64 s[0:1], s[0:1], s[2:3]
	s_wait_loadcnt 0x0
	global_store_b16 v0, v6, s[0:1]
	s_endpgm
	.section	.rodata,"a",@progbits
	.p2align	6, 0x0
	.amdhsa_kernel _ZN7rocprim17ROCPRIM_400000_NS6detail17trampoline_kernelINS0_14default_configENS1_32segmented_reduce_config_selectorIN3c104HalfEEEZNS1_21segmented_reduce_implIS3_PKS6_PS6_PKlS6_N6hipcub16HIPCUB_304000_NS6detail27convert_result_type_wrapperISA_SB_N2at6native12_GLOBAL__N_19CustomMinEEEEE10hipError_tPvRmT0_T1_jT2_SS_T4_T3_P12ihipStream_tbEUlT_E_NS1_11comp_targetILNS1_3genE0ELNS1_11target_archE4294967295ELNS1_3gpuE0ELNS1_3repE0EEENS1_30default_config_static_selectorELNS0_4arch9wavefront6targetE0EEEvSR_
		.amdhsa_group_segment_fixed_size 16
		.amdhsa_private_segment_fixed_size 0
		.amdhsa_kernarg_size 48
		.amdhsa_user_sgpr_count 2
		.amdhsa_user_sgpr_dispatch_ptr 0
		.amdhsa_user_sgpr_queue_ptr 0
		.amdhsa_user_sgpr_kernarg_segment_ptr 1
		.amdhsa_user_sgpr_dispatch_id 0
		.amdhsa_user_sgpr_kernarg_preload_length 0
		.amdhsa_user_sgpr_kernarg_preload_offset 0
		.amdhsa_user_sgpr_private_segment_size 0
		.amdhsa_wavefront_size32 1
		.amdhsa_uses_dynamic_stack 0
		.amdhsa_enable_private_segment 0
		.amdhsa_system_sgpr_workgroup_id_x 1
		.amdhsa_system_sgpr_workgroup_id_y 0
		.amdhsa_system_sgpr_workgroup_id_z 0
		.amdhsa_system_sgpr_workgroup_info 0
		.amdhsa_system_vgpr_workitem_id 0
		.amdhsa_next_free_vgpr 23
		.amdhsa_next_free_sgpr 32
		.amdhsa_named_barrier_count 0
		.amdhsa_reserve_vcc 1
		.amdhsa_float_round_mode_32 0
		.amdhsa_float_round_mode_16_64 0
		.amdhsa_float_denorm_mode_32 3
		.amdhsa_float_denorm_mode_16_64 3
		.amdhsa_fp16_overflow 0
		.amdhsa_memory_ordered 1
		.amdhsa_forward_progress 1
		.amdhsa_inst_pref_size 60
		.amdhsa_round_robin_scheduling 0
		.amdhsa_exception_fp_ieee_invalid_op 0
		.amdhsa_exception_fp_denorm_src 0
		.amdhsa_exception_fp_ieee_div_zero 0
		.amdhsa_exception_fp_ieee_overflow 0
		.amdhsa_exception_fp_ieee_underflow 0
		.amdhsa_exception_fp_ieee_inexact 0
		.amdhsa_exception_int_div_zero 0
	.end_amdhsa_kernel
	.section	.text._ZN7rocprim17ROCPRIM_400000_NS6detail17trampoline_kernelINS0_14default_configENS1_32segmented_reduce_config_selectorIN3c104HalfEEEZNS1_21segmented_reduce_implIS3_PKS6_PS6_PKlS6_N6hipcub16HIPCUB_304000_NS6detail27convert_result_type_wrapperISA_SB_N2at6native12_GLOBAL__N_19CustomMinEEEEE10hipError_tPvRmT0_T1_jT2_SS_T4_T3_P12ihipStream_tbEUlT_E_NS1_11comp_targetILNS1_3genE0ELNS1_11target_archE4294967295ELNS1_3gpuE0ELNS1_3repE0EEENS1_30default_config_static_selectorELNS0_4arch9wavefront6targetE0EEEvSR_,"axG",@progbits,_ZN7rocprim17ROCPRIM_400000_NS6detail17trampoline_kernelINS0_14default_configENS1_32segmented_reduce_config_selectorIN3c104HalfEEEZNS1_21segmented_reduce_implIS3_PKS6_PS6_PKlS6_N6hipcub16HIPCUB_304000_NS6detail27convert_result_type_wrapperISA_SB_N2at6native12_GLOBAL__N_19CustomMinEEEEE10hipError_tPvRmT0_T1_jT2_SS_T4_T3_P12ihipStream_tbEUlT_E_NS1_11comp_targetILNS1_3genE0ELNS1_11target_archE4294967295ELNS1_3gpuE0ELNS1_3repE0EEENS1_30default_config_static_selectorELNS0_4arch9wavefront6targetE0EEEvSR_,comdat
.Lfunc_end230:
	.size	_ZN7rocprim17ROCPRIM_400000_NS6detail17trampoline_kernelINS0_14default_configENS1_32segmented_reduce_config_selectorIN3c104HalfEEEZNS1_21segmented_reduce_implIS3_PKS6_PS6_PKlS6_N6hipcub16HIPCUB_304000_NS6detail27convert_result_type_wrapperISA_SB_N2at6native12_GLOBAL__N_19CustomMinEEEEE10hipError_tPvRmT0_T1_jT2_SS_T4_T3_P12ihipStream_tbEUlT_E_NS1_11comp_targetILNS1_3genE0ELNS1_11target_archE4294967295ELNS1_3gpuE0ELNS1_3repE0EEENS1_30default_config_static_selectorELNS0_4arch9wavefront6targetE0EEEvSR_, .Lfunc_end230-_ZN7rocprim17ROCPRIM_400000_NS6detail17trampoline_kernelINS0_14default_configENS1_32segmented_reduce_config_selectorIN3c104HalfEEEZNS1_21segmented_reduce_implIS3_PKS6_PS6_PKlS6_N6hipcub16HIPCUB_304000_NS6detail27convert_result_type_wrapperISA_SB_N2at6native12_GLOBAL__N_19CustomMinEEEEE10hipError_tPvRmT0_T1_jT2_SS_T4_T3_P12ihipStream_tbEUlT_E_NS1_11comp_targetILNS1_3genE0ELNS1_11target_archE4294967295ELNS1_3gpuE0ELNS1_3repE0EEENS1_30default_config_static_selectorELNS0_4arch9wavefront6targetE0EEEvSR_
                                        ; -- End function
	.set _ZN7rocprim17ROCPRIM_400000_NS6detail17trampoline_kernelINS0_14default_configENS1_32segmented_reduce_config_selectorIN3c104HalfEEEZNS1_21segmented_reduce_implIS3_PKS6_PS6_PKlS6_N6hipcub16HIPCUB_304000_NS6detail27convert_result_type_wrapperISA_SB_N2at6native12_GLOBAL__N_19CustomMinEEEEE10hipError_tPvRmT0_T1_jT2_SS_T4_T3_P12ihipStream_tbEUlT_E_NS1_11comp_targetILNS1_3genE0ELNS1_11target_archE4294967295ELNS1_3gpuE0ELNS1_3repE0EEENS1_30default_config_static_selectorELNS0_4arch9wavefront6targetE0EEEvSR_.num_vgpr, 23
	.set _ZN7rocprim17ROCPRIM_400000_NS6detail17trampoline_kernelINS0_14default_configENS1_32segmented_reduce_config_selectorIN3c104HalfEEEZNS1_21segmented_reduce_implIS3_PKS6_PS6_PKlS6_N6hipcub16HIPCUB_304000_NS6detail27convert_result_type_wrapperISA_SB_N2at6native12_GLOBAL__N_19CustomMinEEEEE10hipError_tPvRmT0_T1_jT2_SS_T4_T3_P12ihipStream_tbEUlT_E_NS1_11comp_targetILNS1_3genE0ELNS1_11target_archE4294967295ELNS1_3gpuE0ELNS1_3repE0EEENS1_30default_config_static_selectorELNS0_4arch9wavefront6targetE0EEEvSR_.num_agpr, 0
	.set _ZN7rocprim17ROCPRIM_400000_NS6detail17trampoline_kernelINS0_14default_configENS1_32segmented_reduce_config_selectorIN3c104HalfEEEZNS1_21segmented_reduce_implIS3_PKS6_PS6_PKlS6_N6hipcub16HIPCUB_304000_NS6detail27convert_result_type_wrapperISA_SB_N2at6native12_GLOBAL__N_19CustomMinEEEEE10hipError_tPvRmT0_T1_jT2_SS_T4_T3_P12ihipStream_tbEUlT_E_NS1_11comp_targetILNS1_3genE0ELNS1_11target_archE4294967295ELNS1_3gpuE0ELNS1_3repE0EEENS1_30default_config_static_selectorELNS0_4arch9wavefront6targetE0EEEvSR_.numbered_sgpr, 32
	.set _ZN7rocprim17ROCPRIM_400000_NS6detail17trampoline_kernelINS0_14default_configENS1_32segmented_reduce_config_selectorIN3c104HalfEEEZNS1_21segmented_reduce_implIS3_PKS6_PS6_PKlS6_N6hipcub16HIPCUB_304000_NS6detail27convert_result_type_wrapperISA_SB_N2at6native12_GLOBAL__N_19CustomMinEEEEE10hipError_tPvRmT0_T1_jT2_SS_T4_T3_P12ihipStream_tbEUlT_E_NS1_11comp_targetILNS1_3genE0ELNS1_11target_archE4294967295ELNS1_3gpuE0ELNS1_3repE0EEENS1_30default_config_static_selectorELNS0_4arch9wavefront6targetE0EEEvSR_.num_named_barrier, 0
	.set _ZN7rocprim17ROCPRIM_400000_NS6detail17trampoline_kernelINS0_14default_configENS1_32segmented_reduce_config_selectorIN3c104HalfEEEZNS1_21segmented_reduce_implIS3_PKS6_PS6_PKlS6_N6hipcub16HIPCUB_304000_NS6detail27convert_result_type_wrapperISA_SB_N2at6native12_GLOBAL__N_19CustomMinEEEEE10hipError_tPvRmT0_T1_jT2_SS_T4_T3_P12ihipStream_tbEUlT_E_NS1_11comp_targetILNS1_3genE0ELNS1_11target_archE4294967295ELNS1_3gpuE0ELNS1_3repE0EEENS1_30default_config_static_selectorELNS0_4arch9wavefront6targetE0EEEvSR_.private_seg_size, 0
	.set _ZN7rocprim17ROCPRIM_400000_NS6detail17trampoline_kernelINS0_14default_configENS1_32segmented_reduce_config_selectorIN3c104HalfEEEZNS1_21segmented_reduce_implIS3_PKS6_PS6_PKlS6_N6hipcub16HIPCUB_304000_NS6detail27convert_result_type_wrapperISA_SB_N2at6native12_GLOBAL__N_19CustomMinEEEEE10hipError_tPvRmT0_T1_jT2_SS_T4_T3_P12ihipStream_tbEUlT_E_NS1_11comp_targetILNS1_3genE0ELNS1_11target_archE4294967295ELNS1_3gpuE0ELNS1_3repE0EEENS1_30default_config_static_selectorELNS0_4arch9wavefront6targetE0EEEvSR_.uses_vcc, 1
	.set _ZN7rocprim17ROCPRIM_400000_NS6detail17trampoline_kernelINS0_14default_configENS1_32segmented_reduce_config_selectorIN3c104HalfEEEZNS1_21segmented_reduce_implIS3_PKS6_PS6_PKlS6_N6hipcub16HIPCUB_304000_NS6detail27convert_result_type_wrapperISA_SB_N2at6native12_GLOBAL__N_19CustomMinEEEEE10hipError_tPvRmT0_T1_jT2_SS_T4_T3_P12ihipStream_tbEUlT_E_NS1_11comp_targetILNS1_3genE0ELNS1_11target_archE4294967295ELNS1_3gpuE0ELNS1_3repE0EEENS1_30default_config_static_selectorELNS0_4arch9wavefront6targetE0EEEvSR_.uses_flat_scratch, 0
	.set _ZN7rocprim17ROCPRIM_400000_NS6detail17trampoline_kernelINS0_14default_configENS1_32segmented_reduce_config_selectorIN3c104HalfEEEZNS1_21segmented_reduce_implIS3_PKS6_PS6_PKlS6_N6hipcub16HIPCUB_304000_NS6detail27convert_result_type_wrapperISA_SB_N2at6native12_GLOBAL__N_19CustomMinEEEEE10hipError_tPvRmT0_T1_jT2_SS_T4_T3_P12ihipStream_tbEUlT_E_NS1_11comp_targetILNS1_3genE0ELNS1_11target_archE4294967295ELNS1_3gpuE0ELNS1_3repE0EEENS1_30default_config_static_selectorELNS0_4arch9wavefront6targetE0EEEvSR_.has_dyn_sized_stack, 0
	.set _ZN7rocprim17ROCPRIM_400000_NS6detail17trampoline_kernelINS0_14default_configENS1_32segmented_reduce_config_selectorIN3c104HalfEEEZNS1_21segmented_reduce_implIS3_PKS6_PS6_PKlS6_N6hipcub16HIPCUB_304000_NS6detail27convert_result_type_wrapperISA_SB_N2at6native12_GLOBAL__N_19CustomMinEEEEE10hipError_tPvRmT0_T1_jT2_SS_T4_T3_P12ihipStream_tbEUlT_E_NS1_11comp_targetILNS1_3genE0ELNS1_11target_archE4294967295ELNS1_3gpuE0ELNS1_3repE0EEENS1_30default_config_static_selectorELNS0_4arch9wavefront6targetE0EEEvSR_.has_recursion, 0
	.set _ZN7rocprim17ROCPRIM_400000_NS6detail17trampoline_kernelINS0_14default_configENS1_32segmented_reduce_config_selectorIN3c104HalfEEEZNS1_21segmented_reduce_implIS3_PKS6_PS6_PKlS6_N6hipcub16HIPCUB_304000_NS6detail27convert_result_type_wrapperISA_SB_N2at6native12_GLOBAL__N_19CustomMinEEEEE10hipError_tPvRmT0_T1_jT2_SS_T4_T3_P12ihipStream_tbEUlT_E_NS1_11comp_targetILNS1_3genE0ELNS1_11target_archE4294967295ELNS1_3gpuE0ELNS1_3repE0EEENS1_30default_config_static_selectorELNS0_4arch9wavefront6targetE0EEEvSR_.has_indirect_call, 0
	.section	.AMDGPU.csdata,"",@progbits
; Kernel info:
; codeLenInByte = 7664
; TotalNumSgprs: 34
; NumVgprs: 23
; ScratchSize: 0
; MemoryBound: 0
; FloatMode: 240
; IeeeMode: 1
; LDSByteSize: 16 bytes/workgroup (compile time only)
; SGPRBlocks: 0
; VGPRBlocks: 1
; NumSGPRsForWavesPerEU: 34
; NumVGPRsForWavesPerEU: 23
; NamedBarCnt: 0
; Occupancy: 16
; WaveLimiterHint : 1
; COMPUTE_PGM_RSRC2:SCRATCH_EN: 0
; COMPUTE_PGM_RSRC2:USER_SGPR: 2
; COMPUTE_PGM_RSRC2:TRAP_HANDLER: 0
; COMPUTE_PGM_RSRC2:TGID_X_EN: 1
; COMPUTE_PGM_RSRC2:TGID_Y_EN: 0
; COMPUTE_PGM_RSRC2:TGID_Z_EN: 0
; COMPUTE_PGM_RSRC2:TIDIG_COMP_CNT: 0
	.section	.text._ZN7rocprim17ROCPRIM_400000_NS6detail17trampoline_kernelINS0_14default_configENS1_32segmented_reduce_config_selectorIN3c104HalfEEEZNS1_21segmented_reduce_implIS3_PKS6_PS6_PKlS6_N6hipcub16HIPCUB_304000_NS6detail27convert_result_type_wrapperISA_SB_N2at6native12_GLOBAL__N_19CustomMinEEEEE10hipError_tPvRmT0_T1_jT2_SS_T4_T3_P12ihipStream_tbEUlT_E_NS1_11comp_targetILNS1_3genE5ELNS1_11target_archE942ELNS1_3gpuE9ELNS1_3repE0EEENS1_30default_config_static_selectorELNS0_4arch9wavefront6targetE0EEEvSR_,"axG",@progbits,_ZN7rocprim17ROCPRIM_400000_NS6detail17trampoline_kernelINS0_14default_configENS1_32segmented_reduce_config_selectorIN3c104HalfEEEZNS1_21segmented_reduce_implIS3_PKS6_PS6_PKlS6_N6hipcub16HIPCUB_304000_NS6detail27convert_result_type_wrapperISA_SB_N2at6native12_GLOBAL__N_19CustomMinEEEEE10hipError_tPvRmT0_T1_jT2_SS_T4_T3_P12ihipStream_tbEUlT_E_NS1_11comp_targetILNS1_3genE5ELNS1_11target_archE942ELNS1_3gpuE9ELNS1_3repE0EEENS1_30default_config_static_selectorELNS0_4arch9wavefront6targetE0EEEvSR_,comdat
	.globl	_ZN7rocprim17ROCPRIM_400000_NS6detail17trampoline_kernelINS0_14default_configENS1_32segmented_reduce_config_selectorIN3c104HalfEEEZNS1_21segmented_reduce_implIS3_PKS6_PS6_PKlS6_N6hipcub16HIPCUB_304000_NS6detail27convert_result_type_wrapperISA_SB_N2at6native12_GLOBAL__N_19CustomMinEEEEE10hipError_tPvRmT0_T1_jT2_SS_T4_T3_P12ihipStream_tbEUlT_E_NS1_11comp_targetILNS1_3genE5ELNS1_11target_archE942ELNS1_3gpuE9ELNS1_3repE0EEENS1_30default_config_static_selectorELNS0_4arch9wavefront6targetE0EEEvSR_ ; -- Begin function _ZN7rocprim17ROCPRIM_400000_NS6detail17trampoline_kernelINS0_14default_configENS1_32segmented_reduce_config_selectorIN3c104HalfEEEZNS1_21segmented_reduce_implIS3_PKS6_PS6_PKlS6_N6hipcub16HIPCUB_304000_NS6detail27convert_result_type_wrapperISA_SB_N2at6native12_GLOBAL__N_19CustomMinEEEEE10hipError_tPvRmT0_T1_jT2_SS_T4_T3_P12ihipStream_tbEUlT_E_NS1_11comp_targetILNS1_3genE5ELNS1_11target_archE942ELNS1_3gpuE9ELNS1_3repE0EEENS1_30default_config_static_selectorELNS0_4arch9wavefront6targetE0EEEvSR_
	.p2align	8
	.type	_ZN7rocprim17ROCPRIM_400000_NS6detail17trampoline_kernelINS0_14default_configENS1_32segmented_reduce_config_selectorIN3c104HalfEEEZNS1_21segmented_reduce_implIS3_PKS6_PS6_PKlS6_N6hipcub16HIPCUB_304000_NS6detail27convert_result_type_wrapperISA_SB_N2at6native12_GLOBAL__N_19CustomMinEEEEE10hipError_tPvRmT0_T1_jT2_SS_T4_T3_P12ihipStream_tbEUlT_E_NS1_11comp_targetILNS1_3genE5ELNS1_11target_archE942ELNS1_3gpuE9ELNS1_3repE0EEENS1_30default_config_static_selectorELNS0_4arch9wavefront6targetE0EEEvSR_,@function
_ZN7rocprim17ROCPRIM_400000_NS6detail17trampoline_kernelINS0_14default_configENS1_32segmented_reduce_config_selectorIN3c104HalfEEEZNS1_21segmented_reduce_implIS3_PKS6_PS6_PKlS6_N6hipcub16HIPCUB_304000_NS6detail27convert_result_type_wrapperISA_SB_N2at6native12_GLOBAL__N_19CustomMinEEEEE10hipError_tPvRmT0_T1_jT2_SS_T4_T3_P12ihipStream_tbEUlT_E_NS1_11comp_targetILNS1_3genE5ELNS1_11target_archE942ELNS1_3gpuE9ELNS1_3repE0EEENS1_30default_config_static_selectorELNS0_4arch9wavefront6targetE0EEEvSR_: ; @_ZN7rocprim17ROCPRIM_400000_NS6detail17trampoline_kernelINS0_14default_configENS1_32segmented_reduce_config_selectorIN3c104HalfEEEZNS1_21segmented_reduce_implIS3_PKS6_PS6_PKlS6_N6hipcub16HIPCUB_304000_NS6detail27convert_result_type_wrapperISA_SB_N2at6native12_GLOBAL__N_19CustomMinEEEEE10hipError_tPvRmT0_T1_jT2_SS_T4_T3_P12ihipStream_tbEUlT_E_NS1_11comp_targetILNS1_3genE5ELNS1_11target_archE942ELNS1_3gpuE9ELNS1_3repE0EEENS1_30default_config_static_selectorELNS0_4arch9wavefront6targetE0EEEvSR_
; %bb.0:
	.section	.rodata,"a",@progbits
	.p2align	6, 0x0
	.amdhsa_kernel _ZN7rocprim17ROCPRIM_400000_NS6detail17trampoline_kernelINS0_14default_configENS1_32segmented_reduce_config_selectorIN3c104HalfEEEZNS1_21segmented_reduce_implIS3_PKS6_PS6_PKlS6_N6hipcub16HIPCUB_304000_NS6detail27convert_result_type_wrapperISA_SB_N2at6native12_GLOBAL__N_19CustomMinEEEEE10hipError_tPvRmT0_T1_jT2_SS_T4_T3_P12ihipStream_tbEUlT_E_NS1_11comp_targetILNS1_3genE5ELNS1_11target_archE942ELNS1_3gpuE9ELNS1_3repE0EEENS1_30default_config_static_selectorELNS0_4arch9wavefront6targetE0EEEvSR_
		.amdhsa_group_segment_fixed_size 0
		.amdhsa_private_segment_fixed_size 0
		.amdhsa_kernarg_size 48
		.amdhsa_user_sgpr_count 2
		.amdhsa_user_sgpr_dispatch_ptr 0
		.amdhsa_user_sgpr_queue_ptr 0
		.amdhsa_user_sgpr_kernarg_segment_ptr 1
		.amdhsa_user_sgpr_dispatch_id 0
		.amdhsa_user_sgpr_kernarg_preload_length 0
		.amdhsa_user_sgpr_kernarg_preload_offset 0
		.amdhsa_user_sgpr_private_segment_size 0
		.amdhsa_wavefront_size32 1
		.amdhsa_uses_dynamic_stack 0
		.amdhsa_enable_private_segment 0
		.amdhsa_system_sgpr_workgroup_id_x 1
		.amdhsa_system_sgpr_workgroup_id_y 0
		.amdhsa_system_sgpr_workgroup_id_z 0
		.amdhsa_system_sgpr_workgroup_info 0
		.amdhsa_system_vgpr_workitem_id 0
		.amdhsa_next_free_vgpr 1
		.amdhsa_next_free_sgpr 1
		.amdhsa_named_barrier_count 0
		.amdhsa_reserve_vcc 0
		.amdhsa_float_round_mode_32 0
		.amdhsa_float_round_mode_16_64 0
		.amdhsa_float_denorm_mode_32 3
		.amdhsa_float_denorm_mode_16_64 3
		.amdhsa_fp16_overflow 0
		.amdhsa_memory_ordered 1
		.amdhsa_forward_progress 1
		.amdhsa_inst_pref_size 0
		.amdhsa_round_robin_scheduling 0
		.amdhsa_exception_fp_ieee_invalid_op 0
		.amdhsa_exception_fp_denorm_src 0
		.amdhsa_exception_fp_ieee_div_zero 0
		.amdhsa_exception_fp_ieee_overflow 0
		.amdhsa_exception_fp_ieee_underflow 0
		.amdhsa_exception_fp_ieee_inexact 0
		.amdhsa_exception_int_div_zero 0
	.end_amdhsa_kernel
	.section	.text._ZN7rocprim17ROCPRIM_400000_NS6detail17trampoline_kernelINS0_14default_configENS1_32segmented_reduce_config_selectorIN3c104HalfEEEZNS1_21segmented_reduce_implIS3_PKS6_PS6_PKlS6_N6hipcub16HIPCUB_304000_NS6detail27convert_result_type_wrapperISA_SB_N2at6native12_GLOBAL__N_19CustomMinEEEEE10hipError_tPvRmT0_T1_jT2_SS_T4_T3_P12ihipStream_tbEUlT_E_NS1_11comp_targetILNS1_3genE5ELNS1_11target_archE942ELNS1_3gpuE9ELNS1_3repE0EEENS1_30default_config_static_selectorELNS0_4arch9wavefront6targetE0EEEvSR_,"axG",@progbits,_ZN7rocprim17ROCPRIM_400000_NS6detail17trampoline_kernelINS0_14default_configENS1_32segmented_reduce_config_selectorIN3c104HalfEEEZNS1_21segmented_reduce_implIS3_PKS6_PS6_PKlS6_N6hipcub16HIPCUB_304000_NS6detail27convert_result_type_wrapperISA_SB_N2at6native12_GLOBAL__N_19CustomMinEEEEE10hipError_tPvRmT0_T1_jT2_SS_T4_T3_P12ihipStream_tbEUlT_E_NS1_11comp_targetILNS1_3genE5ELNS1_11target_archE942ELNS1_3gpuE9ELNS1_3repE0EEENS1_30default_config_static_selectorELNS0_4arch9wavefront6targetE0EEEvSR_,comdat
.Lfunc_end231:
	.size	_ZN7rocprim17ROCPRIM_400000_NS6detail17trampoline_kernelINS0_14default_configENS1_32segmented_reduce_config_selectorIN3c104HalfEEEZNS1_21segmented_reduce_implIS3_PKS6_PS6_PKlS6_N6hipcub16HIPCUB_304000_NS6detail27convert_result_type_wrapperISA_SB_N2at6native12_GLOBAL__N_19CustomMinEEEEE10hipError_tPvRmT0_T1_jT2_SS_T4_T3_P12ihipStream_tbEUlT_E_NS1_11comp_targetILNS1_3genE5ELNS1_11target_archE942ELNS1_3gpuE9ELNS1_3repE0EEENS1_30default_config_static_selectorELNS0_4arch9wavefront6targetE0EEEvSR_, .Lfunc_end231-_ZN7rocprim17ROCPRIM_400000_NS6detail17trampoline_kernelINS0_14default_configENS1_32segmented_reduce_config_selectorIN3c104HalfEEEZNS1_21segmented_reduce_implIS3_PKS6_PS6_PKlS6_N6hipcub16HIPCUB_304000_NS6detail27convert_result_type_wrapperISA_SB_N2at6native12_GLOBAL__N_19CustomMinEEEEE10hipError_tPvRmT0_T1_jT2_SS_T4_T3_P12ihipStream_tbEUlT_E_NS1_11comp_targetILNS1_3genE5ELNS1_11target_archE942ELNS1_3gpuE9ELNS1_3repE0EEENS1_30default_config_static_selectorELNS0_4arch9wavefront6targetE0EEEvSR_
                                        ; -- End function
	.set _ZN7rocprim17ROCPRIM_400000_NS6detail17trampoline_kernelINS0_14default_configENS1_32segmented_reduce_config_selectorIN3c104HalfEEEZNS1_21segmented_reduce_implIS3_PKS6_PS6_PKlS6_N6hipcub16HIPCUB_304000_NS6detail27convert_result_type_wrapperISA_SB_N2at6native12_GLOBAL__N_19CustomMinEEEEE10hipError_tPvRmT0_T1_jT2_SS_T4_T3_P12ihipStream_tbEUlT_E_NS1_11comp_targetILNS1_3genE5ELNS1_11target_archE942ELNS1_3gpuE9ELNS1_3repE0EEENS1_30default_config_static_selectorELNS0_4arch9wavefront6targetE0EEEvSR_.num_vgpr, 0
	.set _ZN7rocprim17ROCPRIM_400000_NS6detail17trampoline_kernelINS0_14default_configENS1_32segmented_reduce_config_selectorIN3c104HalfEEEZNS1_21segmented_reduce_implIS3_PKS6_PS6_PKlS6_N6hipcub16HIPCUB_304000_NS6detail27convert_result_type_wrapperISA_SB_N2at6native12_GLOBAL__N_19CustomMinEEEEE10hipError_tPvRmT0_T1_jT2_SS_T4_T3_P12ihipStream_tbEUlT_E_NS1_11comp_targetILNS1_3genE5ELNS1_11target_archE942ELNS1_3gpuE9ELNS1_3repE0EEENS1_30default_config_static_selectorELNS0_4arch9wavefront6targetE0EEEvSR_.num_agpr, 0
	.set _ZN7rocprim17ROCPRIM_400000_NS6detail17trampoline_kernelINS0_14default_configENS1_32segmented_reduce_config_selectorIN3c104HalfEEEZNS1_21segmented_reduce_implIS3_PKS6_PS6_PKlS6_N6hipcub16HIPCUB_304000_NS6detail27convert_result_type_wrapperISA_SB_N2at6native12_GLOBAL__N_19CustomMinEEEEE10hipError_tPvRmT0_T1_jT2_SS_T4_T3_P12ihipStream_tbEUlT_E_NS1_11comp_targetILNS1_3genE5ELNS1_11target_archE942ELNS1_3gpuE9ELNS1_3repE0EEENS1_30default_config_static_selectorELNS0_4arch9wavefront6targetE0EEEvSR_.numbered_sgpr, 0
	.set _ZN7rocprim17ROCPRIM_400000_NS6detail17trampoline_kernelINS0_14default_configENS1_32segmented_reduce_config_selectorIN3c104HalfEEEZNS1_21segmented_reduce_implIS3_PKS6_PS6_PKlS6_N6hipcub16HIPCUB_304000_NS6detail27convert_result_type_wrapperISA_SB_N2at6native12_GLOBAL__N_19CustomMinEEEEE10hipError_tPvRmT0_T1_jT2_SS_T4_T3_P12ihipStream_tbEUlT_E_NS1_11comp_targetILNS1_3genE5ELNS1_11target_archE942ELNS1_3gpuE9ELNS1_3repE0EEENS1_30default_config_static_selectorELNS0_4arch9wavefront6targetE0EEEvSR_.num_named_barrier, 0
	.set _ZN7rocprim17ROCPRIM_400000_NS6detail17trampoline_kernelINS0_14default_configENS1_32segmented_reduce_config_selectorIN3c104HalfEEEZNS1_21segmented_reduce_implIS3_PKS6_PS6_PKlS6_N6hipcub16HIPCUB_304000_NS6detail27convert_result_type_wrapperISA_SB_N2at6native12_GLOBAL__N_19CustomMinEEEEE10hipError_tPvRmT0_T1_jT2_SS_T4_T3_P12ihipStream_tbEUlT_E_NS1_11comp_targetILNS1_3genE5ELNS1_11target_archE942ELNS1_3gpuE9ELNS1_3repE0EEENS1_30default_config_static_selectorELNS0_4arch9wavefront6targetE0EEEvSR_.private_seg_size, 0
	.set _ZN7rocprim17ROCPRIM_400000_NS6detail17trampoline_kernelINS0_14default_configENS1_32segmented_reduce_config_selectorIN3c104HalfEEEZNS1_21segmented_reduce_implIS3_PKS6_PS6_PKlS6_N6hipcub16HIPCUB_304000_NS6detail27convert_result_type_wrapperISA_SB_N2at6native12_GLOBAL__N_19CustomMinEEEEE10hipError_tPvRmT0_T1_jT2_SS_T4_T3_P12ihipStream_tbEUlT_E_NS1_11comp_targetILNS1_3genE5ELNS1_11target_archE942ELNS1_3gpuE9ELNS1_3repE0EEENS1_30default_config_static_selectorELNS0_4arch9wavefront6targetE0EEEvSR_.uses_vcc, 0
	.set _ZN7rocprim17ROCPRIM_400000_NS6detail17trampoline_kernelINS0_14default_configENS1_32segmented_reduce_config_selectorIN3c104HalfEEEZNS1_21segmented_reduce_implIS3_PKS6_PS6_PKlS6_N6hipcub16HIPCUB_304000_NS6detail27convert_result_type_wrapperISA_SB_N2at6native12_GLOBAL__N_19CustomMinEEEEE10hipError_tPvRmT0_T1_jT2_SS_T4_T3_P12ihipStream_tbEUlT_E_NS1_11comp_targetILNS1_3genE5ELNS1_11target_archE942ELNS1_3gpuE9ELNS1_3repE0EEENS1_30default_config_static_selectorELNS0_4arch9wavefront6targetE0EEEvSR_.uses_flat_scratch, 0
	.set _ZN7rocprim17ROCPRIM_400000_NS6detail17trampoline_kernelINS0_14default_configENS1_32segmented_reduce_config_selectorIN3c104HalfEEEZNS1_21segmented_reduce_implIS3_PKS6_PS6_PKlS6_N6hipcub16HIPCUB_304000_NS6detail27convert_result_type_wrapperISA_SB_N2at6native12_GLOBAL__N_19CustomMinEEEEE10hipError_tPvRmT0_T1_jT2_SS_T4_T3_P12ihipStream_tbEUlT_E_NS1_11comp_targetILNS1_3genE5ELNS1_11target_archE942ELNS1_3gpuE9ELNS1_3repE0EEENS1_30default_config_static_selectorELNS0_4arch9wavefront6targetE0EEEvSR_.has_dyn_sized_stack, 0
	.set _ZN7rocprim17ROCPRIM_400000_NS6detail17trampoline_kernelINS0_14default_configENS1_32segmented_reduce_config_selectorIN3c104HalfEEEZNS1_21segmented_reduce_implIS3_PKS6_PS6_PKlS6_N6hipcub16HIPCUB_304000_NS6detail27convert_result_type_wrapperISA_SB_N2at6native12_GLOBAL__N_19CustomMinEEEEE10hipError_tPvRmT0_T1_jT2_SS_T4_T3_P12ihipStream_tbEUlT_E_NS1_11comp_targetILNS1_3genE5ELNS1_11target_archE942ELNS1_3gpuE9ELNS1_3repE0EEENS1_30default_config_static_selectorELNS0_4arch9wavefront6targetE0EEEvSR_.has_recursion, 0
	.set _ZN7rocprim17ROCPRIM_400000_NS6detail17trampoline_kernelINS0_14default_configENS1_32segmented_reduce_config_selectorIN3c104HalfEEEZNS1_21segmented_reduce_implIS3_PKS6_PS6_PKlS6_N6hipcub16HIPCUB_304000_NS6detail27convert_result_type_wrapperISA_SB_N2at6native12_GLOBAL__N_19CustomMinEEEEE10hipError_tPvRmT0_T1_jT2_SS_T4_T3_P12ihipStream_tbEUlT_E_NS1_11comp_targetILNS1_3genE5ELNS1_11target_archE942ELNS1_3gpuE9ELNS1_3repE0EEENS1_30default_config_static_selectorELNS0_4arch9wavefront6targetE0EEEvSR_.has_indirect_call, 0
	.section	.AMDGPU.csdata,"",@progbits
; Kernel info:
; codeLenInByte = 0
; TotalNumSgprs: 0
; NumVgprs: 0
; ScratchSize: 0
; MemoryBound: 0
; FloatMode: 240
; IeeeMode: 1
; LDSByteSize: 0 bytes/workgroup (compile time only)
; SGPRBlocks: 0
; VGPRBlocks: 0
; NumSGPRsForWavesPerEU: 1
; NumVGPRsForWavesPerEU: 1
; NamedBarCnt: 0
; Occupancy: 16
; WaveLimiterHint : 0
; COMPUTE_PGM_RSRC2:SCRATCH_EN: 0
; COMPUTE_PGM_RSRC2:USER_SGPR: 2
; COMPUTE_PGM_RSRC2:TRAP_HANDLER: 0
; COMPUTE_PGM_RSRC2:TGID_X_EN: 1
; COMPUTE_PGM_RSRC2:TGID_Y_EN: 0
; COMPUTE_PGM_RSRC2:TGID_Z_EN: 0
; COMPUTE_PGM_RSRC2:TIDIG_COMP_CNT: 0
	.section	.text._ZN7rocprim17ROCPRIM_400000_NS6detail17trampoline_kernelINS0_14default_configENS1_32segmented_reduce_config_selectorIN3c104HalfEEEZNS1_21segmented_reduce_implIS3_PKS6_PS6_PKlS6_N6hipcub16HIPCUB_304000_NS6detail27convert_result_type_wrapperISA_SB_N2at6native12_GLOBAL__N_19CustomMinEEEEE10hipError_tPvRmT0_T1_jT2_SS_T4_T3_P12ihipStream_tbEUlT_E_NS1_11comp_targetILNS1_3genE10ELNS1_11target_archE1201ELNS1_3gpuE5ELNS1_3repE0EEENS1_30default_config_static_selectorELNS0_4arch9wavefront6targetE0EEEvSR_,"axG",@progbits,_ZN7rocprim17ROCPRIM_400000_NS6detail17trampoline_kernelINS0_14default_configENS1_32segmented_reduce_config_selectorIN3c104HalfEEEZNS1_21segmented_reduce_implIS3_PKS6_PS6_PKlS6_N6hipcub16HIPCUB_304000_NS6detail27convert_result_type_wrapperISA_SB_N2at6native12_GLOBAL__N_19CustomMinEEEEE10hipError_tPvRmT0_T1_jT2_SS_T4_T3_P12ihipStream_tbEUlT_E_NS1_11comp_targetILNS1_3genE10ELNS1_11target_archE1201ELNS1_3gpuE5ELNS1_3repE0EEENS1_30default_config_static_selectorELNS0_4arch9wavefront6targetE0EEEvSR_,comdat
	.globl	_ZN7rocprim17ROCPRIM_400000_NS6detail17trampoline_kernelINS0_14default_configENS1_32segmented_reduce_config_selectorIN3c104HalfEEEZNS1_21segmented_reduce_implIS3_PKS6_PS6_PKlS6_N6hipcub16HIPCUB_304000_NS6detail27convert_result_type_wrapperISA_SB_N2at6native12_GLOBAL__N_19CustomMinEEEEE10hipError_tPvRmT0_T1_jT2_SS_T4_T3_P12ihipStream_tbEUlT_E_NS1_11comp_targetILNS1_3genE10ELNS1_11target_archE1201ELNS1_3gpuE5ELNS1_3repE0EEENS1_30default_config_static_selectorELNS0_4arch9wavefront6targetE0EEEvSR_ ; -- Begin function _ZN7rocprim17ROCPRIM_400000_NS6detail17trampoline_kernelINS0_14default_configENS1_32segmented_reduce_config_selectorIN3c104HalfEEEZNS1_21segmented_reduce_implIS3_PKS6_PS6_PKlS6_N6hipcub16HIPCUB_304000_NS6detail27convert_result_type_wrapperISA_SB_N2at6native12_GLOBAL__N_19CustomMinEEEEE10hipError_tPvRmT0_T1_jT2_SS_T4_T3_P12ihipStream_tbEUlT_E_NS1_11comp_targetILNS1_3genE10ELNS1_11target_archE1201ELNS1_3gpuE5ELNS1_3repE0EEENS1_30default_config_static_selectorELNS0_4arch9wavefront6targetE0EEEvSR_
	.p2align	8
	.type	_ZN7rocprim17ROCPRIM_400000_NS6detail17trampoline_kernelINS0_14default_configENS1_32segmented_reduce_config_selectorIN3c104HalfEEEZNS1_21segmented_reduce_implIS3_PKS6_PS6_PKlS6_N6hipcub16HIPCUB_304000_NS6detail27convert_result_type_wrapperISA_SB_N2at6native12_GLOBAL__N_19CustomMinEEEEE10hipError_tPvRmT0_T1_jT2_SS_T4_T3_P12ihipStream_tbEUlT_E_NS1_11comp_targetILNS1_3genE10ELNS1_11target_archE1201ELNS1_3gpuE5ELNS1_3repE0EEENS1_30default_config_static_selectorELNS0_4arch9wavefront6targetE0EEEvSR_,@function
_ZN7rocprim17ROCPRIM_400000_NS6detail17trampoline_kernelINS0_14default_configENS1_32segmented_reduce_config_selectorIN3c104HalfEEEZNS1_21segmented_reduce_implIS3_PKS6_PS6_PKlS6_N6hipcub16HIPCUB_304000_NS6detail27convert_result_type_wrapperISA_SB_N2at6native12_GLOBAL__N_19CustomMinEEEEE10hipError_tPvRmT0_T1_jT2_SS_T4_T3_P12ihipStream_tbEUlT_E_NS1_11comp_targetILNS1_3genE10ELNS1_11target_archE1201ELNS1_3gpuE5ELNS1_3repE0EEENS1_30default_config_static_selectorELNS0_4arch9wavefront6targetE0EEEvSR_: ; @_ZN7rocprim17ROCPRIM_400000_NS6detail17trampoline_kernelINS0_14default_configENS1_32segmented_reduce_config_selectorIN3c104HalfEEEZNS1_21segmented_reduce_implIS3_PKS6_PS6_PKlS6_N6hipcub16HIPCUB_304000_NS6detail27convert_result_type_wrapperISA_SB_N2at6native12_GLOBAL__N_19CustomMinEEEEE10hipError_tPvRmT0_T1_jT2_SS_T4_T3_P12ihipStream_tbEUlT_E_NS1_11comp_targetILNS1_3genE10ELNS1_11target_archE1201ELNS1_3gpuE5ELNS1_3repE0EEENS1_30default_config_static_selectorELNS0_4arch9wavefront6targetE0EEEvSR_
; %bb.0:
	.section	.rodata,"a",@progbits
	.p2align	6, 0x0
	.amdhsa_kernel _ZN7rocprim17ROCPRIM_400000_NS6detail17trampoline_kernelINS0_14default_configENS1_32segmented_reduce_config_selectorIN3c104HalfEEEZNS1_21segmented_reduce_implIS3_PKS6_PS6_PKlS6_N6hipcub16HIPCUB_304000_NS6detail27convert_result_type_wrapperISA_SB_N2at6native12_GLOBAL__N_19CustomMinEEEEE10hipError_tPvRmT0_T1_jT2_SS_T4_T3_P12ihipStream_tbEUlT_E_NS1_11comp_targetILNS1_3genE10ELNS1_11target_archE1201ELNS1_3gpuE5ELNS1_3repE0EEENS1_30default_config_static_selectorELNS0_4arch9wavefront6targetE0EEEvSR_
		.amdhsa_group_segment_fixed_size 0
		.amdhsa_private_segment_fixed_size 0
		.amdhsa_kernarg_size 48
		.amdhsa_user_sgpr_count 2
		.amdhsa_user_sgpr_dispatch_ptr 0
		.amdhsa_user_sgpr_queue_ptr 0
		.amdhsa_user_sgpr_kernarg_segment_ptr 1
		.amdhsa_user_sgpr_dispatch_id 0
		.amdhsa_user_sgpr_kernarg_preload_length 0
		.amdhsa_user_sgpr_kernarg_preload_offset 0
		.amdhsa_user_sgpr_private_segment_size 0
		.amdhsa_wavefront_size32 1
		.amdhsa_uses_dynamic_stack 0
		.amdhsa_enable_private_segment 0
		.amdhsa_system_sgpr_workgroup_id_x 1
		.amdhsa_system_sgpr_workgroup_id_y 0
		.amdhsa_system_sgpr_workgroup_id_z 0
		.amdhsa_system_sgpr_workgroup_info 0
		.amdhsa_system_vgpr_workitem_id 0
		.amdhsa_next_free_vgpr 1
		.amdhsa_next_free_sgpr 1
		.amdhsa_named_barrier_count 0
		.amdhsa_reserve_vcc 0
		.amdhsa_float_round_mode_32 0
		.amdhsa_float_round_mode_16_64 0
		.amdhsa_float_denorm_mode_32 3
		.amdhsa_float_denorm_mode_16_64 3
		.amdhsa_fp16_overflow 0
		.amdhsa_memory_ordered 1
		.amdhsa_forward_progress 1
		.amdhsa_inst_pref_size 0
		.amdhsa_round_robin_scheduling 0
		.amdhsa_exception_fp_ieee_invalid_op 0
		.amdhsa_exception_fp_denorm_src 0
		.amdhsa_exception_fp_ieee_div_zero 0
		.amdhsa_exception_fp_ieee_overflow 0
		.amdhsa_exception_fp_ieee_underflow 0
		.amdhsa_exception_fp_ieee_inexact 0
		.amdhsa_exception_int_div_zero 0
	.end_amdhsa_kernel
	.section	.text._ZN7rocprim17ROCPRIM_400000_NS6detail17trampoline_kernelINS0_14default_configENS1_32segmented_reduce_config_selectorIN3c104HalfEEEZNS1_21segmented_reduce_implIS3_PKS6_PS6_PKlS6_N6hipcub16HIPCUB_304000_NS6detail27convert_result_type_wrapperISA_SB_N2at6native12_GLOBAL__N_19CustomMinEEEEE10hipError_tPvRmT0_T1_jT2_SS_T4_T3_P12ihipStream_tbEUlT_E_NS1_11comp_targetILNS1_3genE10ELNS1_11target_archE1201ELNS1_3gpuE5ELNS1_3repE0EEENS1_30default_config_static_selectorELNS0_4arch9wavefront6targetE0EEEvSR_,"axG",@progbits,_ZN7rocprim17ROCPRIM_400000_NS6detail17trampoline_kernelINS0_14default_configENS1_32segmented_reduce_config_selectorIN3c104HalfEEEZNS1_21segmented_reduce_implIS3_PKS6_PS6_PKlS6_N6hipcub16HIPCUB_304000_NS6detail27convert_result_type_wrapperISA_SB_N2at6native12_GLOBAL__N_19CustomMinEEEEE10hipError_tPvRmT0_T1_jT2_SS_T4_T3_P12ihipStream_tbEUlT_E_NS1_11comp_targetILNS1_3genE10ELNS1_11target_archE1201ELNS1_3gpuE5ELNS1_3repE0EEENS1_30default_config_static_selectorELNS0_4arch9wavefront6targetE0EEEvSR_,comdat
.Lfunc_end232:
	.size	_ZN7rocprim17ROCPRIM_400000_NS6detail17trampoline_kernelINS0_14default_configENS1_32segmented_reduce_config_selectorIN3c104HalfEEEZNS1_21segmented_reduce_implIS3_PKS6_PS6_PKlS6_N6hipcub16HIPCUB_304000_NS6detail27convert_result_type_wrapperISA_SB_N2at6native12_GLOBAL__N_19CustomMinEEEEE10hipError_tPvRmT0_T1_jT2_SS_T4_T3_P12ihipStream_tbEUlT_E_NS1_11comp_targetILNS1_3genE10ELNS1_11target_archE1201ELNS1_3gpuE5ELNS1_3repE0EEENS1_30default_config_static_selectorELNS0_4arch9wavefront6targetE0EEEvSR_, .Lfunc_end232-_ZN7rocprim17ROCPRIM_400000_NS6detail17trampoline_kernelINS0_14default_configENS1_32segmented_reduce_config_selectorIN3c104HalfEEEZNS1_21segmented_reduce_implIS3_PKS6_PS6_PKlS6_N6hipcub16HIPCUB_304000_NS6detail27convert_result_type_wrapperISA_SB_N2at6native12_GLOBAL__N_19CustomMinEEEEE10hipError_tPvRmT0_T1_jT2_SS_T4_T3_P12ihipStream_tbEUlT_E_NS1_11comp_targetILNS1_3genE10ELNS1_11target_archE1201ELNS1_3gpuE5ELNS1_3repE0EEENS1_30default_config_static_selectorELNS0_4arch9wavefront6targetE0EEEvSR_
                                        ; -- End function
	.set _ZN7rocprim17ROCPRIM_400000_NS6detail17trampoline_kernelINS0_14default_configENS1_32segmented_reduce_config_selectorIN3c104HalfEEEZNS1_21segmented_reduce_implIS3_PKS6_PS6_PKlS6_N6hipcub16HIPCUB_304000_NS6detail27convert_result_type_wrapperISA_SB_N2at6native12_GLOBAL__N_19CustomMinEEEEE10hipError_tPvRmT0_T1_jT2_SS_T4_T3_P12ihipStream_tbEUlT_E_NS1_11comp_targetILNS1_3genE10ELNS1_11target_archE1201ELNS1_3gpuE5ELNS1_3repE0EEENS1_30default_config_static_selectorELNS0_4arch9wavefront6targetE0EEEvSR_.num_vgpr, 0
	.set _ZN7rocprim17ROCPRIM_400000_NS6detail17trampoline_kernelINS0_14default_configENS1_32segmented_reduce_config_selectorIN3c104HalfEEEZNS1_21segmented_reduce_implIS3_PKS6_PS6_PKlS6_N6hipcub16HIPCUB_304000_NS6detail27convert_result_type_wrapperISA_SB_N2at6native12_GLOBAL__N_19CustomMinEEEEE10hipError_tPvRmT0_T1_jT2_SS_T4_T3_P12ihipStream_tbEUlT_E_NS1_11comp_targetILNS1_3genE10ELNS1_11target_archE1201ELNS1_3gpuE5ELNS1_3repE0EEENS1_30default_config_static_selectorELNS0_4arch9wavefront6targetE0EEEvSR_.num_agpr, 0
	.set _ZN7rocprim17ROCPRIM_400000_NS6detail17trampoline_kernelINS0_14default_configENS1_32segmented_reduce_config_selectorIN3c104HalfEEEZNS1_21segmented_reduce_implIS3_PKS6_PS6_PKlS6_N6hipcub16HIPCUB_304000_NS6detail27convert_result_type_wrapperISA_SB_N2at6native12_GLOBAL__N_19CustomMinEEEEE10hipError_tPvRmT0_T1_jT2_SS_T4_T3_P12ihipStream_tbEUlT_E_NS1_11comp_targetILNS1_3genE10ELNS1_11target_archE1201ELNS1_3gpuE5ELNS1_3repE0EEENS1_30default_config_static_selectorELNS0_4arch9wavefront6targetE0EEEvSR_.numbered_sgpr, 0
	.set _ZN7rocprim17ROCPRIM_400000_NS6detail17trampoline_kernelINS0_14default_configENS1_32segmented_reduce_config_selectorIN3c104HalfEEEZNS1_21segmented_reduce_implIS3_PKS6_PS6_PKlS6_N6hipcub16HIPCUB_304000_NS6detail27convert_result_type_wrapperISA_SB_N2at6native12_GLOBAL__N_19CustomMinEEEEE10hipError_tPvRmT0_T1_jT2_SS_T4_T3_P12ihipStream_tbEUlT_E_NS1_11comp_targetILNS1_3genE10ELNS1_11target_archE1201ELNS1_3gpuE5ELNS1_3repE0EEENS1_30default_config_static_selectorELNS0_4arch9wavefront6targetE0EEEvSR_.num_named_barrier, 0
	.set _ZN7rocprim17ROCPRIM_400000_NS6detail17trampoline_kernelINS0_14default_configENS1_32segmented_reduce_config_selectorIN3c104HalfEEEZNS1_21segmented_reduce_implIS3_PKS6_PS6_PKlS6_N6hipcub16HIPCUB_304000_NS6detail27convert_result_type_wrapperISA_SB_N2at6native12_GLOBAL__N_19CustomMinEEEEE10hipError_tPvRmT0_T1_jT2_SS_T4_T3_P12ihipStream_tbEUlT_E_NS1_11comp_targetILNS1_3genE10ELNS1_11target_archE1201ELNS1_3gpuE5ELNS1_3repE0EEENS1_30default_config_static_selectorELNS0_4arch9wavefront6targetE0EEEvSR_.private_seg_size, 0
	.set _ZN7rocprim17ROCPRIM_400000_NS6detail17trampoline_kernelINS0_14default_configENS1_32segmented_reduce_config_selectorIN3c104HalfEEEZNS1_21segmented_reduce_implIS3_PKS6_PS6_PKlS6_N6hipcub16HIPCUB_304000_NS6detail27convert_result_type_wrapperISA_SB_N2at6native12_GLOBAL__N_19CustomMinEEEEE10hipError_tPvRmT0_T1_jT2_SS_T4_T3_P12ihipStream_tbEUlT_E_NS1_11comp_targetILNS1_3genE10ELNS1_11target_archE1201ELNS1_3gpuE5ELNS1_3repE0EEENS1_30default_config_static_selectorELNS0_4arch9wavefront6targetE0EEEvSR_.uses_vcc, 0
	.set _ZN7rocprim17ROCPRIM_400000_NS6detail17trampoline_kernelINS0_14default_configENS1_32segmented_reduce_config_selectorIN3c104HalfEEEZNS1_21segmented_reduce_implIS3_PKS6_PS6_PKlS6_N6hipcub16HIPCUB_304000_NS6detail27convert_result_type_wrapperISA_SB_N2at6native12_GLOBAL__N_19CustomMinEEEEE10hipError_tPvRmT0_T1_jT2_SS_T4_T3_P12ihipStream_tbEUlT_E_NS1_11comp_targetILNS1_3genE10ELNS1_11target_archE1201ELNS1_3gpuE5ELNS1_3repE0EEENS1_30default_config_static_selectorELNS0_4arch9wavefront6targetE0EEEvSR_.uses_flat_scratch, 0
	.set _ZN7rocprim17ROCPRIM_400000_NS6detail17trampoline_kernelINS0_14default_configENS1_32segmented_reduce_config_selectorIN3c104HalfEEEZNS1_21segmented_reduce_implIS3_PKS6_PS6_PKlS6_N6hipcub16HIPCUB_304000_NS6detail27convert_result_type_wrapperISA_SB_N2at6native12_GLOBAL__N_19CustomMinEEEEE10hipError_tPvRmT0_T1_jT2_SS_T4_T3_P12ihipStream_tbEUlT_E_NS1_11comp_targetILNS1_3genE10ELNS1_11target_archE1201ELNS1_3gpuE5ELNS1_3repE0EEENS1_30default_config_static_selectorELNS0_4arch9wavefront6targetE0EEEvSR_.has_dyn_sized_stack, 0
	.set _ZN7rocprim17ROCPRIM_400000_NS6detail17trampoline_kernelINS0_14default_configENS1_32segmented_reduce_config_selectorIN3c104HalfEEEZNS1_21segmented_reduce_implIS3_PKS6_PS6_PKlS6_N6hipcub16HIPCUB_304000_NS6detail27convert_result_type_wrapperISA_SB_N2at6native12_GLOBAL__N_19CustomMinEEEEE10hipError_tPvRmT0_T1_jT2_SS_T4_T3_P12ihipStream_tbEUlT_E_NS1_11comp_targetILNS1_3genE10ELNS1_11target_archE1201ELNS1_3gpuE5ELNS1_3repE0EEENS1_30default_config_static_selectorELNS0_4arch9wavefront6targetE0EEEvSR_.has_recursion, 0
	.set _ZN7rocprim17ROCPRIM_400000_NS6detail17trampoline_kernelINS0_14default_configENS1_32segmented_reduce_config_selectorIN3c104HalfEEEZNS1_21segmented_reduce_implIS3_PKS6_PS6_PKlS6_N6hipcub16HIPCUB_304000_NS6detail27convert_result_type_wrapperISA_SB_N2at6native12_GLOBAL__N_19CustomMinEEEEE10hipError_tPvRmT0_T1_jT2_SS_T4_T3_P12ihipStream_tbEUlT_E_NS1_11comp_targetILNS1_3genE10ELNS1_11target_archE1201ELNS1_3gpuE5ELNS1_3repE0EEENS1_30default_config_static_selectorELNS0_4arch9wavefront6targetE0EEEvSR_.has_indirect_call, 0
	.section	.AMDGPU.csdata,"",@progbits
; Kernel info:
; codeLenInByte = 0
; TotalNumSgprs: 0
; NumVgprs: 0
; ScratchSize: 0
; MemoryBound: 0
; FloatMode: 240
; IeeeMode: 1
; LDSByteSize: 0 bytes/workgroup (compile time only)
; SGPRBlocks: 0
; VGPRBlocks: 0
; NumSGPRsForWavesPerEU: 1
; NumVGPRsForWavesPerEU: 1
; NamedBarCnt: 0
; Occupancy: 16
; WaveLimiterHint : 0
; COMPUTE_PGM_RSRC2:SCRATCH_EN: 0
; COMPUTE_PGM_RSRC2:USER_SGPR: 2
; COMPUTE_PGM_RSRC2:TRAP_HANDLER: 0
; COMPUTE_PGM_RSRC2:TGID_X_EN: 1
; COMPUTE_PGM_RSRC2:TGID_Y_EN: 0
; COMPUTE_PGM_RSRC2:TGID_Z_EN: 0
; COMPUTE_PGM_RSRC2:TIDIG_COMP_CNT: 0
	.section	.text._ZN7rocprim17ROCPRIM_400000_NS6detail17trampoline_kernelINS0_14default_configENS1_32segmented_reduce_config_selectorIN3c104HalfEEEZNS1_21segmented_reduce_implIS3_PKS6_PS6_PKlS6_N6hipcub16HIPCUB_304000_NS6detail27convert_result_type_wrapperISA_SB_N2at6native12_GLOBAL__N_19CustomMinEEEEE10hipError_tPvRmT0_T1_jT2_SS_T4_T3_P12ihipStream_tbEUlT_E_NS1_11comp_targetILNS1_3genE4ELNS1_11target_archE910ELNS1_3gpuE8ELNS1_3repE0EEENS1_30default_config_static_selectorELNS0_4arch9wavefront6targetE0EEEvSR_,"axG",@progbits,_ZN7rocprim17ROCPRIM_400000_NS6detail17trampoline_kernelINS0_14default_configENS1_32segmented_reduce_config_selectorIN3c104HalfEEEZNS1_21segmented_reduce_implIS3_PKS6_PS6_PKlS6_N6hipcub16HIPCUB_304000_NS6detail27convert_result_type_wrapperISA_SB_N2at6native12_GLOBAL__N_19CustomMinEEEEE10hipError_tPvRmT0_T1_jT2_SS_T4_T3_P12ihipStream_tbEUlT_E_NS1_11comp_targetILNS1_3genE4ELNS1_11target_archE910ELNS1_3gpuE8ELNS1_3repE0EEENS1_30default_config_static_selectorELNS0_4arch9wavefront6targetE0EEEvSR_,comdat
	.globl	_ZN7rocprim17ROCPRIM_400000_NS6detail17trampoline_kernelINS0_14default_configENS1_32segmented_reduce_config_selectorIN3c104HalfEEEZNS1_21segmented_reduce_implIS3_PKS6_PS6_PKlS6_N6hipcub16HIPCUB_304000_NS6detail27convert_result_type_wrapperISA_SB_N2at6native12_GLOBAL__N_19CustomMinEEEEE10hipError_tPvRmT0_T1_jT2_SS_T4_T3_P12ihipStream_tbEUlT_E_NS1_11comp_targetILNS1_3genE4ELNS1_11target_archE910ELNS1_3gpuE8ELNS1_3repE0EEENS1_30default_config_static_selectorELNS0_4arch9wavefront6targetE0EEEvSR_ ; -- Begin function _ZN7rocprim17ROCPRIM_400000_NS6detail17trampoline_kernelINS0_14default_configENS1_32segmented_reduce_config_selectorIN3c104HalfEEEZNS1_21segmented_reduce_implIS3_PKS6_PS6_PKlS6_N6hipcub16HIPCUB_304000_NS6detail27convert_result_type_wrapperISA_SB_N2at6native12_GLOBAL__N_19CustomMinEEEEE10hipError_tPvRmT0_T1_jT2_SS_T4_T3_P12ihipStream_tbEUlT_E_NS1_11comp_targetILNS1_3genE4ELNS1_11target_archE910ELNS1_3gpuE8ELNS1_3repE0EEENS1_30default_config_static_selectorELNS0_4arch9wavefront6targetE0EEEvSR_
	.p2align	8
	.type	_ZN7rocprim17ROCPRIM_400000_NS6detail17trampoline_kernelINS0_14default_configENS1_32segmented_reduce_config_selectorIN3c104HalfEEEZNS1_21segmented_reduce_implIS3_PKS6_PS6_PKlS6_N6hipcub16HIPCUB_304000_NS6detail27convert_result_type_wrapperISA_SB_N2at6native12_GLOBAL__N_19CustomMinEEEEE10hipError_tPvRmT0_T1_jT2_SS_T4_T3_P12ihipStream_tbEUlT_E_NS1_11comp_targetILNS1_3genE4ELNS1_11target_archE910ELNS1_3gpuE8ELNS1_3repE0EEENS1_30default_config_static_selectorELNS0_4arch9wavefront6targetE0EEEvSR_,@function
_ZN7rocprim17ROCPRIM_400000_NS6detail17trampoline_kernelINS0_14default_configENS1_32segmented_reduce_config_selectorIN3c104HalfEEEZNS1_21segmented_reduce_implIS3_PKS6_PS6_PKlS6_N6hipcub16HIPCUB_304000_NS6detail27convert_result_type_wrapperISA_SB_N2at6native12_GLOBAL__N_19CustomMinEEEEE10hipError_tPvRmT0_T1_jT2_SS_T4_T3_P12ihipStream_tbEUlT_E_NS1_11comp_targetILNS1_3genE4ELNS1_11target_archE910ELNS1_3gpuE8ELNS1_3repE0EEENS1_30default_config_static_selectorELNS0_4arch9wavefront6targetE0EEEvSR_: ; @_ZN7rocprim17ROCPRIM_400000_NS6detail17trampoline_kernelINS0_14default_configENS1_32segmented_reduce_config_selectorIN3c104HalfEEEZNS1_21segmented_reduce_implIS3_PKS6_PS6_PKlS6_N6hipcub16HIPCUB_304000_NS6detail27convert_result_type_wrapperISA_SB_N2at6native12_GLOBAL__N_19CustomMinEEEEE10hipError_tPvRmT0_T1_jT2_SS_T4_T3_P12ihipStream_tbEUlT_E_NS1_11comp_targetILNS1_3genE4ELNS1_11target_archE910ELNS1_3gpuE8ELNS1_3repE0EEENS1_30default_config_static_selectorELNS0_4arch9wavefront6targetE0EEEvSR_
; %bb.0:
	.section	.rodata,"a",@progbits
	.p2align	6, 0x0
	.amdhsa_kernel _ZN7rocprim17ROCPRIM_400000_NS6detail17trampoline_kernelINS0_14default_configENS1_32segmented_reduce_config_selectorIN3c104HalfEEEZNS1_21segmented_reduce_implIS3_PKS6_PS6_PKlS6_N6hipcub16HIPCUB_304000_NS6detail27convert_result_type_wrapperISA_SB_N2at6native12_GLOBAL__N_19CustomMinEEEEE10hipError_tPvRmT0_T1_jT2_SS_T4_T3_P12ihipStream_tbEUlT_E_NS1_11comp_targetILNS1_3genE4ELNS1_11target_archE910ELNS1_3gpuE8ELNS1_3repE0EEENS1_30default_config_static_selectorELNS0_4arch9wavefront6targetE0EEEvSR_
		.amdhsa_group_segment_fixed_size 0
		.amdhsa_private_segment_fixed_size 0
		.amdhsa_kernarg_size 48
		.amdhsa_user_sgpr_count 2
		.amdhsa_user_sgpr_dispatch_ptr 0
		.amdhsa_user_sgpr_queue_ptr 0
		.amdhsa_user_sgpr_kernarg_segment_ptr 1
		.amdhsa_user_sgpr_dispatch_id 0
		.amdhsa_user_sgpr_kernarg_preload_length 0
		.amdhsa_user_sgpr_kernarg_preload_offset 0
		.amdhsa_user_sgpr_private_segment_size 0
		.amdhsa_wavefront_size32 1
		.amdhsa_uses_dynamic_stack 0
		.amdhsa_enable_private_segment 0
		.amdhsa_system_sgpr_workgroup_id_x 1
		.amdhsa_system_sgpr_workgroup_id_y 0
		.amdhsa_system_sgpr_workgroup_id_z 0
		.amdhsa_system_sgpr_workgroup_info 0
		.amdhsa_system_vgpr_workitem_id 0
		.amdhsa_next_free_vgpr 1
		.amdhsa_next_free_sgpr 1
		.amdhsa_named_barrier_count 0
		.amdhsa_reserve_vcc 0
		.amdhsa_float_round_mode_32 0
		.amdhsa_float_round_mode_16_64 0
		.amdhsa_float_denorm_mode_32 3
		.amdhsa_float_denorm_mode_16_64 3
		.amdhsa_fp16_overflow 0
		.amdhsa_memory_ordered 1
		.amdhsa_forward_progress 1
		.amdhsa_inst_pref_size 0
		.amdhsa_round_robin_scheduling 0
		.amdhsa_exception_fp_ieee_invalid_op 0
		.amdhsa_exception_fp_denorm_src 0
		.amdhsa_exception_fp_ieee_div_zero 0
		.amdhsa_exception_fp_ieee_overflow 0
		.amdhsa_exception_fp_ieee_underflow 0
		.amdhsa_exception_fp_ieee_inexact 0
		.amdhsa_exception_int_div_zero 0
	.end_amdhsa_kernel
	.section	.text._ZN7rocprim17ROCPRIM_400000_NS6detail17trampoline_kernelINS0_14default_configENS1_32segmented_reduce_config_selectorIN3c104HalfEEEZNS1_21segmented_reduce_implIS3_PKS6_PS6_PKlS6_N6hipcub16HIPCUB_304000_NS6detail27convert_result_type_wrapperISA_SB_N2at6native12_GLOBAL__N_19CustomMinEEEEE10hipError_tPvRmT0_T1_jT2_SS_T4_T3_P12ihipStream_tbEUlT_E_NS1_11comp_targetILNS1_3genE4ELNS1_11target_archE910ELNS1_3gpuE8ELNS1_3repE0EEENS1_30default_config_static_selectorELNS0_4arch9wavefront6targetE0EEEvSR_,"axG",@progbits,_ZN7rocprim17ROCPRIM_400000_NS6detail17trampoline_kernelINS0_14default_configENS1_32segmented_reduce_config_selectorIN3c104HalfEEEZNS1_21segmented_reduce_implIS3_PKS6_PS6_PKlS6_N6hipcub16HIPCUB_304000_NS6detail27convert_result_type_wrapperISA_SB_N2at6native12_GLOBAL__N_19CustomMinEEEEE10hipError_tPvRmT0_T1_jT2_SS_T4_T3_P12ihipStream_tbEUlT_E_NS1_11comp_targetILNS1_3genE4ELNS1_11target_archE910ELNS1_3gpuE8ELNS1_3repE0EEENS1_30default_config_static_selectorELNS0_4arch9wavefront6targetE0EEEvSR_,comdat
.Lfunc_end233:
	.size	_ZN7rocprim17ROCPRIM_400000_NS6detail17trampoline_kernelINS0_14default_configENS1_32segmented_reduce_config_selectorIN3c104HalfEEEZNS1_21segmented_reduce_implIS3_PKS6_PS6_PKlS6_N6hipcub16HIPCUB_304000_NS6detail27convert_result_type_wrapperISA_SB_N2at6native12_GLOBAL__N_19CustomMinEEEEE10hipError_tPvRmT0_T1_jT2_SS_T4_T3_P12ihipStream_tbEUlT_E_NS1_11comp_targetILNS1_3genE4ELNS1_11target_archE910ELNS1_3gpuE8ELNS1_3repE0EEENS1_30default_config_static_selectorELNS0_4arch9wavefront6targetE0EEEvSR_, .Lfunc_end233-_ZN7rocprim17ROCPRIM_400000_NS6detail17trampoline_kernelINS0_14default_configENS1_32segmented_reduce_config_selectorIN3c104HalfEEEZNS1_21segmented_reduce_implIS3_PKS6_PS6_PKlS6_N6hipcub16HIPCUB_304000_NS6detail27convert_result_type_wrapperISA_SB_N2at6native12_GLOBAL__N_19CustomMinEEEEE10hipError_tPvRmT0_T1_jT2_SS_T4_T3_P12ihipStream_tbEUlT_E_NS1_11comp_targetILNS1_3genE4ELNS1_11target_archE910ELNS1_3gpuE8ELNS1_3repE0EEENS1_30default_config_static_selectorELNS0_4arch9wavefront6targetE0EEEvSR_
                                        ; -- End function
	.set _ZN7rocprim17ROCPRIM_400000_NS6detail17trampoline_kernelINS0_14default_configENS1_32segmented_reduce_config_selectorIN3c104HalfEEEZNS1_21segmented_reduce_implIS3_PKS6_PS6_PKlS6_N6hipcub16HIPCUB_304000_NS6detail27convert_result_type_wrapperISA_SB_N2at6native12_GLOBAL__N_19CustomMinEEEEE10hipError_tPvRmT0_T1_jT2_SS_T4_T3_P12ihipStream_tbEUlT_E_NS1_11comp_targetILNS1_3genE4ELNS1_11target_archE910ELNS1_3gpuE8ELNS1_3repE0EEENS1_30default_config_static_selectorELNS0_4arch9wavefront6targetE0EEEvSR_.num_vgpr, 0
	.set _ZN7rocprim17ROCPRIM_400000_NS6detail17trampoline_kernelINS0_14default_configENS1_32segmented_reduce_config_selectorIN3c104HalfEEEZNS1_21segmented_reduce_implIS3_PKS6_PS6_PKlS6_N6hipcub16HIPCUB_304000_NS6detail27convert_result_type_wrapperISA_SB_N2at6native12_GLOBAL__N_19CustomMinEEEEE10hipError_tPvRmT0_T1_jT2_SS_T4_T3_P12ihipStream_tbEUlT_E_NS1_11comp_targetILNS1_3genE4ELNS1_11target_archE910ELNS1_3gpuE8ELNS1_3repE0EEENS1_30default_config_static_selectorELNS0_4arch9wavefront6targetE0EEEvSR_.num_agpr, 0
	.set _ZN7rocprim17ROCPRIM_400000_NS6detail17trampoline_kernelINS0_14default_configENS1_32segmented_reduce_config_selectorIN3c104HalfEEEZNS1_21segmented_reduce_implIS3_PKS6_PS6_PKlS6_N6hipcub16HIPCUB_304000_NS6detail27convert_result_type_wrapperISA_SB_N2at6native12_GLOBAL__N_19CustomMinEEEEE10hipError_tPvRmT0_T1_jT2_SS_T4_T3_P12ihipStream_tbEUlT_E_NS1_11comp_targetILNS1_3genE4ELNS1_11target_archE910ELNS1_3gpuE8ELNS1_3repE0EEENS1_30default_config_static_selectorELNS0_4arch9wavefront6targetE0EEEvSR_.numbered_sgpr, 0
	.set _ZN7rocprim17ROCPRIM_400000_NS6detail17trampoline_kernelINS0_14default_configENS1_32segmented_reduce_config_selectorIN3c104HalfEEEZNS1_21segmented_reduce_implIS3_PKS6_PS6_PKlS6_N6hipcub16HIPCUB_304000_NS6detail27convert_result_type_wrapperISA_SB_N2at6native12_GLOBAL__N_19CustomMinEEEEE10hipError_tPvRmT0_T1_jT2_SS_T4_T3_P12ihipStream_tbEUlT_E_NS1_11comp_targetILNS1_3genE4ELNS1_11target_archE910ELNS1_3gpuE8ELNS1_3repE0EEENS1_30default_config_static_selectorELNS0_4arch9wavefront6targetE0EEEvSR_.num_named_barrier, 0
	.set _ZN7rocprim17ROCPRIM_400000_NS6detail17trampoline_kernelINS0_14default_configENS1_32segmented_reduce_config_selectorIN3c104HalfEEEZNS1_21segmented_reduce_implIS3_PKS6_PS6_PKlS6_N6hipcub16HIPCUB_304000_NS6detail27convert_result_type_wrapperISA_SB_N2at6native12_GLOBAL__N_19CustomMinEEEEE10hipError_tPvRmT0_T1_jT2_SS_T4_T3_P12ihipStream_tbEUlT_E_NS1_11comp_targetILNS1_3genE4ELNS1_11target_archE910ELNS1_3gpuE8ELNS1_3repE0EEENS1_30default_config_static_selectorELNS0_4arch9wavefront6targetE0EEEvSR_.private_seg_size, 0
	.set _ZN7rocprim17ROCPRIM_400000_NS6detail17trampoline_kernelINS0_14default_configENS1_32segmented_reduce_config_selectorIN3c104HalfEEEZNS1_21segmented_reduce_implIS3_PKS6_PS6_PKlS6_N6hipcub16HIPCUB_304000_NS6detail27convert_result_type_wrapperISA_SB_N2at6native12_GLOBAL__N_19CustomMinEEEEE10hipError_tPvRmT0_T1_jT2_SS_T4_T3_P12ihipStream_tbEUlT_E_NS1_11comp_targetILNS1_3genE4ELNS1_11target_archE910ELNS1_3gpuE8ELNS1_3repE0EEENS1_30default_config_static_selectorELNS0_4arch9wavefront6targetE0EEEvSR_.uses_vcc, 0
	.set _ZN7rocprim17ROCPRIM_400000_NS6detail17trampoline_kernelINS0_14default_configENS1_32segmented_reduce_config_selectorIN3c104HalfEEEZNS1_21segmented_reduce_implIS3_PKS6_PS6_PKlS6_N6hipcub16HIPCUB_304000_NS6detail27convert_result_type_wrapperISA_SB_N2at6native12_GLOBAL__N_19CustomMinEEEEE10hipError_tPvRmT0_T1_jT2_SS_T4_T3_P12ihipStream_tbEUlT_E_NS1_11comp_targetILNS1_3genE4ELNS1_11target_archE910ELNS1_3gpuE8ELNS1_3repE0EEENS1_30default_config_static_selectorELNS0_4arch9wavefront6targetE0EEEvSR_.uses_flat_scratch, 0
	.set _ZN7rocprim17ROCPRIM_400000_NS6detail17trampoline_kernelINS0_14default_configENS1_32segmented_reduce_config_selectorIN3c104HalfEEEZNS1_21segmented_reduce_implIS3_PKS6_PS6_PKlS6_N6hipcub16HIPCUB_304000_NS6detail27convert_result_type_wrapperISA_SB_N2at6native12_GLOBAL__N_19CustomMinEEEEE10hipError_tPvRmT0_T1_jT2_SS_T4_T3_P12ihipStream_tbEUlT_E_NS1_11comp_targetILNS1_3genE4ELNS1_11target_archE910ELNS1_3gpuE8ELNS1_3repE0EEENS1_30default_config_static_selectorELNS0_4arch9wavefront6targetE0EEEvSR_.has_dyn_sized_stack, 0
	.set _ZN7rocprim17ROCPRIM_400000_NS6detail17trampoline_kernelINS0_14default_configENS1_32segmented_reduce_config_selectorIN3c104HalfEEEZNS1_21segmented_reduce_implIS3_PKS6_PS6_PKlS6_N6hipcub16HIPCUB_304000_NS6detail27convert_result_type_wrapperISA_SB_N2at6native12_GLOBAL__N_19CustomMinEEEEE10hipError_tPvRmT0_T1_jT2_SS_T4_T3_P12ihipStream_tbEUlT_E_NS1_11comp_targetILNS1_3genE4ELNS1_11target_archE910ELNS1_3gpuE8ELNS1_3repE0EEENS1_30default_config_static_selectorELNS0_4arch9wavefront6targetE0EEEvSR_.has_recursion, 0
	.set _ZN7rocprim17ROCPRIM_400000_NS6detail17trampoline_kernelINS0_14default_configENS1_32segmented_reduce_config_selectorIN3c104HalfEEEZNS1_21segmented_reduce_implIS3_PKS6_PS6_PKlS6_N6hipcub16HIPCUB_304000_NS6detail27convert_result_type_wrapperISA_SB_N2at6native12_GLOBAL__N_19CustomMinEEEEE10hipError_tPvRmT0_T1_jT2_SS_T4_T3_P12ihipStream_tbEUlT_E_NS1_11comp_targetILNS1_3genE4ELNS1_11target_archE910ELNS1_3gpuE8ELNS1_3repE0EEENS1_30default_config_static_selectorELNS0_4arch9wavefront6targetE0EEEvSR_.has_indirect_call, 0
	.section	.AMDGPU.csdata,"",@progbits
; Kernel info:
; codeLenInByte = 0
; TotalNumSgprs: 0
; NumVgprs: 0
; ScratchSize: 0
; MemoryBound: 0
; FloatMode: 240
; IeeeMode: 1
; LDSByteSize: 0 bytes/workgroup (compile time only)
; SGPRBlocks: 0
; VGPRBlocks: 0
; NumSGPRsForWavesPerEU: 1
; NumVGPRsForWavesPerEU: 1
; NamedBarCnt: 0
; Occupancy: 16
; WaveLimiterHint : 0
; COMPUTE_PGM_RSRC2:SCRATCH_EN: 0
; COMPUTE_PGM_RSRC2:USER_SGPR: 2
; COMPUTE_PGM_RSRC2:TRAP_HANDLER: 0
; COMPUTE_PGM_RSRC2:TGID_X_EN: 1
; COMPUTE_PGM_RSRC2:TGID_Y_EN: 0
; COMPUTE_PGM_RSRC2:TGID_Z_EN: 0
; COMPUTE_PGM_RSRC2:TIDIG_COMP_CNT: 0
	.section	.text._ZN7rocprim17ROCPRIM_400000_NS6detail17trampoline_kernelINS0_14default_configENS1_32segmented_reduce_config_selectorIN3c104HalfEEEZNS1_21segmented_reduce_implIS3_PKS6_PS6_PKlS6_N6hipcub16HIPCUB_304000_NS6detail27convert_result_type_wrapperISA_SB_N2at6native12_GLOBAL__N_19CustomMinEEEEE10hipError_tPvRmT0_T1_jT2_SS_T4_T3_P12ihipStream_tbEUlT_E_NS1_11comp_targetILNS1_3genE3ELNS1_11target_archE908ELNS1_3gpuE7ELNS1_3repE0EEENS1_30default_config_static_selectorELNS0_4arch9wavefront6targetE0EEEvSR_,"axG",@progbits,_ZN7rocprim17ROCPRIM_400000_NS6detail17trampoline_kernelINS0_14default_configENS1_32segmented_reduce_config_selectorIN3c104HalfEEEZNS1_21segmented_reduce_implIS3_PKS6_PS6_PKlS6_N6hipcub16HIPCUB_304000_NS6detail27convert_result_type_wrapperISA_SB_N2at6native12_GLOBAL__N_19CustomMinEEEEE10hipError_tPvRmT0_T1_jT2_SS_T4_T3_P12ihipStream_tbEUlT_E_NS1_11comp_targetILNS1_3genE3ELNS1_11target_archE908ELNS1_3gpuE7ELNS1_3repE0EEENS1_30default_config_static_selectorELNS0_4arch9wavefront6targetE0EEEvSR_,comdat
	.globl	_ZN7rocprim17ROCPRIM_400000_NS6detail17trampoline_kernelINS0_14default_configENS1_32segmented_reduce_config_selectorIN3c104HalfEEEZNS1_21segmented_reduce_implIS3_PKS6_PS6_PKlS6_N6hipcub16HIPCUB_304000_NS6detail27convert_result_type_wrapperISA_SB_N2at6native12_GLOBAL__N_19CustomMinEEEEE10hipError_tPvRmT0_T1_jT2_SS_T4_T3_P12ihipStream_tbEUlT_E_NS1_11comp_targetILNS1_3genE3ELNS1_11target_archE908ELNS1_3gpuE7ELNS1_3repE0EEENS1_30default_config_static_selectorELNS0_4arch9wavefront6targetE0EEEvSR_ ; -- Begin function _ZN7rocprim17ROCPRIM_400000_NS6detail17trampoline_kernelINS0_14default_configENS1_32segmented_reduce_config_selectorIN3c104HalfEEEZNS1_21segmented_reduce_implIS3_PKS6_PS6_PKlS6_N6hipcub16HIPCUB_304000_NS6detail27convert_result_type_wrapperISA_SB_N2at6native12_GLOBAL__N_19CustomMinEEEEE10hipError_tPvRmT0_T1_jT2_SS_T4_T3_P12ihipStream_tbEUlT_E_NS1_11comp_targetILNS1_3genE3ELNS1_11target_archE908ELNS1_3gpuE7ELNS1_3repE0EEENS1_30default_config_static_selectorELNS0_4arch9wavefront6targetE0EEEvSR_
	.p2align	8
	.type	_ZN7rocprim17ROCPRIM_400000_NS6detail17trampoline_kernelINS0_14default_configENS1_32segmented_reduce_config_selectorIN3c104HalfEEEZNS1_21segmented_reduce_implIS3_PKS6_PS6_PKlS6_N6hipcub16HIPCUB_304000_NS6detail27convert_result_type_wrapperISA_SB_N2at6native12_GLOBAL__N_19CustomMinEEEEE10hipError_tPvRmT0_T1_jT2_SS_T4_T3_P12ihipStream_tbEUlT_E_NS1_11comp_targetILNS1_3genE3ELNS1_11target_archE908ELNS1_3gpuE7ELNS1_3repE0EEENS1_30default_config_static_selectorELNS0_4arch9wavefront6targetE0EEEvSR_,@function
_ZN7rocprim17ROCPRIM_400000_NS6detail17trampoline_kernelINS0_14default_configENS1_32segmented_reduce_config_selectorIN3c104HalfEEEZNS1_21segmented_reduce_implIS3_PKS6_PS6_PKlS6_N6hipcub16HIPCUB_304000_NS6detail27convert_result_type_wrapperISA_SB_N2at6native12_GLOBAL__N_19CustomMinEEEEE10hipError_tPvRmT0_T1_jT2_SS_T4_T3_P12ihipStream_tbEUlT_E_NS1_11comp_targetILNS1_3genE3ELNS1_11target_archE908ELNS1_3gpuE7ELNS1_3repE0EEENS1_30default_config_static_selectorELNS0_4arch9wavefront6targetE0EEEvSR_: ; @_ZN7rocprim17ROCPRIM_400000_NS6detail17trampoline_kernelINS0_14default_configENS1_32segmented_reduce_config_selectorIN3c104HalfEEEZNS1_21segmented_reduce_implIS3_PKS6_PS6_PKlS6_N6hipcub16HIPCUB_304000_NS6detail27convert_result_type_wrapperISA_SB_N2at6native12_GLOBAL__N_19CustomMinEEEEE10hipError_tPvRmT0_T1_jT2_SS_T4_T3_P12ihipStream_tbEUlT_E_NS1_11comp_targetILNS1_3genE3ELNS1_11target_archE908ELNS1_3gpuE7ELNS1_3repE0EEENS1_30default_config_static_selectorELNS0_4arch9wavefront6targetE0EEEvSR_
; %bb.0:
	.section	.rodata,"a",@progbits
	.p2align	6, 0x0
	.amdhsa_kernel _ZN7rocprim17ROCPRIM_400000_NS6detail17trampoline_kernelINS0_14default_configENS1_32segmented_reduce_config_selectorIN3c104HalfEEEZNS1_21segmented_reduce_implIS3_PKS6_PS6_PKlS6_N6hipcub16HIPCUB_304000_NS6detail27convert_result_type_wrapperISA_SB_N2at6native12_GLOBAL__N_19CustomMinEEEEE10hipError_tPvRmT0_T1_jT2_SS_T4_T3_P12ihipStream_tbEUlT_E_NS1_11comp_targetILNS1_3genE3ELNS1_11target_archE908ELNS1_3gpuE7ELNS1_3repE0EEENS1_30default_config_static_selectorELNS0_4arch9wavefront6targetE0EEEvSR_
		.amdhsa_group_segment_fixed_size 0
		.amdhsa_private_segment_fixed_size 0
		.amdhsa_kernarg_size 48
		.amdhsa_user_sgpr_count 2
		.amdhsa_user_sgpr_dispatch_ptr 0
		.amdhsa_user_sgpr_queue_ptr 0
		.amdhsa_user_sgpr_kernarg_segment_ptr 1
		.amdhsa_user_sgpr_dispatch_id 0
		.amdhsa_user_sgpr_kernarg_preload_length 0
		.amdhsa_user_sgpr_kernarg_preload_offset 0
		.amdhsa_user_sgpr_private_segment_size 0
		.amdhsa_wavefront_size32 1
		.amdhsa_uses_dynamic_stack 0
		.amdhsa_enable_private_segment 0
		.amdhsa_system_sgpr_workgroup_id_x 1
		.amdhsa_system_sgpr_workgroup_id_y 0
		.amdhsa_system_sgpr_workgroup_id_z 0
		.amdhsa_system_sgpr_workgroup_info 0
		.amdhsa_system_vgpr_workitem_id 0
		.amdhsa_next_free_vgpr 1
		.amdhsa_next_free_sgpr 1
		.amdhsa_named_barrier_count 0
		.amdhsa_reserve_vcc 0
		.amdhsa_float_round_mode_32 0
		.amdhsa_float_round_mode_16_64 0
		.amdhsa_float_denorm_mode_32 3
		.amdhsa_float_denorm_mode_16_64 3
		.amdhsa_fp16_overflow 0
		.amdhsa_memory_ordered 1
		.amdhsa_forward_progress 1
		.amdhsa_inst_pref_size 0
		.amdhsa_round_robin_scheduling 0
		.amdhsa_exception_fp_ieee_invalid_op 0
		.amdhsa_exception_fp_denorm_src 0
		.amdhsa_exception_fp_ieee_div_zero 0
		.amdhsa_exception_fp_ieee_overflow 0
		.amdhsa_exception_fp_ieee_underflow 0
		.amdhsa_exception_fp_ieee_inexact 0
		.amdhsa_exception_int_div_zero 0
	.end_amdhsa_kernel
	.section	.text._ZN7rocprim17ROCPRIM_400000_NS6detail17trampoline_kernelINS0_14default_configENS1_32segmented_reduce_config_selectorIN3c104HalfEEEZNS1_21segmented_reduce_implIS3_PKS6_PS6_PKlS6_N6hipcub16HIPCUB_304000_NS6detail27convert_result_type_wrapperISA_SB_N2at6native12_GLOBAL__N_19CustomMinEEEEE10hipError_tPvRmT0_T1_jT2_SS_T4_T3_P12ihipStream_tbEUlT_E_NS1_11comp_targetILNS1_3genE3ELNS1_11target_archE908ELNS1_3gpuE7ELNS1_3repE0EEENS1_30default_config_static_selectorELNS0_4arch9wavefront6targetE0EEEvSR_,"axG",@progbits,_ZN7rocprim17ROCPRIM_400000_NS6detail17trampoline_kernelINS0_14default_configENS1_32segmented_reduce_config_selectorIN3c104HalfEEEZNS1_21segmented_reduce_implIS3_PKS6_PS6_PKlS6_N6hipcub16HIPCUB_304000_NS6detail27convert_result_type_wrapperISA_SB_N2at6native12_GLOBAL__N_19CustomMinEEEEE10hipError_tPvRmT0_T1_jT2_SS_T4_T3_P12ihipStream_tbEUlT_E_NS1_11comp_targetILNS1_3genE3ELNS1_11target_archE908ELNS1_3gpuE7ELNS1_3repE0EEENS1_30default_config_static_selectorELNS0_4arch9wavefront6targetE0EEEvSR_,comdat
.Lfunc_end234:
	.size	_ZN7rocprim17ROCPRIM_400000_NS6detail17trampoline_kernelINS0_14default_configENS1_32segmented_reduce_config_selectorIN3c104HalfEEEZNS1_21segmented_reduce_implIS3_PKS6_PS6_PKlS6_N6hipcub16HIPCUB_304000_NS6detail27convert_result_type_wrapperISA_SB_N2at6native12_GLOBAL__N_19CustomMinEEEEE10hipError_tPvRmT0_T1_jT2_SS_T4_T3_P12ihipStream_tbEUlT_E_NS1_11comp_targetILNS1_3genE3ELNS1_11target_archE908ELNS1_3gpuE7ELNS1_3repE0EEENS1_30default_config_static_selectorELNS0_4arch9wavefront6targetE0EEEvSR_, .Lfunc_end234-_ZN7rocprim17ROCPRIM_400000_NS6detail17trampoline_kernelINS0_14default_configENS1_32segmented_reduce_config_selectorIN3c104HalfEEEZNS1_21segmented_reduce_implIS3_PKS6_PS6_PKlS6_N6hipcub16HIPCUB_304000_NS6detail27convert_result_type_wrapperISA_SB_N2at6native12_GLOBAL__N_19CustomMinEEEEE10hipError_tPvRmT0_T1_jT2_SS_T4_T3_P12ihipStream_tbEUlT_E_NS1_11comp_targetILNS1_3genE3ELNS1_11target_archE908ELNS1_3gpuE7ELNS1_3repE0EEENS1_30default_config_static_selectorELNS0_4arch9wavefront6targetE0EEEvSR_
                                        ; -- End function
	.set _ZN7rocprim17ROCPRIM_400000_NS6detail17trampoline_kernelINS0_14default_configENS1_32segmented_reduce_config_selectorIN3c104HalfEEEZNS1_21segmented_reduce_implIS3_PKS6_PS6_PKlS6_N6hipcub16HIPCUB_304000_NS6detail27convert_result_type_wrapperISA_SB_N2at6native12_GLOBAL__N_19CustomMinEEEEE10hipError_tPvRmT0_T1_jT2_SS_T4_T3_P12ihipStream_tbEUlT_E_NS1_11comp_targetILNS1_3genE3ELNS1_11target_archE908ELNS1_3gpuE7ELNS1_3repE0EEENS1_30default_config_static_selectorELNS0_4arch9wavefront6targetE0EEEvSR_.num_vgpr, 0
	.set _ZN7rocprim17ROCPRIM_400000_NS6detail17trampoline_kernelINS0_14default_configENS1_32segmented_reduce_config_selectorIN3c104HalfEEEZNS1_21segmented_reduce_implIS3_PKS6_PS6_PKlS6_N6hipcub16HIPCUB_304000_NS6detail27convert_result_type_wrapperISA_SB_N2at6native12_GLOBAL__N_19CustomMinEEEEE10hipError_tPvRmT0_T1_jT2_SS_T4_T3_P12ihipStream_tbEUlT_E_NS1_11comp_targetILNS1_3genE3ELNS1_11target_archE908ELNS1_3gpuE7ELNS1_3repE0EEENS1_30default_config_static_selectorELNS0_4arch9wavefront6targetE0EEEvSR_.num_agpr, 0
	.set _ZN7rocprim17ROCPRIM_400000_NS6detail17trampoline_kernelINS0_14default_configENS1_32segmented_reduce_config_selectorIN3c104HalfEEEZNS1_21segmented_reduce_implIS3_PKS6_PS6_PKlS6_N6hipcub16HIPCUB_304000_NS6detail27convert_result_type_wrapperISA_SB_N2at6native12_GLOBAL__N_19CustomMinEEEEE10hipError_tPvRmT0_T1_jT2_SS_T4_T3_P12ihipStream_tbEUlT_E_NS1_11comp_targetILNS1_3genE3ELNS1_11target_archE908ELNS1_3gpuE7ELNS1_3repE0EEENS1_30default_config_static_selectorELNS0_4arch9wavefront6targetE0EEEvSR_.numbered_sgpr, 0
	.set _ZN7rocprim17ROCPRIM_400000_NS6detail17trampoline_kernelINS0_14default_configENS1_32segmented_reduce_config_selectorIN3c104HalfEEEZNS1_21segmented_reduce_implIS3_PKS6_PS6_PKlS6_N6hipcub16HIPCUB_304000_NS6detail27convert_result_type_wrapperISA_SB_N2at6native12_GLOBAL__N_19CustomMinEEEEE10hipError_tPvRmT0_T1_jT2_SS_T4_T3_P12ihipStream_tbEUlT_E_NS1_11comp_targetILNS1_3genE3ELNS1_11target_archE908ELNS1_3gpuE7ELNS1_3repE0EEENS1_30default_config_static_selectorELNS0_4arch9wavefront6targetE0EEEvSR_.num_named_barrier, 0
	.set _ZN7rocprim17ROCPRIM_400000_NS6detail17trampoline_kernelINS0_14default_configENS1_32segmented_reduce_config_selectorIN3c104HalfEEEZNS1_21segmented_reduce_implIS3_PKS6_PS6_PKlS6_N6hipcub16HIPCUB_304000_NS6detail27convert_result_type_wrapperISA_SB_N2at6native12_GLOBAL__N_19CustomMinEEEEE10hipError_tPvRmT0_T1_jT2_SS_T4_T3_P12ihipStream_tbEUlT_E_NS1_11comp_targetILNS1_3genE3ELNS1_11target_archE908ELNS1_3gpuE7ELNS1_3repE0EEENS1_30default_config_static_selectorELNS0_4arch9wavefront6targetE0EEEvSR_.private_seg_size, 0
	.set _ZN7rocprim17ROCPRIM_400000_NS6detail17trampoline_kernelINS0_14default_configENS1_32segmented_reduce_config_selectorIN3c104HalfEEEZNS1_21segmented_reduce_implIS3_PKS6_PS6_PKlS6_N6hipcub16HIPCUB_304000_NS6detail27convert_result_type_wrapperISA_SB_N2at6native12_GLOBAL__N_19CustomMinEEEEE10hipError_tPvRmT0_T1_jT2_SS_T4_T3_P12ihipStream_tbEUlT_E_NS1_11comp_targetILNS1_3genE3ELNS1_11target_archE908ELNS1_3gpuE7ELNS1_3repE0EEENS1_30default_config_static_selectorELNS0_4arch9wavefront6targetE0EEEvSR_.uses_vcc, 0
	.set _ZN7rocprim17ROCPRIM_400000_NS6detail17trampoline_kernelINS0_14default_configENS1_32segmented_reduce_config_selectorIN3c104HalfEEEZNS1_21segmented_reduce_implIS3_PKS6_PS6_PKlS6_N6hipcub16HIPCUB_304000_NS6detail27convert_result_type_wrapperISA_SB_N2at6native12_GLOBAL__N_19CustomMinEEEEE10hipError_tPvRmT0_T1_jT2_SS_T4_T3_P12ihipStream_tbEUlT_E_NS1_11comp_targetILNS1_3genE3ELNS1_11target_archE908ELNS1_3gpuE7ELNS1_3repE0EEENS1_30default_config_static_selectorELNS0_4arch9wavefront6targetE0EEEvSR_.uses_flat_scratch, 0
	.set _ZN7rocprim17ROCPRIM_400000_NS6detail17trampoline_kernelINS0_14default_configENS1_32segmented_reduce_config_selectorIN3c104HalfEEEZNS1_21segmented_reduce_implIS3_PKS6_PS6_PKlS6_N6hipcub16HIPCUB_304000_NS6detail27convert_result_type_wrapperISA_SB_N2at6native12_GLOBAL__N_19CustomMinEEEEE10hipError_tPvRmT0_T1_jT2_SS_T4_T3_P12ihipStream_tbEUlT_E_NS1_11comp_targetILNS1_3genE3ELNS1_11target_archE908ELNS1_3gpuE7ELNS1_3repE0EEENS1_30default_config_static_selectorELNS0_4arch9wavefront6targetE0EEEvSR_.has_dyn_sized_stack, 0
	.set _ZN7rocprim17ROCPRIM_400000_NS6detail17trampoline_kernelINS0_14default_configENS1_32segmented_reduce_config_selectorIN3c104HalfEEEZNS1_21segmented_reduce_implIS3_PKS6_PS6_PKlS6_N6hipcub16HIPCUB_304000_NS6detail27convert_result_type_wrapperISA_SB_N2at6native12_GLOBAL__N_19CustomMinEEEEE10hipError_tPvRmT0_T1_jT2_SS_T4_T3_P12ihipStream_tbEUlT_E_NS1_11comp_targetILNS1_3genE3ELNS1_11target_archE908ELNS1_3gpuE7ELNS1_3repE0EEENS1_30default_config_static_selectorELNS0_4arch9wavefront6targetE0EEEvSR_.has_recursion, 0
	.set _ZN7rocprim17ROCPRIM_400000_NS6detail17trampoline_kernelINS0_14default_configENS1_32segmented_reduce_config_selectorIN3c104HalfEEEZNS1_21segmented_reduce_implIS3_PKS6_PS6_PKlS6_N6hipcub16HIPCUB_304000_NS6detail27convert_result_type_wrapperISA_SB_N2at6native12_GLOBAL__N_19CustomMinEEEEE10hipError_tPvRmT0_T1_jT2_SS_T4_T3_P12ihipStream_tbEUlT_E_NS1_11comp_targetILNS1_3genE3ELNS1_11target_archE908ELNS1_3gpuE7ELNS1_3repE0EEENS1_30default_config_static_selectorELNS0_4arch9wavefront6targetE0EEEvSR_.has_indirect_call, 0
	.section	.AMDGPU.csdata,"",@progbits
; Kernel info:
; codeLenInByte = 0
; TotalNumSgprs: 0
; NumVgprs: 0
; ScratchSize: 0
; MemoryBound: 0
; FloatMode: 240
; IeeeMode: 1
; LDSByteSize: 0 bytes/workgroup (compile time only)
; SGPRBlocks: 0
; VGPRBlocks: 0
; NumSGPRsForWavesPerEU: 1
; NumVGPRsForWavesPerEU: 1
; NamedBarCnt: 0
; Occupancy: 16
; WaveLimiterHint : 0
; COMPUTE_PGM_RSRC2:SCRATCH_EN: 0
; COMPUTE_PGM_RSRC2:USER_SGPR: 2
; COMPUTE_PGM_RSRC2:TRAP_HANDLER: 0
; COMPUTE_PGM_RSRC2:TGID_X_EN: 1
; COMPUTE_PGM_RSRC2:TGID_Y_EN: 0
; COMPUTE_PGM_RSRC2:TGID_Z_EN: 0
; COMPUTE_PGM_RSRC2:TIDIG_COMP_CNT: 0
	.section	.text._ZN7rocprim17ROCPRIM_400000_NS6detail17trampoline_kernelINS0_14default_configENS1_32segmented_reduce_config_selectorIN3c104HalfEEEZNS1_21segmented_reduce_implIS3_PKS6_PS6_PKlS6_N6hipcub16HIPCUB_304000_NS6detail27convert_result_type_wrapperISA_SB_N2at6native12_GLOBAL__N_19CustomMinEEEEE10hipError_tPvRmT0_T1_jT2_SS_T4_T3_P12ihipStream_tbEUlT_E_NS1_11comp_targetILNS1_3genE2ELNS1_11target_archE906ELNS1_3gpuE6ELNS1_3repE0EEENS1_30default_config_static_selectorELNS0_4arch9wavefront6targetE0EEEvSR_,"axG",@progbits,_ZN7rocprim17ROCPRIM_400000_NS6detail17trampoline_kernelINS0_14default_configENS1_32segmented_reduce_config_selectorIN3c104HalfEEEZNS1_21segmented_reduce_implIS3_PKS6_PS6_PKlS6_N6hipcub16HIPCUB_304000_NS6detail27convert_result_type_wrapperISA_SB_N2at6native12_GLOBAL__N_19CustomMinEEEEE10hipError_tPvRmT0_T1_jT2_SS_T4_T3_P12ihipStream_tbEUlT_E_NS1_11comp_targetILNS1_3genE2ELNS1_11target_archE906ELNS1_3gpuE6ELNS1_3repE0EEENS1_30default_config_static_selectorELNS0_4arch9wavefront6targetE0EEEvSR_,comdat
	.globl	_ZN7rocprim17ROCPRIM_400000_NS6detail17trampoline_kernelINS0_14default_configENS1_32segmented_reduce_config_selectorIN3c104HalfEEEZNS1_21segmented_reduce_implIS3_PKS6_PS6_PKlS6_N6hipcub16HIPCUB_304000_NS6detail27convert_result_type_wrapperISA_SB_N2at6native12_GLOBAL__N_19CustomMinEEEEE10hipError_tPvRmT0_T1_jT2_SS_T4_T3_P12ihipStream_tbEUlT_E_NS1_11comp_targetILNS1_3genE2ELNS1_11target_archE906ELNS1_3gpuE6ELNS1_3repE0EEENS1_30default_config_static_selectorELNS0_4arch9wavefront6targetE0EEEvSR_ ; -- Begin function _ZN7rocprim17ROCPRIM_400000_NS6detail17trampoline_kernelINS0_14default_configENS1_32segmented_reduce_config_selectorIN3c104HalfEEEZNS1_21segmented_reduce_implIS3_PKS6_PS6_PKlS6_N6hipcub16HIPCUB_304000_NS6detail27convert_result_type_wrapperISA_SB_N2at6native12_GLOBAL__N_19CustomMinEEEEE10hipError_tPvRmT0_T1_jT2_SS_T4_T3_P12ihipStream_tbEUlT_E_NS1_11comp_targetILNS1_3genE2ELNS1_11target_archE906ELNS1_3gpuE6ELNS1_3repE0EEENS1_30default_config_static_selectorELNS0_4arch9wavefront6targetE0EEEvSR_
	.p2align	8
	.type	_ZN7rocprim17ROCPRIM_400000_NS6detail17trampoline_kernelINS0_14default_configENS1_32segmented_reduce_config_selectorIN3c104HalfEEEZNS1_21segmented_reduce_implIS3_PKS6_PS6_PKlS6_N6hipcub16HIPCUB_304000_NS6detail27convert_result_type_wrapperISA_SB_N2at6native12_GLOBAL__N_19CustomMinEEEEE10hipError_tPvRmT0_T1_jT2_SS_T4_T3_P12ihipStream_tbEUlT_E_NS1_11comp_targetILNS1_3genE2ELNS1_11target_archE906ELNS1_3gpuE6ELNS1_3repE0EEENS1_30default_config_static_selectorELNS0_4arch9wavefront6targetE0EEEvSR_,@function
_ZN7rocprim17ROCPRIM_400000_NS6detail17trampoline_kernelINS0_14default_configENS1_32segmented_reduce_config_selectorIN3c104HalfEEEZNS1_21segmented_reduce_implIS3_PKS6_PS6_PKlS6_N6hipcub16HIPCUB_304000_NS6detail27convert_result_type_wrapperISA_SB_N2at6native12_GLOBAL__N_19CustomMinEEEEE10hipError_tPvRmT0_T1_jT2_SS_T4_T3_P12ihipStream_tbEUlT_E_NS1_11comp_targetILNS1_3genE2ELNS1_11target_archE906ELNS1_3gpuE6ELNS1_3repE0EEENS1_30default_config_static_selectorELNS0_4arch9wavefront6targetE0EEEvSR_: ; @_ZN7rocprim17ROCPRIM_400000_NS6detail17trampoline_kernelINS0_14default_configENS1_32segmented_reduce_config_selectorIN3c104HalfEEEZNS1_21segmented_reduce_implIS3_PKS6_PS6_PKlS6_N6hipcub16HIPCUB_304000_NS6detail27convert_result_type_wrapperISA_SB_N2at6native12_GLOBAL__N_19CustomMinEEEEE10hipError_tPvRmT0_T1_jT2_SS_T4_T3_P12ihipStream_tbEUlT_E_NS1_11comp_targetILNS1_3genE2ELNS1_11target_archE906ELNS1_3gpuE6ELNS1_3repE0EEENS1_30default_config_static_selectorELNS0_4arch9wavefront6targetE0EEEvSR_
; %bb.0:
	.section	.rodata,"a",@progbits
	.p2align	6, 0x0
	.amdhsa_kernel _ZN7rocprim17ROCPRIM_400000_NS6detail17trampoline_kernelINS0_14default_configENS1_32segmented_reduce_config_selectorIN3c104HalfEEEZNS1_21segmented_reduce_implIS3_PKS6_PS6_PKlS6_N6hipcub16HIPCUB_304000_NS6detail27convert_result_type_wrapperISA_SB_N2at6native12_GLOBAL__N_19CustomMinEEEEE10hipError_tPvRmT0_T1_jT2_SS_T4_T3_P12ihipStream_tbEUlT_E_NS1_11comp_targetILNS1_3genE2ELNS1_11target_archE906ELNS1_3gpuE6ELNS1_3repE0EEENS1_30default_config_static_selectorELNS0_4arch9wavefront6targetE0EEEvSR_
		.amdhsa_group_segment_fixed_size 0
		.amdhsa_private_segment_fixed_size 0
		.amdhsa_kernarg_size 48
		.amdhsa_user_sgpr_count 2
		.amdhsa_user_sgpr_dispatch_ptr 0
		.amdhsa_user_sgpr_queue_ptr 0
		.amdhsa_user_sgpr_kernarg_segment_ptr 1
		.amdhsa_user_sgpr_dispatch_id 0
		.amdhsa_user_sgpr_kernarg_preload_length 0
		.amdhsa_user_sgpr_kernarg_preload_offset 0
		.amdhsa_user_sgpr_private_segment_size 0
		.amdhsa_wavefront_size32 1
		.amdhsa_uses_dynamic_stack 0
		.amdhsa_enable_private_segment 0
		.amdhsa_system_sgpr_workgroup_id_x 1
		.amdhsa_system_sgpr_workgroup_id_y 0
		.amdhsa_system_sgpr_workgroup_id_z 0
		.amdhsa_system_sgpr_workgroup_info 0
		.amdhsa_system_vgpr_workitem_id 0
		.amdhsa_next_free_vgpr 1
		.amdhsa_next_free_sgpr 1
		.amdhsa_named_barrier_count 0
		.amdhsa_reserve_vcc 0
		.amdhsa_float_round_mode_32 0
		.amdhsa_float_round_mode_16_64 0
		.amdhsa_float_denorm_mode_32 3
		.amdhsa_float_denorm_mode_16_64 3
		.amdhsa_fp16_overflow 0
		.amdhsa_memory_ordered 1
		.amdhsa_forward_progress 1
		.amdhsa_inst_pref_size 0
		.amdhsa_round_robin_scheduling 0
		.amdhsa_exception_fp_ieee_invalid_op 0
		.amdhsa_exception_fp_denorm_src 0
		.amdhsa_exception_fp_ieee_div_zero 0
		.amdhsa_exception_fp_ieee_overflow 0
		.amdhsa_exception_fp_ieee_underflow 0
		.amdhsa_exception_fp_ieee_inexact 0
		.amdhsa_exception_int_div_zero 0
	.end_amdhsa_kernel
	.section	.text._ZN7rocprim17ROCPRIM_400000_NS6detail17trampoline_kernelINS0_14default_configENS1_32segmented_reduce_config_selectorIN3c104HalfEEEZNS1_21segmented_reduce_implIS3_PKS6_PS6_PKlS6_N6hipcub16HIPCUB_304000_NS6detail27convert_result_type_wrapperISA_SB_N2at6native12_GLOBAL__N_19CustomMinEEEEE10hipError_tPvRmT0_T1_jT2_SS_T4_T3_P12ihipStream_tbEUlT_E_NS1_11comp_targetILNS1_3genE2ELNS1_11target_archE906ELNS1_3gpuE6ELNS1_3repE0EEENS1_30default_config_static_selectorELNS0_4arch9wavefront6targetE0EEEvSR_,"axG",@progbits,_ZN7rocprim17ROCPRIM_400000_NS6detail17trampoline_kernelINS0_14default_configENS1_32segmented_reduce_config_selectorIN3c104HalfEEEZNS1_21segmented_reduce_implIS3_PKS6_PS6_PKlS6_N6hipcub16HIPCUB_304000_NS6detail27convert_result_type_wrapperISA_SB_N2at6native12_GLOBAL__N_19CustomMinEEEEE10hipError_tPvRmT0_T1_jT2_SS_T4_T3_P12ihipStream_tbEUlT_E_NS1_11comp_targetILNS1_3genE2ELNS1_11target_archE906ELNS1_3gpuE6ELNS1_3repE0EEENS1_30default_config_static_selectorELNS0_4arch9wavefront6targetE0EEEvSR_,comdat
.Lfunc_end235:
	.size	_ZN7rocprim17ROCPRIM_400000_NS6detail17trampoline_kernelINS0_14default_configENS1_32segmented_reduce_config_selectorIN3c104HalfEEEZNS1_21segmented_reduce_implIS3_PKS6_PS6_PKlS6_N6hipcub16HIPCUB_304000_NS6detail27convert_result_type_wrapperISA_SB_N2at6native12_GLOBAL__N_19CustomMinEEEEE10hipError_tPvRmT0_T1_jT2_SS_T4_T3_P12ihipStream_tbEUlT_E_NS1_11comp_targetILNS1_3genE2ELNS1_11target_archE906ELNS1_3gpuE6ELNS1_3repE0EEENS1_30default_config_static_selectorELNS0_4arch9wavefront6targetE0EEEvSR_, .Lfunc_end235-_ZN7rocprim17ROCPRIM_400000_NS6detail17trampoline_kernelINS0_14default_configENS1_32segmented_reduce_config_selectorIN3c104HalfEEEZNS1_21segmented_reduce_implIS3_PKS6_PS6_PKlS6_N6hipcub16HIPCUB_304000_NS6detail27convert_result_type_wrapperISA_SB_N2at6native12_GLOBAL__N_19CustomMinEEEEE10hipError_tPvRmT0_T1_jT2_SS_T4_T3_P12ihipStream_tbEUlT_E_NS1_11comp_targetILNS1_3genE2ELNS1_11target_archE906ELNS1_3gpuE6ELNS1_3repE0EEENS1_30default_config_static_selectorELNS0_4arch9wavefront6targetE0EEEvSR_
                                        ; -- End function
	.set _ZN7rocprim17ROCPRIM_400000_NS6detail17trampoline_kernelINS0_14default_configENS1_32segmented_reduce_config_selectorIN3c104HalfEEEZNS1_21segmented_reduce_implIS3_PKS6_PS6_PKlS6_N6hipcub16HIPCUB_304000_NS6detail27convert_result_type_wrapperISA_SB_N2at6native12_GLOBAL__N_19CustomMinEEEEE10hipError_tPvRmT0_T1_jT2_SS_T4_T3_P12ihipStream_tbEUlT_E_NS1_11comp_targetILNS1_3genE2ELNS1_11target_archE906ELNS1_3gpuE6ELNS1_3repE0EEENS1_30default_config_static_selectorELNS0_4arch9wavefront6targetE0EEEvSR_.num_vgpr, 0
	.set _ZN7rocprim17ROCPRIM_400000_NS6detail17trampoline_kernelINS0_14default_configENS1_32segmented_reduce_config_selectorIN3c104HalfEEEZNS1_21segmented_reduce_implIS3_PKS6_PS6_PKlS6_N6hipcub16HIPCUB_304000_NS6detail27convert_result_type_wrapperISA_SB_N2at6native12_GLOBAL__N_19CustomMinEEEEE10hipError_tPvRmT0_T1_jT2_SS_T4_T3_P12ihipStream_tbEUlT_E_NS1_11comp_targetILNS1_3genE2ELNS1_11target_archE906ELNS1_3gpuE6ELNS1_3repE0EEENS1_30default_config_static_selectorELNS0_4arch9wavefront6targetE0EEEvSR_.num_agpr, 0
	.set _ZN7rocprim17ROCPRIM_400000_NS6detail17trampoline_kernelINS0_14default_configENS1_32segmented_reduce_config_selectorIN3c104HalfEEEZNS1_21segmented_reduce_implIS3_PKS6_PS6_PKlS6_N6hipcub16HIPCUB_304000_NS6detail27convert_result_type_wrapperISA_SB_N2at6native12_GLOBAL__N_19CustomMinEEEEE10hipError_tPvRmT0_T1_jT2_SS_T4_T3_P12ihipStream_tbEUlT_E_NS1_11comp_targetILNS1_3genE2ELNS1_11target_archE906ELNS1_3gpuE6ELNS1_3repE0EEENS1_30default_config_static_selectorELNS0_4arch9wavefront6targetE0EEEvSR_.numbered_sgpr, 0
	.set _ZN7rocprim17ROCPRIM_400000_NS6detail17trampoline_kernelINS0_14default_configENS1_32segmented_reduce_config_selectorIN3c104HalfEEEZNS1_21segmented_reduce_implIS3_PKS6_PS6_PKlS6_N6hipcub16HIPCUB_304000_NS6detail27convert_result_type_wrapperISA_SB_N2at6native12_GLOBAL__N_19CustomMinEEEEE10hipError_tPvRmT0_T1_jT2_SS_T4_T3_P12ihipStream_tbEUlT_E_NS1_11comp_targetILNS1_3genE2ELNS1_11target_archE906ELNS1_3gpuE6ELNS1_3repE0EEENS1_30default_config_static_selectorELNS0_4arch9wavefront6targetE0EEEvSR_.num_named_barrier, 0
	.set _ZN7rocprim17ROCPRIM_400000_NS6detail17trampoline_kernelINS0_14default_configENS1_32segmented_reduce_config_selectorIN3c104HalfEEEZNS1_21segmented_reduce_implIS3_PKS6_PS6_PKlS6_N6hipcub16HIPCUB_304000_NS6detail27convert_result_type_wrapperISA_SB_N2at6native12_GLOBAL__N_19CustomMinEEEEE10hipError_tPvRmT0_T1_jT2_SS_T4_T3_P12ihipStream_tbEUlT_E_NS1_11comp_targetILNS1_3genE2ELNS1_11target_archE906ELNS1_3gpuE6ELNS1_3repE0EEENS1_30default_config_static_selectorELNS0_4arch9wavefront6targetE0EEEvSR_.private_seg_size, 0
	.set _ZN7rocprim17ROCPRIM_400000_NS6detail17trampoline_kernelINS0_14default_configENS1_32segmented_reduce_config_selectorIN3c104HalfEEEZNS1_21segmented_reduce_implIS3_PKS6_PS6_PKlS6_N6hipcub16HIPCUB_304000_NS6detail27convert_result_type_wrapperISA_SB_N2at6native12_GLOBAL__N_19CustomMinEEEEE10hipError_tPvRmT0_T1_jT2_SS_T4_T3_P12ihipStream_tbEUlT_E_NS1_11comp_targetILNS1_3genE2ELNS1_11target_archE906ELNS1_3gpuE6ELNS1_3repE0EEENS1_30default_config_static_selectorELNS0_4arch9wavefront6targetE0EEEvSR_.uses_vcc, 0
	.set _ZN7rocprim17ROCPRIM_400000_NS6detail17trampoline_kernelINS0_14default_configENS1_32segmented_reduce_config_selectorIN3c104HalfEEEZNS1_21segmented_reduce_implIS3_PKS6_PS6_PKlS6_N6hipcub16HIPCUB_304000_NS6detail27convert_result_type_wrapperISA_SB_N2at6native12_GLOBAL__N_19CustomMinEEEEE10hipError_tPvRmT0_T1_jT2_SS_T4_T3_P12ihipStream_tbEUlT_E_NS1_11comp_targetILNS1_3genE2ELNS1_11target_archE906ELNS1_3gpuE6ELNS1_3repE0EEENS1_30default_config_static_selectorELNS0_4arch9wavefront6targetE0EEEvSR_.uses_flat_scratch, 0
	.set _ZN7rocprim17ROCPRIM_400000_NS6detail17trampoline_kernelINS0_14default_configENS1_32segmented_reduce_config_selectorIN3c104HalfEEEZNS1_21segmented_reduce_implIS3_PKS6_PS6_PKlS6_N6hipcub16HIPCUB_304000_NS6detail27convert_result_type_wrapperISA_SB_N2at6native12_GLOBAL__N_19CustomMinEEEEE10hipError_tPvRmT0_T1_jT2_SS_T4_T3_P12ihipStream_tbEUlT_E_NS1_11comp_targetILNS1_3genE2ELNS1_11target_archE906ELNS1_3gpuE6ELNS1_3repE0EEENS1_30default_config_static_selectorELNS0_4arch9wavefront6targetE0EEEvSR_.has_dyn_sized_stack, 0
	.set _ZN7rocprim17ROCPRIM_400000_NS6detail17trampoline_kernelINS0_14default_configENS1_32segmented_reduce_config_selectorIN3c104HalfEEEZNS1_21segmented_reduce_implIS3_PKS6_PS6_PKlS6_N6hipcub16HIPCUB_304000_NS6detail27convert_result_type_wrapperISA_SB_N2at6native12_GLOBAL__N_19CustomMinEEEEE10hipError_tPvRmT0_T1_jT2_SS_T4_T3_P12ihipStream_tbEUlT_E_NS1_11comp_targetILNS1_3genE2ELNS1_11target_archE906ELNS1_3gpuE6ELNS1_3repE0EEENS1_30default_config_static_selectorELNS0_4arch9wavefront6targetE0EEEvSR_.has_recursion, 0
	.set _ZN7rocprim17ROCPRIM_400000_NS6detail17trampoline_kernelINS0_14default_configENS1_32segmented_reduce_config_selectorIN3c104HalfEEEZNS1_21segmented_reduce_implIS3_PKS6_PS6_PKlS6_N6hipcub16HIPCUB_304000_NS6detail27convert_result_type_wrapperISA_SB_N2at6native12_GLOBAL__N_19CustomMinEEEEE10hipError_tPvRmT0_T1_jT2_SS_T4_T3_P12ihipStream_tbEUlT_E_NS1_11comp_targetILNS1_3genE2ELNS1_11target_archE906ELNS1_3gpuE6ELNS1_3repE0EEENS1_30default_config_static_selectorELNS0_4arch9wavefront6targetE0EEEvSR_.has_indirect_call, 0
	.section	.AMDGPU.csdata,"",@progbits
; Kernel info:
; codeLenInByte = 0
; TotalNumSgprs: 0
; NumVgprs: 0
; ScratchSize: 0
; MemoryBound: 0
; FloatMode: 240
; IeeeMode: 1
; LDSByteSize: 0 bytes/workgroup (compile time only)
; SGPRBlocks: 0
; VGPRBlocks: 0
; NumSGPRsForWavesPerEU: 1
; NumVGPRsForWavesPerEU: 1
; NamedBarCnt: 0
; Occupancy: 16
; WaveLimiterHint : 0
; COMPUTE_PGM_RSRC2:SCRATCH_EN: 0
; COMPUTE_PGM_RSRC2:USER_SGPR: 2
; COMPUTE_PGM_RSRC2:TRAP_HANDLER: 0
; COMPUTE_PGM_RSRC2:TGID_X_EN: 1
; COMPUTE_PGM_RSRC2:TGID_Y_EN: 0
; COMPUTE_PGM_RSRC2:TGID_Z_EN: 0
; COMPUTE_PGM_RSRC2:TIDIG_COMP_CNT: 0
	.section	.text._ZN7rocprim17ROCPRIM_400000_NS6detail17trampoline_kernelINS0_14default_configENS1_32segmented_reduce_config_selectorIN3c104HalfEEEZNS1_21segmented_reduce_implIS3_PKS6_PS6_PKlS6_N6hipcub16HIPCUB_304000_NS6detail27convert_result_type_wrapperISA_SB_N2at6native12_GLOBAL__N_19CustomMinEEEEE10hipError_tPvRmT0_T1_jT2_SS_T4_T3_P12ihipStream_tbEUlT_E_NS1_11comp_targetILNS1_3genE9ELNS1_11target_archE1100ELNS1_3gpuE3ELNS1_3repE0EEENS1_30default_config_static_selectorELNS0_4arch9wavefront6targetE0EEEvSR_,"axG",@progbits,_ZN7rocprim17ROCPRIM_400000_NS6detail17trampoline_kernelINS0_14default_configENS1_32segmented_reduce_config_selectorIN3c104HalfEEEZNS1_21segmented_reduce_implIS3_PKS6_PS6_PKlS6_N6hipcub16HIPCUB_304000_NS6detail27convert_result_type_wrapperISA_SB_N2at6native12_GLOBAL__N_19CustomMinEEEEE10hipError_tPvRmT0_T1_jT2_SS_T4_T3_P12ihipStream_tbEUlT_E_NS1_11comp_targetILNS1_3genE9ELNS1_11target_archE1100ELNS1_3gpuE3ELNS1_3repE0EEENS1_30default_config_static_selectorELNS0_4arch9wavefront6targetE0EEEvSR_,comdat
	.globl	_ZN7rocprim17ROCPRIM_400000_NS6detail17trampoline_kernelINS0_14default_configENS1_32segmented_reduce_config_selectorIN3c104HalfEEEZNS1_21segmented_reduce_implIS3_PKS6_PS6_PKlS6_N6hipcub16HIPCUB_304000_NS6detail27convert_result_type_wrapperISA_SB_N2at6native12_GLOBAL__N_19CustomMinEEEEE10hipError_tPvRmT0_T1_jT2_SS_T4_T3_P12ihipStream_tbEUlT_E_NS1_11comp_targetILNS1_3genE9ELNS1_11target_archE1100ELNS1_3gpuE3ELNS1_3repE0EEENS1_30default_config_static_selectorELNS0_4arch9wavefront6targetE0EEEvSR_ ; -- Begin function _ZN7rocprim17ROCPRIM_400000_NS6detail17trampoline_kernelINS0_14default_configENS1_32segmented_reduce_config_selectorIN3c104HalfEEEZNS1_21segmented_reduce_implIS3_PKS6_PS6_PKlS6_N6hipcub16HIPCUB_304000_NS6detail27convert_result_type_wrapperISA_SB_N2at6native12_GLOBAL__N_19CustomMinEEEEE10hipError_tPvRmT0_T1_jT2_SS_T4_T3_P12ihipStream_tbEUlT_E_NS1_11comp_targetILNS1_3genE9ELNS1_11target_archE1100ELNS1_3gpuE3ELNS1_3repE0EEENS1_30default_config_static_selectorELNS0_4arch9wavefront6targetE0EEEvSR_
	.p2align	8
	.type	_ZN7rocprim17ROCPRIM_400000_NS6detail17trampoline_kernelINS0_14default_configENS1_32segmented_reduce_config_selectorIN3c104HalfEEEZNS1_21segmented_reduce_implIS3_PKS6_PS6_PKlS6_N6hipcub16HIPCUB_304000_NS6detail27convert_result_type_wrapperISA_SB_N2at6native12_GLOBAL__N_19CustomMinEEEEE10hipError_tPvRmT0_T1_jT2_SS_T4_T3_P12ihipStream_tbEUlT_E_NS1_11comp_targetILNS1_3genE9ELNS1_11target_archE1100ELNS1_3gpuE3ELNS1_3repE0EEENS1_30default_config_static_selectorELNS0_4arch9wavefront6targetE0EEEvSR_,@function
_ZN7rocprim17ROCPRIM_400000_NS6detail17trampoline_kernelINS0_14default_configENS1_32segmented_reduce_config_selectorIN3c104HalfEEEZNS1_21segmented_reduce_implIS3_PKS6_PS6_PKlS6_N6hipcub16HIPCUB_304000_NS6detail27convert_result_type_wrapperISA_SB_N2at6native12_GLOBAL__N_19CustomMinEEEEE10hipError_tPvRmT0_T1_jT2_SS_T4_T3_P12ihipStream_tbEUlT_E_NS1_11comp_targetILNS1_3genE9ELNS1_11target_archE1100ELNS1_3gpuE3ELNS1_3repE0EEENS1_30default_config_static_selectorELNS0_4arch9wavefront6targetE0EEEvSR_: ; @_ZN7rocprim17ROCPRIM_400000_NS6detail17trampoline_kernelINS0_14default_configENS1_32segmented_reduce_config_selectorIN3c104HalfEEEZNS1_21segmented_reduce_implIS3_PKS6_PS6_PKlS6_N6hipcub16HIPCUB_304000_NS6detail27convert_result_type_wrapperISA_SB_N2at6native12_GLOBAL__N_19CustomMinEEEEE10hipError_tPvRmT0_T1_jT2_SS_T4_T3_P12ihipStream_tbEUlT_E_NS1_11comp_targetILNS1_3genE9ELNS1_11target_archE1100ELNS1_3gpuE3ELNS1_3repE0EEENS1_30default_config_static_selectorELNS0_4arch9wavefront6targetE0EEEvSR_
; %bb.0:
	.section	.rodata,"a",@progbits
	.p2align	6, 0x0
	.amdhsa_kernel _ZN7rocprim17ROCPRIM_400000_NS6detail17trampoline_kernelINS0_14default_configENS1_32segmented_reduce_config_selectorIN3c104HalfEEEZNS1_21segmented_reduce_implIS3_PKS6_PS6_PKlS6_N6hipcub16HIPCUB_304000_NS6detail27convert_result_type_wrapperISA_SB_N2at6native12_GLOBAL__N_19CustomMinEEEEE10hipError_tPvRmT0_T1_jT2_SS_T4_T3_P12ihipStream_tbEUlT_E_NS1_11comp_targetILNS1_3genE9ELNS1_11target_archE1100ELNS1_3gpuE3ELNS1_3repE0EEENS1_30default_config_static_selectorELNS0_4arch9wavefront6targetE0EEEvSR_
		.amdhsa_group_segment_fixed_size 0
		.amdhsa_private_segment_fixed_size 0
		.amdhsa_kernarg_size 48
		.amdhsa_user_sgpr_count 2
		.amdhsa_user_sgpr_dispatch_ptr 0
		.amdhsa_user_sgpr_queue_ptr 0
		.amdhsa_user_sgpr_kernarg_segment_ptr 1
		.amdhsa_user_sgpr_dispatch_id 0
		.amdhsa_user_sgpr_kernarg_preload_length 0
		.amdhsa_user_sgpr_kernarg_preload_offset 0
		.amdhsa_user_sgpr_private_segment_size 0
		.amdhsa_wavefront_size32 1
		.amdhsa_uses_dynamic_stack 0
		.amdhsa_enable_private_segment 0
		.amdhsa_system_sgpr_workgroup_id_x 1
		.amdhsa_system_sgpr_workgroup_id_y 0
		.amdhsa_system_sgpr_workgroup_id_z 0
		.amdhsa_system_sgpr_workgroup_info 0
		.amdhsa_system_vgpr_workitem_id 0
		.amdhsa_next_free_vgpr 1
		.amdhsa_next_free_sgpr 1
		.amdhsa_named_barrier_count 0
		.amdhsa_reserve_vcc 0
		.amdhsa_float_round_mode_32 0
		.amdhsa_float_round_mode_16_64 0
		.amdhsa_float_denorm_mode_32 3
		.amdhsa_float_denorm_mode_16_64 3
		.amdhsa_fp16_overflow 0
		.amdhsa_memory_ordered 1
		.amdhsa_forward_progress 1
		.amdhsa_inst_pref_size 0
		.amdhsa_round_robin_scheduling 0
		.amdhsa_exception_fp_ieee_invalid_op 0
		.amdhsa_exception_fp_denorm_src 0
		.amdhsa_exception_fp_ieee_div_zero 0
		.amdhsa_exception_fp_ieee_overflow 0
		.amdhsa_exception_fp_ieee_underflow 0
		.amdhsa_exception_fp_ieee_inexact 0
		.amdhsa_exception_int_div_zero 0
	.end_amdhsa_kernel
	.section	.text._ZN7rocprim17ROCPRIM_400000_NS6detail17trampoline_kernelINS0_14default_configENS1_32segmented_reduce_config_selectorIN3c104HalfEEEZNS1_21segmented_reduce_implIS3_PKS6_PS6_PKlS6_N6hipcub16HIPCUB_304000_NS6detail27convert_result_type_wrapperISA_SB_N2at6native12_GLOBAL__N_19CustomMinEEEEE10hipError_tPvRmT0_T1_jT2_SS_T4_T3_P12ihipStream_tbEUlT_E_NS1_11comp_targetILNS1_3genE9ELNS1_11target_archE1100ELNS1_3gpuE3ELNS1_3repE0EEENS1_30default_config_static_selectorELNS0_4arch9wavefront6targetE0EEEvSR_,"axG",@progbits,_ZN7rocprim17ROCPRIM_400000_NS6detail17trampoline_kernelINS0_14default_configENS1_32segmented_reduce_config_selectorIN3c104HalfEEEZNS1_21segmented_reduce_implIS3_PKS6_PS6_PKlS6_N6hipcub16HIPCUB_304000_NS6detail27convert_result_type_wrapperISA_SB_N2at6native12_GLOBAL__N_19CustomMinEEEEE10hipError_tPvRmT0_T1_jT2_SS_T4_T3_P12ihipStream_tbEUlT_E_NS1_11comp_targetILNS1_3genE9ELNS1_11target_archE1100ELNS1_3gpuE3ELNS1_3repE0EEENS1_30default_config_static_selectorELNS0_4arch9wavefront6targetE0EEEvSR_,comdat
.Lfunc_end236:
	.size	_ZN7rocprim17ROCPRIM_400000_NS6detail17trampoline_kernelINS0_14default_configENS1_32segmented_reduce_config_selectorIN3c104HalfEEEZNS1_21segmented_reduce_implIS3_PKS6_PS6_PKlS6_N6hipcub16HIPCUB_304000_NS6detail27convert_result_type_wrapperISA_SB_N2at6native12_GLOBAL__N_19CustomMinEEEEE10hipError_tPvRmT0_T1_jT2_SS_T4_T3_P12ihipStream_tbEUlT_E_NS1_11comp_targetILNS1_3genE9ELNS1_11target_archE1100ELNS1_3gpuE3ELNS1_3repE0EEENS1_30default_config_static_selectorELNS0_4arch9wavefront6targetE0EEEvSR_, .Lfunc_end236-_ZN7rocprim17ROCPRIM_400000_NS6detail17trampoline_kernelINS0_14default_configENS1_32segmented_reduce_config_selectorIN3c104HalfEEEZNS1_21segmented_reduce_implIS3_PKS6_PS6_PKlS6_N6hipcub16HIPCUB_304000_NS6detail27convert_result_type_wrapperISA_SB_N2at6native12_GLOBAL__N_19CustomMinEEEEE10hipError_tPvRmT0_T1_jT2_SS_T4_T3_P12ihipStream_tbEUlT_E_NS1_11comp_targetILNS1_3genE9ELNS1_11target_archE1100ELNS1_3gpuE3ELNS1_3repE0EEENS1_30default_config_static_selectorELNS0_4arch9wavefront6targetE0EEEvSR_
                                        ; -- End function
	.set _ZN7rocprim17ROCPRIM_400000_NS6detail17trampoline_kernelINS0_14default_configENS1_32segmented_reduce_config_selectorIN3c104HalfEEEZNS1_21segmented_reduce_implIS3_PKS6_PS6_PKlS6_N6hipcub16HIPCUB_304000_NS6detail27convert_result_type_wrapperISA_SB_N2at6native12_GLOBAL__N_19CustomMinEEEEE10hipError_tPvRmT0_T1_jT2_SS_T4_T3_P12ihipStream_tbEUlT_E_NS1_11comp_targetILNS1_3genE9ELNS1_11target_archE1100ELNS1_3gpuE3ELNS1_3repE0EEENS1_30default_config_static_selectorELNS0_4arch9wavefront6targetE0EEEvSR_.num_vgpr, 0
	.set _ZN7rocprim17ROCPRIM_400000_NS6detail17trampoline_kernelINS0_14default_configENS1_32segmented_reduce_config_selectorIN3c104HalfEEEZNS1_21segmented_reduce_implIS3_PKS6_PS6_PKlS6_N6hipcub16HIPCUB_304000_NS6detail27convert_result_type_wrapperISA_SB_N2at6native12_GLOBAL__N_19CustomMinEEEEE10hipError_tPvRmT0_T1_jT2_SS_T4_T3_P12ihipStream_tbEUlT_E_NS1_11comp_targetILNS1_3genE9ELNS1_11target_archE1100ELNS1_3gpuE3ELNS1_3repE0EEENS1_30default_config_static_selectorELNS0_4arch9wavefront6targetE0EEEvSR_.num_agpr, 0
	.set _ZN7rocprim17ROCPRIM_400000_NS6detail17trampoline_kernelINS0_14default_configENS1_32segmented_reduce_config_selectorIN3c104HalfEEEZNS1_21segmented_reduce_implIS3_PKS6_PS6_PKlS6_N6hipcub16HIPCUB_304000_NS6detail27convert_result_type_wrapperISA_SB_N2at6native12_GLOBAL__N_19CustomMinEEEEE10hipError_tPvRmT0_T1_jT2_SS_T4_T3_P12ihipStream_tbEUlT_E_NS1_11comp_targetILNS1_3genE9ELNS1_11target_archE1100ELNS1_3gpuE3ELNS1_3repE0EEENS1_30default_config_static_selectorELNS0_4arch9wavefront6targetE0EEEvSR_.numbered_sgpr, 0
	.set _ZN7rocprim17ROCPRIM_400000_NS6detail17trampoline_kernelINS0_14default_configENS1_32segmented_reduce_config_selectorIN3c104HalfEEEZNS1_21segmented_reduce_implIS3_PKS6_PS6_PKlS6_N6hipcub16HIPCUB_304000_NS6detail27convert_result_type_wrapperISA_SB_N2at6native12_GLOBAL__N_19CustomMinEEEEE10hipError_tPvRmT0_T1_jT2_SS_T4_T3_P12ihipStream_tbEUlT_E_NS1_11comp_targetILNS1_3genE9ELNS1_11target_archE1100ELNS1_3gpuE3ELNS1_3repE0EEENS1_30default_config_static_selectorELNS0_4arch9wavefront6targetE0EEEvSR_.num_named_barrier, 0
	.set _ZN7rocprim17ROCPRIM_400000_NS6detail17trampoline_kernelINS0_14default_configENS1_32segmented_reduce_config_selectorIN3c104HalfEEEZNS1_21segmented_reduce_implIS3_PKS6_PS6_PKlS6_N6hipcub16HIPCUB_304000_NS6detail27convert_result_type_wrapperISA_SB_N2at6native12_GLOBAL__N_19CustomMinEEEEE10hipError_tPvRmT0_T1_jT2_SS_T4_T3_P12ihipStream_tbEUlT_E_NS1_11comp_targetILNS1_3genE9ELNS1_11target_archE1100ELNS1_3gpuE3ELNS1_3repE0EEENS1_30default_config_static_selectorELNS0_4arch9wavefront6targetE0EEEvSR_.private_seg_size, 0
	.set _ZN7rocprim17ROCPRIM_400000_NS6detail17trampoline_kernelINS0_14default_configENS1_32segmented_reduce_config_selectorIN3c104HalfEEEZNS1_21segmented_reduce_implIS3_PKS6_PS6_PKlS6_N6hipcub16HIPCUB_304000_NS6detail27convert_result_type_wrapperISA_SB_N2at6native12_GLOBAL__N_19CustomMinEEEEE10hipError_tPvRmT0_T1_jT2_SS_T4_T3_P12ihipStream_tbEUlT_E_NS1_11comp_targetILNS1_3genE9ELNS1_11target_archE1100ELNS1_3gpuE3ELNS1_3repE0EEENS1_30default_config_static_selectorELNS0_4arch9wavefront6targetE0EEEvSR_.uses_vcc, 0
	.set _ZN7rocprim17ROCPRIM_400000_NS6detail17trampoline_kernelINS0_14default_configENS1_32segmented_reduce_config_selectorIN3c104HalfEEEZNS1_21segmented_reduce_implIS3_PKS6_PS6_PKlS6_N6hipcub16HIPCUB_304000_NS6detail27convert_result_type_wrapperISA_SB_N2at6native12_GLOBAL__N_19CustomMinEEEEE10hipError_tPvRmT0_T1_jT2_SS_T4_T3_P12ihipStream_tbEUlT_E_NS1_11comp_targetILNS1_3genE9ELNS1_11target_archE1100ELNS1_3gpuE3ELNS1_3repE0EEENS1_30default_config_static_selectorELNS0_4arch9wavefront6targetE0EEEvSR_.uses_flat_scratch, 0
	.set _ZN7rocprim17ROCPRIM_400000_NS6detail17trampoline_kernelINS0_14default_configENS1_32segmented_reduce_config_selectorIN3c104HalfEEEZNS1_21segmented_reduce_implIS3_PKS6_PS6_PKlS6_N6hipcub16HIPCUB_304000_NS6detail27convert_result_type_wrapperISA_SB_N2at6native12_GLOBAL__N_19CustomMinEEEEE10hipError_tPvRmT0_T1_jT2_SS_T4_T3_P12ihipStream_tbEUlT_E_NS1_11comp_targetILNS1_3genE9ELNS1_11target_archE1100ELNS1_3gpuE3ELNS1_3repE0EEENS1_30default_config_static_selectorELNS0_4arch9wavefront6targetE0EEEvSR_.has_dyn_sized_stack, 0
	.set _ZN7rocprim17ROCPRIM_400000_NS6detail17trampoline_kernelINS0_14default_configENS1_32segmented_reduce_config_selectorIN3c104HalfEEEZNS1_21segmented_reduce_implIS3_PKS6_PS6_PKlS6_N6hipcub16HIPCUB_304000_NS6detail27convert_result_type_wrapperISA_SB_N2at6native12_GLOBAL__N_19CustomMinEEEEE10hipError_tPvRmT0_T1_jT2_SS_T4_T3_P12ihipStream_tbEUlT_E_NS1_11comp_targetILNS1_3genE9ELNS1_11target_archE1100ELNS1_3gpuE3ELNS1_3repE0EEENS1_30default_config_static_selectorELNS0_4arch9wavefront6targetE0EEEvSR_.has_recursion, 0
	.set _ZN7rocprim17ROCPRIM_400000_NS6detail17trampoline_kernelINS0_14default_configENS1_32segmented_reduce_config_selectorIN3c104HalfEEEZNS1_21segmented_reduce_implIS3_PKS6_PS6_PKlS6_N6hipcub16HIPCUB_304000_NS6detail27convert_result_type_wrapperISA_SB_N2at6native12_GLOBAL__N_19CustomMinEEEEE10hipError_tPvRmT0_T1_jT2_SS_T4_T3_P12ihipStream_tbEUlT_E_NS1_11comp_targetILNS1_3genE9ELNS1_11target_archE1100ELNS1_3gpuE3ELNS1_3repE0EEENS1_30default_config_static_selectorELNS0_4arch9wavefront6targetE0EEEvSR_.has_indirect_call, 0
	.section	.AMDGPU.csdata,"",@progbits
; Kernel info:
; codeLenInByte = 0
; TotalNumSgprs: 0
; NumVgprs: 0
; ScratchSize: 0
; MemoryBound: 0
; FloatMode: 240
; IeeeMode: 1
; LDSByteSize: 0 bytes/workgroup (compile time only)
; SGPRBlocks: 0
; VGPRBlocks: 0
; NumSGPRsForWavesPerEU: 1
; NumVGPRsForWavesPerEU: 1
; NamedBarCnt: 0
; Occupancy: 16
; WaveLimiterHint : 0
; COMPUTE_PGM_RSRC2:SCRATCH_EN: 0
; COMPUTE_PGM_RSRC2:USER_SGPR: 2
; COMPUTE_PGM_RSRC2:TRAP_HANDLER: 0
; COMPUTE_PGM_RSRC2:TGID_X_EN: 1
; COMPUTE_PGM_RSRC2:TGID_Y_EN: 0
; COMPUTE_PGM_RSRC2:TGID_Z_EN: 0
; COMPUTE_PGM_RSRC2:TIDIG_COMP_CNT: 0
	.section	.text._ZN7rocprim17ROCPRIM_400000_NS6detail17trampoline_kernelINS0_14default_configENS1_32segmented_reduce_config_selectorIN3c104HalfEEEZNS1_21segmented_reduce_implIS3_PKS6_PS6_PKlS6_N6hipcub16HIPCUB_304000_NS6detail27convert_result_type_wrapperISA_SB_N2at6native12_GLOBAL__N_19CustomMinEEEEE10hipError_tPvRmT0_T1_jT2_SS_T4_T3_P12ihipStream_tbEUlT_E_NS1_11comp_targetILNS1_3genE8ELNS1_11target_archE1030ELNS1_3gpuE2ELNS1_3repE0EEENS1_30default_config_static_selectorELNS0_4arch9wavefront6targetE0EEEvSR_,"axG",@progbits,_ZN7rocprim17ROCPRIM_400000_NS6detail17trampoline_kernelINS0_14default_configENS1_32segmented_reduce_config_selectorIN3c104HalfEEEZNS1_21segmented_reduce_implIS3_PKS6_PS6_PKlS6_N6hipcub16HIPCUB_304000_NS6detail27convert_result_type_wrapperISA_SB_N2at6native12_GLOBAL__N_19CustomMinEEEEE10hipError_tPvRmT0_T1_jT2_SS_T4_T3_P12ihipStream_tbEUlT_E_NS1_11comp_targetILNS1_3genE8ELNS1_11target_archE1030ELNS1_3gpuE2ELNS1_3repE0EEENS1_30default_config_static_selectorELNS0_4arch9wavefront6targetE0EEEvSR_,comdat
	.globl	_ZN7rocprim17ROCPRIM_400000_NS6detail17trampoline_kernelINS0_14default_configENS1_32segmented_reduce_config_selectorIN3c104HalfEEEZNS1_21segmented_reduce_implIS3_PKS6_PS6_PKlS6_N6hipcub16HIPCUB_304000_NS6detail27convert_result_type_wrapperISA_SB_N2at6native12_GLOBAL__N_19CustomMinEEEEE10hipError_tPvRmT0_T1_jT2_SS_T4_T3_P12ihipStream_tbEUlT_E_NS1_11comp_targetILNS1_3genE8ELNS1_11target_archE1030ELNS1_3gpuE2ELNS1_3repE0EEENS1_30default_config_static_selectorELNS0_4arch9wavefront6targetE0EEEvSR_ ; -- Begin function _ZN7rocprim17ROCPRIM_400000_NS6detail17trampoline_kernelINS0_14default_configENS1_32segmented_reduce_config_selectorIN3c104HalfEEEZNS1_21segmented_reduce_implIS3_PKS6_PS6_PKlS6_N6hipcub16HIPCUB_304000_NS6detail27convert_result_type_wrapperISA_SB_N2at6native12_GLOBAL__N_19CustomMinEEEEE10hipError_tPvRmT0_T1_jT2_SS_T4_T3_P12ihipStream_tbEUlT_E_NS1_11comp_targetILNS1_3genE8ELNS1_11target_archE1030ELNS1_3gpuE2ELNS1_3repE0EEENS1_30default_config_static_selectorELNS0_4arch9wavefront6targetE0EEEvSR_
	.p2align	8
	.type	_ZN7rocprim17ROCPRIM_400000_NS6detail17trampoline_kernelINS0_14default_configENS1_32segmented_reduce_config_selectorIN3c104HalfEEEZNS1_21segmented_reduce_implIS3_PKS6_PS6_PKlS6_N6hipcub16HIPCUB_304000_NS6detail27convert_result_type_wrapperISA_SB_N2at6native12_GLOBAL__N_19CustomMinEEEEE10hipError_tPvRmT0_T1_jT2_SS_T4_T3_P12ihipStream_tbEUlT_E_NS1_11comp_targetILNS1_3genE8ELNS1_11target_archE1030ELNS1_3gpuE2ELNS1_3repE0EEENS1_30default_config_static_selectorELNS0_4arch9wavefront6targetE0EEEvSR_,@function
_ZN7rocprim17ROCPRIM_400000_NS6detail17trampoline_kernelINS0_14default_configENS1_32segmented_reduce_config_selectorIN3c104HalfEEEZNS1_21segmented_reduce_implIS3_PKS6_PS6_PKlS6_N6hipcub16HIPCUB_304000_NS6detail27convert_result_type_wrapperISA_SB_N2at6native12_GLOBAL__N_19CustomMinEEEEE10hipError_tPvRmT0_T1_jT2_SS_T4_T3_P12ihipStream_tbEUlT_E_NS1_11comp_targetILNS1_3genE8ELNS1_11target_archE1030ELNS1_3gpuE2ELNS1_3repE0EEENS1_30default_config_static_selectorELNS0_4arch9wavefront6targetE0EEEvSR_: ; @_ZN7rocprim17ROCPRIM_400000_NS6detail17trampoline_kernelINS0_14default_configENS1_32segmented_reduce_config_selectorIN3c104HalfEEEZNS1_21segmented_reduce_implIS3_PKS6_PS6_PKlS6_N6hipcub16HIPCUB_304000_NS6detail27convert_result_type_wrapperISA_SB_N2at6native12_GLOBAL__N_19CustomMinEEEEE10hipError_tPvRmT0_T1_jT2_SS_T4_T3_P12ihipStream_tbEUlT_E_NS1_11comp_targetILNS1_3genE8ELNS1_11target_archE1030ELNS1_3gpuE2ELNS1_3repE0EEENS1_30default_config_static_selectorELNS0_4arch9wavefront6targetE0EEEvSR_
; %bb.0:
	.section	.rodata,"a",@progbits
	.p2align	6, 0x0
	.amdhsa_kernel _ZN7rocprim17ROCPRIM_400000_NS6detail17trampoline_kernelINS0_14default_configENS1_32segmented_reduce_config_selectorIN3c104HalfEEEZNS1_21segmented_reduce_implIS3_PKS6_PS6_PKlS6_N6hipcub16HIPCUB_304000_NS6detail27convert_result_type_wrapperISA_SB_N2at6native12_GLOBAL__N_19CustomMinEEEEE10hipError_tPvRmT0_T1_jT2_SS_T4_T3_P12ihipStream_tbEUlT_E_NS1_11comp_targetILNS1_3genE8ELNS1_11target_archE1030ELNS1_3gpuE2ELNS1_3repE0EEENS1_30default_config_static_selectorELNS0_4arch9wavefront6targetE0EEEvSR_
		.amdhsa_group_segment_fixed_size 0
		.amdhsa_private_segment_fixed_size 0
		.amdhsa_kernarg_size 48
		.amdhsa_user_sgpr_count 2
		.amdhsa_user_sgpr_dispatch_ptr 0
		.amdhsa_user_sgpr_queue_ptr 0
		.amdhsa_user_sgpr_kernarg_segment_ptr 1
		.amdhsa_user_sgpr_dispatch_id 0
		.amdhsa_user_sgpr_kernarg_preload_length 0
		.amdhsa_user_sgpr_kernarg_preload_offset 0
		.amdhsa_user_sgpr_private_segment_size 0
		.amdhsa_wavefront_size32 1
		.amdhsa_uses_dynamic_stack 0
		.amdhsa_enable_private_segment 0
		.amdhsa_system_sgpr_workgroup_id_x 1
		.amdhsa_system_sgpr_workgroup_id_y 0
		.amdhsa_system_sgpr_workgroup_id_z 0
		.amdhsa_system_sgpr_workgroup_info 0
		.amdhsa_system_vgpr_workitem_id 0
		.amdhsa_next_free_vgpr 1
		.amdhsa_next_free_sgpr 1
		.amdhsa_named_barrier_count 0
		.amdhsa_reserve_vcc 0
		.amdhsa_float_round_mode_32 0
		.amdhsa_float_round_mode_16_64 0
		.amdhsa_float_denorm_mode_32 3
		.amdhsa_float_denorm_mode_16_64 3
		.amdhsa_fp16_overflow 0
		.amdhsa_memory_ordered 1
		.amdhsa_forward_progress 1
		.amdhsa_inst_pref_size 0
		.amdhsa_round_robin_scheduling 0
		.amdhsa_exception_fp_ieee_invalid_op 0
		.amdhsa_exception_fp_denorm_src 0
		.amdhsa_exception_fp_ieee_div_zero 0
		.amdhsa_exception_fp_ieee_overflow 0
		.amdhsa_exception_fp_ieee_underflow 0
		.amdhsa_exception_fp_ieee_inexact 0
		.amdhsa_exception_int_div_zero 0
	.end_amdhsa_kernel
	.section	.text._ZN7rocprim17ROCPRIM_400000_NS6detail17trampoline_kernelINS0_14default_configENS1_32segmented_reduce_config_selectorIN3c104HalfEEEZNS1_21segmented_reduce_implIS3_PKS6_PS6_PKlS6_N6hipcub16HIPCUB_304000_NS6detail27convert_result_type_wrapperISA_SB_N2at6native12_GLOBAL__N_19CustomMinEEEEE10hipError_tPvRmT0_T1_jT2_SS_T4_T3_P12ihipStream_tbEUlT_E_NS1_11comp_targetILNS1_3genE8ELNS1_11target_archE1030ELNS1_3gpuE2ELNS1_3repE0EEENS1_30default_config_static_selectorELNS0_4arch9wavefront6targetE0EEEvSR_,"axG",@progbits,_ZN7rocprim17ROCPRIM_400000_NS6detail17trampoline_kernelINS0_14default_configENS1_32segmented_reduce_config_selectorIN3c104HalfEEEZNS1_21segmented_reduce_implIS3_PKS6_PS6_PKlS6_N6hipcub16HIPCUB_304000_NS6detail27convert_result_type_wrapperISA_SB_N2at6native12_GLOBAL__N_19CustomMinEEEEE10hipError_tPvRmT0_T1_jT2_SS_T4_T3_P12ihipStream_tbEUlT_E_NS1_11comp_targetILNS1_3genE8ELNS1_11target_archE1030ELNS1_3gpuE2ELNS1_3repE0EEENS1_30default_config_static_selectorELNS0_4arch9wavefront6targetE0EEEvSR_,comdat
.Lfunc_end237:
	.size	_ZN7rocprim17ROCPRIM_400000_NS6detail17trampoline_kernelINS0_14default_configENS1_32segmented_reduce_config_selectorIN3c104HalfEEEZNS1_21segmented_reduce_implIS3_PKS6_PS6_PKlS6_N6hipcub16HIPCUB_304000_NS6detail27convert_result_type_wrapperISA_SB_N2at6native12_GLOBAL__N_19CustomMinEEEEE10hipError_tPvRmT0_T1_jT2_SS_T4_T3_P12ihipStream_tbEUlT_E_NS1_11comp_targetILNS1_3genE8ELNS1_11target_archE1030ELNS1_3gpuE2ELNS1_3repE0EEENS1_30default_config_static_selectorELNS0_4arch9wavefront6targetE0EEEvSR_, .Lfunc_end237-_ZN7rocprim17ROCPRIM_400000_NS6detail17trampoline_kernelINS0_14default_configENS1_32segmented_reduce_config_selectorIN3c104HalfEEEZNS1_21segmented_reduce_implIS3_PKS6_PS6_PKlS6_N6hipcub16HIPCUB_304000_NS6detail27convert_result_type_wrapperISA_SB_N2at6native12_GLOBAL__N_19CustomMinEEEEE10hipError_tPvRmT0_T1_jT2_SS_T4_T3_P12ihipStream_tbEUlT_E_NS1_11comp_targetILNS1_3genE8ELNS1_11target_archE1030ELNS1_3gpuE2ELNS1_3repE0EEENS1_30default_config_static_selectorELNS0_4arch9wavefront6targetE0EEEvSR_
                                        ; -- End function
	.set _ZN7rocprim17ROCPRIM_400000_NS6detail17trampoline_kernelINS0_14default_configENS1_32segmented_reduce_config_selectorIN3c104HalfEEEZNS1_21segmented_reduce_implIS3_PKS6_PS6_PKlS6_N6hipcub16HIPCUB_304000_NS6detail27convert_result_type_wrapperISA_SB_N2at6native12_GLOBAL__N_19CustomMinEEEEE10hipError_tPvRmT0_T1_jT2_SS_T4_T3_P12ihipStream_tbEUlT_E_NS1_11comp_targetILNS1_3genE8ELNS1_11target_archE1030ELNS1_3gpuE2ELNS1_3repE0EEENS1_30default_config_static_selectorELNS0_4arch9wavefront6targetE0EEEvSR_.num_vgpr, 0
	.set _ZN7rocprim17ROCPRIM_400000_NS6detail17trampoline_kernelINS0_14default_configENS1_32segmented_reduce_config_selectorIN3c104HalfEEEZNS1_21segmented_reduce_implIS3_PKS6_PS6_PKlS6_N6hipcub16HIPCUB_304000_NS6detail27convert_result_type_wrapperISA_SB_N2at6native12_GLOBAL__N_19CustomMinEEEEE10hipError_tPvRmT0_T1_jT2_SS_T4_T3_P12ihipStream_tbEUlT_E_NS1_11comp_targetILNS1_3genE8ELNS1_11target_archE1030ELNS1_3gpuE2ELNS1_3repE0EEENS1_30default_config_static_selectorELNS0_4arch9wavefront6targetE0EEEvSR_.num_agpr, 0
	.set _ZN7rocprim17ROCPRIM_400000_NS6detail17trampoline_kernelINS0_14default_configENS1_32segmented_reduce_config_selectorIN3c104HalfEEEZNS1_21segmented_reduce_implIS3_PKS6_PS6_PKlS6_N6hipcub16HIPCUB_304000_NS6detail27convert_result_type_wrapperISA_SB_N2at6native12_GLOBAL__N_19CustomMinEEEEE10hipError_tPvRmT0_T1_jT2_SS_T4_T3_P12ihipStream_tbEUlT_E_NS1_11comp_targetILNS1_3genE8ELNS1_11target_archE1030ELNS1_3gpuE2ELNS1_3repE0EEENS1_30default_config_static_selectorELNS0_4arch9wavefront6targetE0EEEvSR_.numbered_sgpr, 0
	.set _ZN7rocprim17ROCPRIM_400000_NS6detail17trampoline_kernelINS0_14default_configENS1_32segmented_reduce_config_selectorIN3c104HalfEEEZNS1_21segmented_reduce_implIS3_PKS6_PS6_PKlS6_N6hipcub16HIPCUB_304000_NS6detail27convert_result_type_wrapperISA_SB_N2at6native12_GLOBAL__N_19CustomMinEEEEE10hipError_tPvRmT0_T1_jT2_SS_T4_T3_P12ihipStream_tbEUlT_E_NS1_11comp_targetILNS1_3genE8ELNS1_11target_archE1030ELNS1_3gpuE2ELNS1_3repE0EEENS1_30default_config_static_selectorELNS0_4arch9wavefront6targetE0EEEvSR_.num_named_barrier, 0
	.set _ZN7rocprim17ROCPRIM_400000_NS6detail17trampoline_kernelINS0_14default_configENS1_32segmented_reduce_config_selectorIN3c104HalfEEEZNS1_21segmented_reduce_implIS3_PKS6_PS6_PKlS6_N6hipcub16HIPCUB_304000_NS6detail27convert_result_type_wrapperISA_SB_N2at6native12_GLOBAL__N_19CustomMinEEEEE10hipError_tPvRmT0_T1_jT2_SS_T4_T3_P12ihipStream_tbEUlT_E_NS1_11comp_targetILNS1_3genE8ELNS1_11target_archE1030ELNS1_3gpuE2ELNS1_3repE0EEENS1_30default_config_static_selectorELNS0_4arch9wavefront6targetE0EEEvSR_.private_seg_size, 0
	.set _ZN7rocprim17ROCPRIM_400000_NS6detail17trampoline_kernelINS0_14default_configENS1_32segmented_reduce_config_selectorIN3c104HalfEEEZNS1_21segmented_reduce_implIS3_PKS6_PS6_PKlS6_N6hipcub16HIPCUB_304000_NS6detail27convert_result_type_wrapperISA_SB_N2at6native12_GLOBAL__N_19CustomMinEEEEE10hipError_tPvRmT0_T1_jT2_SS_T4_T3_P12ihipStream_tbEUlT_E_NS1_11comp_targetILNS1_3genE8ELNS1_11target_archE1030ELNS1_3gpuE2ELNS1_3repE0EEENS1_30default_config_static_selectorELNS0_4arch9wavefront6targetE0EEEvSR_.uses_vcc, 0
	.set _ZN7rocprim17ROCPRIM_400000_NS6detail17trampoline_kernelINS0_14default_configENS1_32segmented_reduce_config_selectorIN3c104HalfEEEZNS1_21segmented_reduce_implIS3_PKS6_PS6_PKlS6_N6hipcub16HIPCUB_304000_NS6detail27convert_result_type_wrapperISA_SB_N2at6native12_GLOBAL__N_19CustomMinEEEEE10hipError_tPvRmT0_T1_jT2_SS_T4_T3_P12ihipStream_tbEUlT_E_NS1_11comp_targetILNS1_3genE8ELNS1_11target_archE1030ELNS1_3gpuE2ELNS1_3repE0EEENS1_30default_config_static_selectorELNS0_4arch9wavefront6targetE0EEEvSR_.uses_flat_scratch, 0
	.set _ZN7rocprim17ROCPRIM_400000_NS6detail17trampoline_kernelINS0_14default_configENS1_32segmented_reduce_config_selectorIN3c104HalfEEEZNS1_21segmented_reduce_implIS3_PKS6_PS6_PKlS6_N6hipcub16HIPCUB_304000_NS6detail27convert_result_type_wrapperISA_SB_N2at6native12_GLOBAL__N_19CustomMinEEEEE10hipError_tPvRmT0_T1_jT2_SS_T4_T3_P12ihipStream_tbEUlT_E_NS1_11comp_targetILNS1_3genE8ELNS1_11target_archE1030ELNS1_3gpuE2ELNS1_3repE0EEENS1_30default_config_static_selectorELNS0_4arch9wavefront6targetE0EEEvSR_.has_dyn_sized_stack, 0
	.set _ZN7rocprim17ROCPRIM_400000_NS6detail17trampoline_kernelINS0_14default_configENS1_32segmented_reduce_config_selectorIN3c104HalfEEEZNS1_21segmented_reduce_implIS3_PKS6_PS6_PKlS6_N6hipcub16HIPCUB_304000_NS6detail27convert_result_type_wrapperISA_SB_N2at6native12_GLOBAL__N_19CustomMinEEEEE10hipError_tPvRmT0_T1_jT2_SS_T4_T3_P12ihipStream_tbEUlT_E_NS1_11comp_targetILNS1_3genE8ELNS1_11target_archE1030ELNS1_3gpuE2ELNS1_3repE0EEENS1_30default_config_static_selectorELNS0_4arch9wavefront6targetE0EEEvSR_.has_recursion, 0
	.set _ZN7rocprim17ROCPRIM_400000_NS6detail17trampoline_kernelINS0_14default_configENS1_32segmented_reduce_config_selectorIN3c104HalfEEEZNS1_21segmented_reduce_implIS3_PKS6_PS6_PKlS6_N6hipcub16HIPCUB_304000_NS6detail27convert_result_type_wrapperISA_SB_N2at6native12_GLOBAL__N_19CustomMinEEEEE10hipError_tPvRmT0_T1_jT2_SS_T4_T3_P12ihipStream_tbEUlT_E_NS1_11comp_targetILNS1_3genE8ELNS1_11target_archE1030ELNS1_3gpuE2ELNS1_3repE0EEENS1_30default_config_static_selectorELNS0_4arch9wavefront6targetE0EEEvSR_.has_indirect_call, 0
	.section	.AMDGPU.csdata,"",@progbits
; Kernel info:
; codeLenInByte = 0
; TotalNumSgprs: 0
; NumVgprs: 0
; ScratchSize: 0
; MemoryBound: 0
; FloatMode: 240
; IeeeMode: 1
; LDSByteSize: 0 bytes/workgroup (compile time only)
; SGPRBlocks: 0
; VGPRBlocks: 0
; NumSGPRsForWavesPerEU: 1
; NumVGPRsForWavesPerEU: 1
; NamedBarCnt: 0
; Occupancy: 16
; WaveLimiterHint : 0
; COMPUTE_PGM_RSRC2:SCRATCH_EN: 0
; COMPUTE_PGM_RSRC2:USER_SGPR: 2
; COMPUTE_PGM_RSRC2:TRAP_HANDLER: 0
; COMPUTE_PGM_RSRC2:TGID_X_EN: 1
; COMPUTE_PGM_RSRC2:TGID_Y_EN: 0
; COMPUTE_PGM_RSRC2:TGID_Z_EN: 0
; COMPUTE_PGM_RSRC2:TIDIG_COMP_CNT: 0
	.section	.text._ZN7rocprim17ROCPRIM_400000_NS6detail17trampoline_kernelINS0_14default_configENS1_32segmented_reduce_config_selectorIN3c104HalfEEEZNS1_21segmented_reduce_implIS3_PKS6_PS6_PKlS6_N6hipcub16HIPCUB_304000_NS6detail27convert_result_type_wrapperISA_SB_N2at6native12_GLOBAL__N_110CustomProdEEEEE10hipError_tPvRmT0_T1_jT2_SS_T4_T3_P12ihipStream_tbEUlT_E_NS1_11comp_targetILNS1_3genE0ELNS1_11target_archE4294967295ELNS1_3gpuE0ELNS1_3repE0EEENS1_30default_config_static_selectorELNS0_4arch9wavefront6targetE0EEEvSR_,"axG",@progbits,_ZN7rocprim17ROCPRIM_400000_NS6detail17trampoline_kernelINS0_14default_configENS1_32segmented_reduce_config_selectorIN3c104HalfEEEZNS1_21segmented_reduce_implIS3_PKS6_PS6_PKlS6_N6hipcub16HIPCUB_304000_NS6detail27convert_result_type_wrapperISA_SB_N2at6native12_GLOBAL__N_110CustomProdEEEEE10hipError_tPvRmT0_T1_jT2_SS_T4_T3_P12ihipStream_tbEUlT_E_NS1_11comp_targetILNS1_3genE0ELNS1_11target_archE4294967295ELNS1_3gpuE0ELNS1_3repE0EEENS1_30default_config_static_selectorELNS0_4arch9wavefront6targetE0EEEvSR_,comdat
	.globl	_ZN7rocprim17ROCPRIM_400000_NS6detail17trampoline_kernelINS0_14default_configENS1_32segmented_reduce_config_selectorIN3c104HalfEEEZNS1_21segmented_reduce_implIS3_PKS6_PS6_PKlS6_N6hipcub16HIPCUB_304000_NS6detail27convert_result_type_wrapperISA_SB_N2at6native12_GLOBAL__N_110CustomProdEEEEE10hipError_tPvRmT0_T1_jT2_SS_T4_T3_P12ihipStream_tbEUlT_E_NS1_11comp_targetILNS1_3genE0ELNS1_11target_archE4294967295ELNS1_3gpuE0ELNS1_3repE0EEENS1_30default_config_static_selectorELNS0_4arch9wavefront6targetE0EEEvSR_ ; -- Begin function _ZN7rocprim17ROCPRIM_400000_NS6detail17trampoline_kernelINS0_14default_configENS1_32segmented_reduce_config_selectorIN3c104HalfEEEZNS1_21segmented_reduce_implIS3_PKS6_PS6_PKlS6_N6hipcub16HIPCUB_304000_NS6detail27convert_result_type_wrapperISA_SB_N2at6native12_GLOBAL__N_110CustomProdEEEEE10hipError_tPvRmT0_T1_jT2_SS_T4_T3_P12ihipStream_tbEUlT_E_NS1_11comp_targetILNS1_3genE0ELNS1_11target_archE4294967295ELNS1_3gpuE0ELNS1_3repE0EEENS1_30default_config_static_selectorELNS0_4arch9wavefront6targetE0EEEvSR_
	.p2align	8
	.type	_ZN7rocprim17ROCPRIM_400000_NS6detail17trampoline_kernelINS0_14default_configENS1_32segmented_reduce_config_selectorIN3c104HalfEEEZNS1_21segmented_reduce_implIS3_PKS6_PS6_PKlS6_N6hipcub16HIPCUB_304000_NS6detail27convert_result_type_wrapperISA_SB_N2at6native12_GLOBAL__N_110CustomProdEEEEE10hipError_tPvRmT0_T1_jT2_SS_T4_T3_P12ihipStream_tbEUlT_E_NS1_11comp_targetILNS1_3genE0ELNS1_11target_archE4294967295ELNS1_3gpuE0ELNS1_3repE0EEENS1_30default_config_static_selectorELNS0_4arch9wavefront6targetE0EEEvSR_,@function
_ZN7rocprim17ROCPRIM_400000_NS6detail17trampoline_kernelINS0_14default_configENS1_32segmented_reduce_config_selectorIN3c104HalfEEEZNS1_21segmented_reduce_implIS3_PKS6_PS6_PKlS6_N6hipcub16HIPCUB_304000_NS6detail27convert_result_type_wrapperISA_SB_N2at6native12_GLOBAL__N_110CustomProdEEEEE10hipError_tPvRmT0_T1_jT2_SS_T4_T3_P12ihipStream_tbEUlT_E_NS1_11comp_targetILNS1_3genE0ELNS1_11target_archE4294967295ELNS1_3gpuE0ELNS1_3repE0EEENS1_30default_config_static_selectorELNS0_4arch9wavefront6targetE0EEEvSR_: ; @_ZN7rocprim17ROCPRIM_400000_NS6detail17trampoline_kernelINS0_14default_configENS1_32segmented_reduce_config_selectorIN3c104HalfEEEZNS1_21segmented_reduce_implIS3_PKS6_PS6_PKlS6_N6hipcub16HIPCUB_304000_NS6detail27convert_result_type_wrapperISA_SB_N2at6native12_GLOBAL__N_110CustomProdEEEEE10hipError_tPvRmT0_T1_jT2_SS_T4_T3_P12ihipStream_tbEUlT_E_NS1_11comp_targetILNS1_3genE0ELNS1_11target_archE4294967295ELNS1_3gpuE0ELNS1_3repE0EEENS1_30default_config_static_selectorELNS0_4arch9wavefront6targetE0EEEvSR_
; %bb.0:
	v_mov_b32_e32 v1, 0
	s_clause 0x1
	s_load_b256 s[16:23], s[0:1], 0x0
	s_load_b64 s[2:3], s[0:1], 0x20
	s_bfe_u32 s6, ttmp6, 0x4000c
	s_and_b32 s7, ttmp6, 15
	s_add_co_i32 s6, s6, 1
	global_load_u16 v6, v1, s[0:1] offset:42
	s_mul_i32 s6, ttmp9, s6
	s_getreg_b32 s8, hwreg(HW_REG_IB_STS2, 6, 4)
	s_add_co_i32 s9, s7, s6
	s_wait_kmcnt 0x0
	s_lshl_b64 s[0:1], s[20:21], 1
	s_lshl_b64 s[4:5], s[20:21], 3
	s_cmp_eq_u32 s8, 0
	s_add_nc_u64 s[6:7], s[22:23], s[4:5]
	s_cselect_b32 s20, ttmp9, s9
	s_add_nc_u64 s[2:3], s[2:3], s[4:5]
	s_load_b64 s[24:25], s[6:7], s20 offset:0x0 scale_offset
	s_load_b64 s[22:23], s[2:3], s20 offset:0x0 scale_offset
	s_add_nc_u64 s[18:19], s[18:19], s[0:1]
	v_cmp_eq_u32_e64 s0, 0, v0
	s_mov_b32 s21, 0
	s_mov_b32 s1, -1
	s_wait_kmcnt 0x0
	v_cmp_gt_i64_e64 s2, s[22:23], s[24:25]
	s_and_b32 vcc_lo, exec_lo, s2
	s_cbranch_vccnz .LBB238_4
; %bb.1:
	s_and_saveexec_b32 s1, s0
	s_cbranch_execz .LBB238_3
; %bb.2:
	v_mov_b32_e32 v1, 0
	s_lshl_b64 s[2:3], s[20:21], 1
	s_delay_alu instid0(SALU_CYCLE_1)
	s_add_nc_u64 s[2:3], s[18:19], s[2:3]
	s_wait_loadcnt 0x0
	global_store_b16 v1, v6, s[2:3]
.LBB238_3:
	s_wait_xcnt 0x0
	s_or_b32 exec_lo, exec_lo, s1
	s_mov_b32 s1, 0
.LBB238_4:
	s_delay_alu instid0(SALU_CYCLE_1)
	s_and_not1_b32 vcc_lo, exec_lo, s1
	s_cbranch_vccnz .LBB238_69
; %bb.5:
	s_add_nc_u64 s[0:1], s[24:25], 0x1000
	s_delay_alu instid0(SALU_CYCLE_1)
	v_cmp_le_i64_e64 s2, s[0:1], s[22:23]
	s_and_b32 vcc_lo, exec_lo, s2
	s_cbranch_vccz .LBB238_46
; %bb.6:
	s_lshl_b64 s[2:3], s[24:25], 1
	s_add_nc_u64 s[4:5], s[24:25], 0x2000
	s_add_nc_u64 s[2:3], s[16:17], s[2:3]
	v_cmp_ge_i64_e64 s4, s[4:5], s[22:23]
	s_clause 0xf
	global_load_u16 v1, v0, s[2:3] scale_offset
	global_load_u16 v4, v0, s[2:3] offset:512 scale_offset
	global_load_u16 v5, v0, s[2:3] offset:1024 scale_offset
	;; [unrolled: 1-line block ×15, first 2 shown]
	v_mov_b32_e32 v3, 0
	s_and_b32 vcc_lo, exec_lo, s4
	s_wait_loadcnt 0xe
	v_mul_f16_e32 v2, v1, v4
	s_wait_loadcnt 0xd
	s_delay_alu instid0(VALU_DEP_1) | instskip(SKIP_1) | instid1(VALU_DEP_1)
	v_mul_f16_e32 v2, v2, v5
	s_wait_loadcnt 0xc
	v_mul_f16_e32 v2, v2, v7
	s_wait_loadcnt 0xb
	s_delay_alu instid0(VALU_DEP_1) | instskip(SKIP_1) | instid1(VALU_DEP_1)
	v_mul_f16_e32 v2, v2, v8
	;; [unrolled: 5-line block ×7, first 2 shown]
	s_wait_loadcnt 0x0
	v_mul_f16_e32 v20, v2, v19
	s_cbranch_vccnz .LBB238_9
; %bb.7:
	v_lshlrev_b32_e32 v2, 1, v0
	s_delay_alu instid0(VALU_DEP_1) | instskip(NEXT) | instid1(VALU_DEP_1)
	v_add_nc_u64_e32 v[2:3], s[2:3], v[2:3]
	v_add_nc_u64_e32 v[2:3], 0x2000, v[2:3]
.LBB238_8:                              ; =>This Inner Loop Header: Depth=1
	s_clause 0xf
	global_load_u16 v1, v[2:3], off
	global_load_u16 v4, v[2:3], off offset:512
	global_load_u16 v5, v[2:3], off offset:1024
	;; [unrolled: 1-line block ×15, first 2 shown]
	s_wait_xcnt 0x10
	s_add_nc_u64 s[2:3], s[0:1], 0x2000
	s_wait_xcnt 0x0
	v_add_nc_u64_e32 v[2:3], 0x2000, v[2:3]
	v_cmp_lt_i64_e64 s2, s[2:3], s[22:23]
	s_add_nc_u64 s[0:1], s[0:1], 0x1000
	s_and_b32 vcc_lo, exec_lo, s2
	s_wait_loadcnt 0xf
	v_mul_f16_e32 v20, v20, v1
	s_wait_loadcnt 0xe
	s_delay_alu instid0(VALU_DEP_1) | instskip(SKIP_1) | instid1(VALU_DEP_1)
	v_mul_f16_e32 v20, v20, v4
	s_wait_loadcnt 0xd
	v_mul_f16_e32 v20, v20, v5
	s_wait_loadcnt 0xc
	s_delay_alu instid0(VALU_DEP_1) | instskip(SKIP_1) | instid1(VALU_DEP_1)
	v_mul_f16_e32 v20, v20, v7
	;; [unrolled: 5-line block ×7, first 2 shown]
	s_wait_loadcnt 0x1
	v_mul_f16_e32 v20, v20, v18
	s_wait_loadcnt 0x0
	s_delay_alu instid0(VALU_DEP_1)
	v_mul_f16_e32 v20, v20, v19
	s_cbranch_vccnz .LBB238_8
.LBB238_9:
	s_sub_co_i32 s14, s22, s0
	s_lshl_b64 s[0:1], s[0:1], 1
	v_cmp_gt_u32_e32 vcc_lo, s14, v0
	s_add_nc_u64 s[26:27], s[16:17], s[0:1]
	s_wait_xcnt 0x0
	s_and_saveexec_b32 s0, vcc_lo
	s_cbranch_execz .LBB238_11
; %bb.10:
	global_load_u16 v1, v0, s[26:27] scale_offset
.LBB238_11:
	s_wait_xcnt 0x0
	s_or_b32 exec_lo, exec_lo, s0
	v_or_b32_e32 v2, 0x100, v0
	s_delay_alu instid0(VALU_DEP_1)
	v_cmp_gt_u32_e64 s0, s14, v2
	s_and_saveexec_b32 s1, s0
	s_cbranch_execz .LBB238_13
; %bb.12:
	global_load_u16 v4, v0, s[26:27] offset:512 scale_offset
.LBB238_13:
	s_wait_xcnt 0x0
	s_or_b32 exec_lo, exec_lo, s1
	v_or_b32_e32 v2, 0x200, v0
	s_delay_alu instid0(VALU_DEP_1)
	v_cmp_gt_u32_e64 s1, s14, v2
	s_and_saveexec_b32 s2, s1
	s_cbranch_execz .LBB238_15
; %bb.14:
	global_load_u16 v5, v0, s[26:27] offset:1024 scale_offset
.LBB238_15:
	;; [unrolled: 10-line block ×15, first 2 shown]
	s_wait_xcnt 0x0
	s_or_b32 exec_lo, exec_lo, s15
	s_wait_loadcnt 0x0
	v_mul_f16_e32 v1, v20, v1
	s_delay_alu instid0(VALU_DEP_1) | instskip(NEXT) | instid1(VALU_DEP_1)
	v_cndmask_b32_e32 v1, v20, v1, vcc_lo
	v_mul_f16_e32 v2, v1, v4
	s_delay_alu instid0(VALU_DEP_1) | instskip(SKIP_1) | instid1(VALU_DEP_1)
	v_cndmask_b32_e64 v1, v1, v2, s0
	s_mov_b32 s0, exec_lo
	v_mul_f16_e32 v2, v1, v5
	s_delay_alu instid0(VALU_DEP_1) | instskip(NEXT) | instid1(VALU_DEP_1)
	v_cndmask_b32_e64 v1, v1, v2, s1
	v_mul_f16_e32 v2, v1, v7
	s_delay_alu instid0(VALU_DEP_1) | instskip(NEXT) | instid1(VALU_DEP_1)
	v_cndmask_b32_e64 v1, v1, v2, s2
	;; [unrolled: 3-line block ×14, first 2 shown]
	v_and_b32_e32 v2, 0xffff, v1
	s_delay_alu instid0(VALU_DEP_1) | instskip(NEXT) | instid1(VALU_DEP_1)
	v_mov_b32_dpp v2, v2 quad_perm:[1,0,3,2] row_mask:0xf bank_mask:0xf
	v_mul_f16_e32 v1, v1, v2
	s_delay_alu instid0(VALU_DEP_1) | instskip(NEXT) | instid1(VALU_DEP_1)
	v_and_b32_e32 v2, 0xffff, v1
	v_mov_b32_dpp v2, v2 quad_perm:[2,3,0,1] row_mask:0xf bank_mask:0xf
	s_delay_alu instid0(VALU_DEP_1) | instskip(NEXT) | instid1(VALU_DEP_1)
	v_mul_f16_e32 v1, v1, v2
	v_and_b32_e32 v2, 0xffff, v1
	s_delay_alu instid0(VALU_DEP_1) | instskip(NEXT) | instid1(VALU_DEP_1)
	v_mov_b32_dpp v2, v2 row_ror:4 row_mask:0xf bank_mask:0xf
	v_mul_f16_e32 v1, v1, v2
	s_delay_alu instid0(VALU_DEP_1) | instskip(NEXT) | instid1(VALU_DEP_1)
	v_and_b32_e32 v2, 0xffff, v1
	v_mov_b32_dpp v2, v2 row_ror:8 row_mask:0xf bank_mask:0xf
	s_delay_alu instid0(VALU_DEP_1) | instskip(NEXT) | instid1(VALU_DEP_1)
	v_mul_f16_e32 v1, v1, v2
	v_and_b32_e32 v2, 0xffff, v1
	ds_swizzle_b32 v2, v2 offset:swizzle(BROADCAST,32,15)
	s_wait_dscnt 0x0
	v_mul_f16_e32 v1, v1, v2
	v_mov_b32_e32 v2, 0
	s_delay_alu instid0(VALU_DEP_2) | instskip(SKIP_2) | instid1(VALU_DEP_1)
	v_and_b32_e32 v1, 0xffff, v1
	ds_bpermute_b32 v3, v2, v1 offset:124
	v_mbcnt_lo_u32_b32 v1, -1, 0
	v_cmpx_eq_u32_e32 0, v1
	s_cbranch_execz .LBB238_43
; %bb.42:
	v_lshrrev_b32_e32 v2, 4, v0
	s_delay_alu instid0(VALU_DEP_1)
	v_and_b32_e32 v2, 14, v2
	s_wait_dscnt 0x0
	ds_store_b16 v2, v3
.LBB238_43:
	s_or_b32 exec_lo, exec_lo, s0
	s_delay_alu instid0(SALU_CYCLE_1)
	s_mov_b32 s0, exec_lo
	s_wait_storecnt_dscnt 0x0
	s_barrier_signal -1
	s_barrier_wait -1
	v_cmpx_gt_u32_e32 32, v0
	s_cbranch_execz .LBB238_45
; %bb.44:
	v_and_b32_e32 v2, 7, v1
	s_delay_alu instid0(VALU_DEP_1) | instskip(SKIP_1) | instid1(VALU_DEP_1)
	v_cmp_ne_u32_e32 vcc_lo, 7, v2
	v_add_co_ci_u32_e64 v4, null, 0, v1, vcc_lo
	v_lshlrev_b32_e32 v4, 2, v4
	v_cmp_gt_u32_e32 vcc_lo, 6, v2
	v_lshlrev_b32_e32 v3, 1, v2
	v_cndmask_b32_e64 v2, 0, 2, vcc_lo
	s_delay_alu instid0(VALU_DEP_1)
	v_add_lshl_u32 v2, v2, v1, 2
	v_lshlrev_b32_e32 v1, 2, v1
	ds_load_u16 v3, v3
	v_or_b32_e32 v1, 16, v1
	s_wait_dscnt 0x0
	v_and_b32_e32 v5, 0xffff, v3
	ds_bpermute_b32 v4, v4, v5
	s_wait_dscnt 0x0
	v_mul_f16_e32 v3, v3, v4
	s_delay_alu instid0(VALU_DEP_1) | instskip(SKIP_3) | instid1(VALU_DEP_1)
	v_and_b32_e32 v4, 0xffff, v3
	ds_bpermute_b32 v2, v2, v4
	s_wait_dscnt 0x0
	v_mul_f16_e32 v2, v3, v2
	v_and_b32_e32 v3, 0xffff, v2
	ds_bpermute_b32 v1, v1, v3
	s_wait_dscnt 0x0
	v_mul_f16_e32 v3, v2, v1
.LBB238_45:
	s_or_b32 exec_lo, exec_lo, s0
	s_branch .LBB238_67
.LBB238_46:
                                        ; implicit-def: $vgpr3
	s_cbranch_execz .LBB238_67
; %bb.47:
	s_sub_co_i32 s3, s22, s24
	s_mov_b32 s0, exec_lo
                                        ; implicit-def: $vgpr7
	v_cmpx_gt_u32_e64 s3, v0
	s_cbranch_execz .LBB238_53
; %bb.48:
	v_mov_b32_e32 v1, 0
	s_mov_b32 s1, exec_lo
	s_delay_alu instid0(VALU_DEP_1) | instskip(NEXT) | instid1(VALU_DEP_1)
	v_add_nc_u64_e32 v[2:3], s[24:25], v[0:1]
	v_lshl_add_u64 v[4:5], v[2:3], 1, s[16:17]
	v_add_nc_u64_e32 v[2:3], 0x100, v[2:3]
	global_load_u16 v7, v[4:5], off
	s_wait_xcnt 0x0
	v_cmpx_gt_i64_e64 s[22:23], v[2:3]
	s_cbranch_execz .LBB238_52
; %bb.49:
	v_add_nc_u64_e32 v[4:5], 0x200, v[4:5]
	s_mov_b32 s2, 0
.LBB238_50:                             ; =>This Inner Loop Header: Depth=1
	global_load_u16 v1, v[4:5], off
	v_add_nc_u64_e32 v[2:3], 0x100, v[2:3]
	s_wait_xcnt 0x0
	v_add_nc_u64_e32 v[4:5], 0x200, v[4:5]
	s_delay_alu instid0(VALU_DEP_2)
	v_cmp_le_i64_e32 vcc_lo, s[22:23], v[2:3]
	s_or_b32 s2, vcc_lo, s2
	s_wait_loadcnt 0x0
	v_mul_f16_e32 v7, v7, v1
	s_and_not1_b32 exec_lo, exec_lo, s2
	s_cbranch_execnz .LBB238_50
; %bb.51:
	s_or_b32 exec_lo, exec_lo, s2
.LBB238_52:
	s_delay_alu instid0(SALU_CYCLE_1)
	s_or_b32 exec_lo, exec_lo, s1
.LBB238_53:
	s_delay_alu instid0(SALU_CYCLE_1)
	s_or_b32 exec_lo, exec_lo, s0
	v_mbcnt_lo_u32_b32 v1, -1, 0
	s_wait_loadcnt 0x0
	v_and_b32_e32 v2, 0xffff, v7
	s_cmp_lt_u32 s3, 0x100
	s_cbranch_scc0 .LBB238_61
; %bb.54:
	v_cmp_ne_u32_e32 vcc_lo, 31, v1
	v_and_b32_e32 v4, 0xe0, v0
	v_cmp_gt_u32_e64 s0, 24, v1
	v_add_nc_u32_e32 v11, 2, v1
	v_add_co_ci_u32_e64 v3, null, 0, v1, vcc_lo
	v_cmp_gt_u32_e32 vcc_lo, 30, v1
	v_sub_nc_u32_e64 v8, s3, v4 clamp
	s_delay_alu instid0(VALU_DEP_3)
	v_lshlrev_b32_e32 v3, 2, v3
	v_cndmask_b32_e64 v9, 0, 2, vcc_lo
	v_cmp_gt_u32_e32 vcc_lo, 28, v1
	ds_bpermute_b32 v3, v3, v2
	v_add_lshl_u32 v9, v9, v1, 2
	s_wait_dscnt 0x0
	v_mul_f16_e32 v5, v7, v3
	v_add_nc_u32_e32 v3, 1, v1
	s_delay_alu instid0(VALU_DEP_2) | instskip(NEXT) | instid1(VALU_DEP_2)
	v_and_b32_e32 v4, 0xffff, v5
	v_cmp_lt_u32_e64 s2, v3, v8
	s_delay_alu instid0(VALU_DEP_1)
	v_dual_cndmask_b32 v3, v2, v4, s2 :: v_dual_cndmask_b32 v10, v7, v5, s2
	ds_bpermute_b32 v4, v9, v3
	s_wait_dscnt 0x0
	v_mul_f16_e32 v9, v10, v4
	v_cndmask_b32_e64 v4, 0, 4, vcc_lo
	v_cmp_lt_u32_e32 vcc_lo, v11, v8
	s_delay_alu instid0(VALU_DEP_3) | instskip(NEXT) | instid1(VALU_DEP_3)
	v_and_b32_e32 v12, 0xffff, v9
	v_add_lshl_u32 v4, v4, v1, 2
	s_delay_alu instid0(VALU_DEP_2)
	v_dual_cndmask_b32 v11, v10, v9, vcc_lo :: v_dual_cndmask_b32 v3, v3, v12, vcc_lo
	v_add_nc_u32_e32 v12, 4, v1
	ds_bpermute_b32 v4, v4, v3
	s_wait_dscnt 0x0
	v_mul_f16_e32 v10, v11, v4
	v_cndmask_b32_e64 v4, 0, 8, s0
	v_cmp_lt_u32_e64 s0, v12, v8
	s_delay_alu instid0(VALU_DEP_3) | instskip(NEXT) | instid1(VALU_DEP_3)
	v_and_b32_e32 v13, 0xffff, v10
	v_add_lshl_u32 v4, v4, v1, 2
	s_delay_alu instid0(VALU_DEP_3) | instskip(NEXT) | instid1(VALU_DEP_3)
	v_cndmask_b32_e64 v12, v11, v10, s0
	v_cndmask_b32_e64 v3, v3, v13, s0
	v_add_nc_u32_e32 v13, 8, v1
	ds_bpermute_b32 v4, v4, v3
	v_cmp_lt_u32_e64 s1, v13, v8
	s_wait_dscnt 0x0
	v_mul_f16_e32 v11, v12, v4
	s_delay_alu instid0(VALU_DEP_1) | instskip(SKIP_1) | instid1(VALU_DEP_1)
	v_and_b32_e32 v14, 0xffff, v11
	v_lshlrev_b32_e32 v4, 2, v1
	v_dual_cndmask_b32 v3, v3, v14, s1 :: v_dual_bitop2_b32 v13, 64, v4 bitop3:0x54
	ds_bpermute_b32 v13, v13, v3
	v_mov_b32_e32 v3, v7
	s_and_saveexec_b32 s4, s2
	s_cbranch_execz .LBB238_56
; %bb.55:
	v_dual_cndmask_b32 v3, v5, v9, vcc_lo :: v_dual_cndmask_b32 v5, v12, v11, s1
	s_delay_alu instid0(VALU_DEP_1) | instskip(SKIP_1) | instid1(VALU_DEP_2)
	v_dual_add_nc_u32 v9, 16, v1 :: v_dual_cndmask_b32 v3, v3, v10, s0
	s_wait_dscnt 0x0
	v_mul_f16_e32 v5, v5, v13
	s_delay_alu instid0(VALU_DEP_2) | instskip(NEXT) | instid1(VALU_DEP_3)
	v_cmp_lt_u32_e32 vcc_lo, v9, v8
	v_cndmask_b32_e64 v3, v3, v11, s1
	s_delay_alu instid0(VALU_DEP_1)
	v_cndmask_b32_e32 v3, v3, v5, vcc_lo
.LBB238_56:
	s_or_b32 exec_lo, exec_lo, s4
	s_delay_alu instid0(SALU_CYCLE_1)
	s_mov_b32 s0, exec_lo
	v_cmpx_eq_u32_e32 0, v1
; %bb.57:
	v_lshrrev_b32_e32 v5, 4, v0
	s_delay_alu instid0(VALU_DEP_1)
	v_and_b32_e32 v5, 14, v5
	ds_store_b16 v5, v3
; %bb.58:
	s_or_b32 exec_lo, exec_lo, s0
	s_delay_alu instid0(SALU_CYCLE_1)
	s_mov_b32 s1, exec_lo
	s_wait_storecnt_dscnt 0x0
	s_barrier_signal -1
	s_barrier_wait -1
	v_cmpx_gt_u32_e32 8, v0
	s_cbranch_execz .LBB238_60
; %bb.59:
	v_dual_lshlrev_b32 v3, 1, v1 :: v_dual_bitop2_b32 v5, 7, v1 bitop3:0x40
	s_add_co_i32 s3, s3, 31
	v_or_b32_e32 v4, 16, v4
	s_lshr_b32 s2, s3, 5
	ds_load_u16 v3, v3
	v_cmp_ne_u32_e32 vcc_lo, 7, v5
	v_add_nc_u32_e32 v11, 1, v5
	v_add_co_ci_u32_e64 v8, null, 0, v1, vcc_lo
	v_cmp_gt_u32_e32 vcc_lo, 6, v5
	s_delay_alu instid0(VALU_DEP_2) | instskip(SKIP_2) | instid1(VALU_DEP_2)
	v_lshlrev_b32_e32 v8, 2, v8
	v_cndmask_b32_e64 v10, 0, 2, vcc_lo
	v_cmp_gt_u32_e32 vcc_lo, s2, v11
	v_add_lshl_u32 v10, v10, v1, 2
	s_wait_dscnt 0x0
	v_and_b32_e32 v9, 0xffff, v3
	ds_bpermute_b32 v8, v8, v9
	s_wait_dscnt 0x0
	v_mul_f16_e32 v8, v3, v8
	s_delay_alu instid0(VALU_DEP_1) | instskip(SKIP_1) | instid1(VALU_DEP_2)
	v_and_b32_e32 v12, 0xffff, v8
	v_cndmask_b32_e32 v11, v3, v8, vcc_lo
	v_cndmask_b32_e32 v9, v9, v12, vcc_lo
	ds_bpermute_b32 v10, v10, v9
	s_wait_dscnt 0x0
	v_mul_f16_e32 v10, v11, v10
	v_dual_add_nc_u32 v11, 2, v5 :: v_dual_add_nc_u32 v5, 4, v5
	s_delay_alu instid0(VALU_DEP_2) | instskip(NEXT) | instid1(VALU_DEP_2)
	v_and_b32_e32 v12, 0xffff, v10
	v_cmp_gt_u32_e64 s0, s2, v11
	s_delay_alu instid0(VALU_DEP_1) | instskip(NEXT) | instid1(VALU_DEP_4)
	v_dual_cndmask_b32 v9, v9, v12, s0 :: v_dual_cndmask_b32 v8, v8, v10, s0
	v_cmp_gt_u32_e64 s0, s2, v5
	ds_bpermute_b32 v4, v4, v9
	s_wait_dscnt 0x0
	v_mul_f16_e32 v4, v8, v4
	s_delay_alu instid0(VALU_DEP_1) | instskip(NEXT) | instid1(VALU_DEP_1)
	v_cndmask_b32_e64 v4, v8, v4, s0
	v_cndmask_b32_e32 v3, v3, v4, vcc_lo
.LBB238_60:
	s_or_b32 exec_lo, exec_lo, s1
	s_branch .LBB238_67
.LBB238_61:
                                        ; implicit-def: $vgpr3
	s_cbranch_execz .LBB238_67
; %bb.62:
	s_delay_alu instid0(VALU_DEP_1) | instskip(SKIP_1) | instid1(VALU_DEP_1)
	v_mov_b32_dpp v2, v2 quad_perm:[1,0,3,2] row_mask:0xf bank_mask:0xf
	s_mov_b32 s0, exec_lo
	v_mul_f16_e32 v2, v7, v2
	s_delay_alu instid0(VALU_DEP_1) | instskip(NEXT) | instid1(VALU_DEP_1)
	v_and_b32_e32 v3, 0xffff, v2
	v_mov_b32_dpp v3, v3 quad_perm:[2,3,0,1] row_mask:0xf bank_mask:0xf
	s_delay_alu instid0(VALU_DEP_1) | instskip(NEXT) | instid1(VALU_DEP_1)
	v_mul_f16_e32 v2, v2, v3
	v_and_b32_e32 v3, 0xffff, v2
	s_delay_alu instid0(VALU_DEP_1) | instskip(NEXT) | instid1(VALU_DEP_1)
	v_mov_b32_dpp v3, v3 row_ror:4 row_mask:0xf bank_mask:0xf
	v_mul_f16_e32 v2, v2, v3
	s_delay_alu instid0(VALU_DEP_1) | instskip(NEXT) | instid1(VALU_DEP_1)
	v_and_b32_e32 v3, 0xffff, v2
	v_mov_b32_dpp v3, v3 row_ror:8 row_mask:0xf bank_mask:0xf
	s_delay_alu instid0(VALU_DEP_1) | instskip(NEXT) | instid1(VALU_DEP_1)
	v_mul_f16_e32 v2, v2, v3
	v_and_b32_e32 v3, 0xffff, v2
	ds_swizzle_b32 v3, v3 offset:swizzle(BROADCAST,32,15)
	s_wait_dscnt 0x0
	v_mul_f16_e32 v2, v2, v3
	v_mov_b32_e32 v3, 0
	s_delay_alu instid0(VALU_DEP_2)
	v_and_b32_e32 v2, 0xffff, v2
	ds_bpermute_b32 v3, v3, v2 offset:124
	v_cmpx_eq_u32_e32 0, v1
	s_cbranch_execz .LBB238_64
; %bb.63:
	v_lshrrev_b32_e32 v2, 4, v0
	s_delay_alu instid0(VALU_DEP_1)
	v_and_b32_e32 v2, 14, v2
	s_wait_dscnt 0x0
	ds_store_b16 v2, v3
.LBB238_64:
	s_or_b32 exec_lo, exec_lo, s0
	s_delay_alu instid0(SALU_CYCLE_1)
	s_mov_b32 s0, exec_lo
	s_wait_storecnt_dscnt 0x0
	s_barrier_signal -1
	s_barrier_wait -1
	v_cmpx_gt_u32_e32 32, v0
	s_cbranch_execz .LBB238_66
; %bb.65:
	v_and_b32_e32 v2, 7, v1
	s_delay_alu instid0(VALU_DEP_1) | instskip(SKIP_1) | instid1(VALU_DEP_1)
	v_cmp_ne_u32_e32 vcc_lo, 7, v2
	v_add_co_ci_u32_e64 v4, null, 0, v1, vcc_lo
	v_lshlrev_b32_e32 v4, 2, v4
	v_cmp_gt_u32_e32 vcc_lo, 6, v2
	v_lshlrev_b32_e32 v3, 1, v2
	v_cndmask_b32_e64 v2, 0, 2, vcc_lo
	s_delay_alu instid0(VALU_DEP_1)
	v_add_lshl_u32 v2, v2, v1, 2
	v_lshlrev_b32_e32 v1, 2, v1
	ds_load_u16 v3, v3
	v_or_b32_e32 v1, 16, v1
	s_wait_dscnt 0x0
	v_and_b32_e32 v5, 0xffff, v3
	ds_bpermute_b32 v4, v4, v5
	s_wait_dscnt 0x0
	v_mul_f16_e32 v3, v3, v4
	s_delay_alu instid0(VALU_DEP_1) | instskip(SKIP_3) | instid1(VALU_DEP_1)
	v_and_b32_e32 v4, 0xffff, v3
	ds_bpermute_b32 v2, v2, v4
	s_wait_dscnt 0x0
	v_mul_f16_e32 v2, v3, v2
	v_and_b32_e32 v3, 0xffff, v2
	ds_bpermute_b32 v1, v1, v3
	s_wait_dscnt 0x0
	v_mul_f16_e32 v3, v2, v1
.LBB238_66:
	s_or_b32 exec_lo, exec_lo, s0
.LBB238_67:
	s_delay_alu instid0(SALU_CYCLE_1)
	s_mov_b32 s0, exec_lo
	v_cmpx_eq_u32_e32 0, v0
	s_cbranch_execz .LBB238_69
; %bb.68:
	v_mov_b32_e32 v0, 0
	s_wait_loadcnt 0x0
	v_mul_f16_e32 v1, v6, v3
	s_lshl_b64 s[0:1], s[20:21], 1
	s_delay_alu instid0(SALU_CYCLE_1)
	s_add_nc_u64 s[0:1], s[18:19], s[0:1]
	global_store_b16 v0, v1, s[0:1]
.LBB238_69:
	s_endpgm
	.section	.rodata,"a",@progbits
	.p2align	6, 0x0
	.amdhsa_kernel _ZN7rocprim17ROCPRIM_400000_NS6detail17trampoline_kernelINS0_14default_configENS1_32segmented_reduce_config_selectorIN3c104HalfEEEZNS1_21segmented_reduce_implIS3_PKS6_PS6_PKlS6_N6hipcub16HIPCUB_304000_NS6detail27convert_result_type_wrapperISA_SB_N2at6native12_GLOBAL__N_110CustomProdEEEEE10hipError_tPvRmT0_T1_jT2_SS_T4_T3_P12ihipStream_tbEUlT_E_NS1_11comp_targetILNS1_3genE0ELNS1_11target_archE4294967295ELNS1_3gpuE0ELNS1_3repE0EEENS1_30default_config_static_selectorELNS0_4arch9wavefront6targetE0EEEvSR_
		.amdhsa_group_segment_fixed_size 16
		.amdhsa_private_segment_fixed_size 0
		.amdhsa_kernarg_size 48
		.amdhsa_user_sgpr_count 2
		.amdhsa_user_sgpr_dispatch_ptr 0
		.amdhsa_user_sgpr_queue_ptr 0
		.amdhsa_user_sgpr_kernarg_segment_ptr 1
		.amdhsa_user_sgpr_dispatch_id 0
		.amdhsa_user_sgpr_kernarg_preload_length 0
		.amdhsa_user_sgpr_kernarg_preload_offset 0
		.amdhsa_user_sgpr_private_segment_size 0
		.amdhsa_wavefront_size32 1
		.amdhsa_uses_dynamic_stack 0
		.amdhsa_enable_private_segment 0
		.amdhsa_system_sgpr_workgroup_id_x 1
		.amdhsa_system_sgpr_workgroup_id_y 0
		.amdhsa_system_sgpr_workgroup_id_z 0
		.amdhsa_system_sgpr_workgroup_info 0
		.amdhsa_system_vgpr_workitem_id 0
		.amdhsa_next_free_vgpr 21
		.amdhsa_next_free_sgpr 28
		.amdhsa_named_barrier_count 0
		.amdhsa_reserve_vcc 1
		.amdhsa_float_round_mode_32 0
		.amdhsa_float_round_mode_16_64 0
		.amdhsa_float_denorm_mode_32 3
		.amdhsa_float_denorm_mode_16_64 3
		.amdhsa_fp16_overflow 0
		.amdhsa_memory_ordered 1
		.amdhsa_forward_progress 1
		.amdhsa_inst_pref_size 30
		.amdhsa_round_robin_scheduling 0
		.amdhsa_exception_fp_ieee_invalid_op 0
		.amdhsa_exception_fp_denorm_src 0
		.amdhsa_exception_fp_ieee_div_zero 0
		.amdhsa_exception_fp_ieee_overflow 0
		.amdhsa_exception_fp_ieee_underflow 0
		.amdhsa_exception_fp_ieee_inexact 0
		.amdhsa_exception_int_div_zero 0
	.end_amdhsa_kernel
	.section	.text._ZN7rocprim17ROCPRIM_400000_NS6detail17trampoline_kernelINS0_14default_configENS1_32segmented_reduce_config_selectorIN3c104HalfEEEZNS1_21segmented_reduce_implIS3_PKS6_PS6_PKlS6_N6hipcub16HIPCUB_304000_NS6detail27convert_result_type_wrapperISA_SB_N2at6native12_GLOBAL__N_110CustomProdEEEEE10hipError_tPvRmT0_T1_jT2_SS_T4_T3_P12ihipStream_tbEUlT_E_NS1_11comp_targetILNS1_3genE0ELNS1_11target_archE4294967295ELNS1_3gpuE0ELNS1_3repE0EEENS1_30default_config_static_selectorELNS0_4arch9wavefront6targetE0EEEvSR_,"axG",@progbits,_ZN7rocprim17ROCPRIM_400000_NS6detail17trampoline_kernelINS0_14default_configENS1_32segmented_reduce_config_selectorIN3c104HalfEEEZNS1_21segmented_reduce_implIS3_PKS6_PS6_PKlS6_N6hipcub16HIPCUB_304000_NS6detail27convert_result_type_wrapperISA_SB_N2at6native12_GLOBAL__N_110CustomProdEEEEE10hipError_tPvRmT0_T1_jT2_SS_T4_T3_P12ihipStream_tbEUlT_E_NS1_11comp_targetILNS1_3genE0ELNS1_11target_archE4294967295ELNS1_3gpuE0ELNS1_3repE0EEENS1_30default_config_static_selectorELNS0_4arch9wavefront6targetE0EEEvSR_,comdat
.Lfunc_end238:
	.size	_ZN7rocprim17ROCPRIM_400000_NS6detail17trampoline_kernelINS0_14default_configENS1_32segmented_reduce_config_selectorIN3c104HalfEEEZNS1_21segmented_reduce_implIS3_PKS6_PS6_PKlS6_N6hipcub16HIPCUB_304000_NS6detail27convert_result_type_wrapperISA_SB_N2at6native12_GLOBAL__N_110CustomProdEEEEE10hipError_tPvRmT0_T1_jT2_SS_T4_T3_P12ihipStream_tbEUlT_E_NS1_11comp_targetILNS1_3genE0ELNS1_11target_archE4294967295ELNS1_3gpuE0ELNS1_3repE0EEENS1_30default_config_static_selectorELNS0_4arch9wavefront6targetE0EEEvSR_, .Lfunc_end238-_ZN7rocprim17ROCPRIM_400000_NS6detail17trampoline_kernelINS0_14default_configENS1_32segmented_reduce_config_selectorIN3c104HalfEEEZNS1_21segmented_reduce_implIS3_PKS6_PS6_PKlS6_N6hipcub16HIPCUB_304000_NS6detail27convert_result_type_wrapperISA_SB_N2at6native12_GLOBAL__N_110CustomProdEEEEE10hipError_tPvRmT0_T1_jT2_SS_T4_T3_P12ihipStream_tbEUlT_E_NS1_11comp_targetILNS1_3genE0ELNS1_11target_archE4294967295ELNS1_3gpuE0ELNS1_3repE0EEENS1_30default_config_static_selectorELNS0_4arch9wavefront6targetE0EEEvSR_
                                        ; -- End function
	.set _ZN7rocprim17ROCPRIM_400000_NS6detail17trampoline_kernelINS0_14default_configENS1_32segmented_reduce_config_selectorIN3c104HalfEEEZNS1_21segmented_reduce_implIS3_PKS6_PS6_PKlS6_N6hipcub16HIPCUB_304000_NS6detail27convert_result_type_wrapperISA_SB_N2at6native12_GLOBAL__N_110CustomProdEEEEE10hipError_tPvRmT0_T1_jT2_SS_T4_T3_P12ihipStream_tbEUlT_E_NS1_11comp_targetILNS1_3genE0ELNS1_11target_archE4294967295ELNS1_3gpuE0ELNS1_3repE0EEENS1_30default_config_static_selectorELNS0_4arch9wavefront6targetE0EEEvSR_.num_vgpr, 21
	.set _ZN7rocprim17ROCPRIM_400000_NS6detail17trampoline_kernelINS0_14default_configENS1_32segmented_reduce_config_selectorIN3c104HalfEEEZNS1_21segmented_reduce_implIS3_PKS6_PS6_PKlS6_N6hipcub16HIPCUB_304000_NS6detail27convert_result_type_wrapperISA_SB_N2at6native12_GLOBAL__N_110CustomProdEEEEE10hipError_tPvRmT0_T1_jT2_SS_T4_T3_P12ihipStream_tbEUlT_E_NS1_11comp_targetILNS1_3genE0ELNS1_11target_archE4294967295ELNS1_3gpuE0ELNS1_3repE0EEENS1_30default_config_static_selectorELNS0_4arch9wavefront6targetE0EEEvSR_.num_agpr, 0
	.set _ZN7rocprim17ROCPRIM_400000_NS6detail17trampoline_kernelINS0_14default_configENS1_32segmented_reduce_config_selectorIN3c104HalfEEEZNS1_21segmented_reduce_implIS3_PKS6_PS6_PKlS6_N6hipcub16HIPCUB_304000_NS6detail27convert_result_type_wrapperISA_SB_N2at6native12_GLOBAL__N_110CustomProdEEEEE10hipError_tPvRmT0_T1_jT2_SS_T4_T3_P12ihipStream_tbEUlT_E_NS1_11comp_targetILNS1_3genE0ELNS1_11target_archE4294967295ELNS1_3gpuE0ELNS1_3repE0EEENS1_30default_config_static_selectorELNS0_4arch9wavefront6targetE0EEEvSR_.numbered_sgpr, 28
	.set _ZN7rocprim17ROCPRIM_400000_NS6detail17trampoline_kernelINS0_14default_configENS1_32segmented_reduce_config_selectorIN3c104HalfEEEZNS1_21segmented_reduce_implIS3_PKS6_PS6_PKlS6_N6hipcub16HIPCUB_304000_NS6detail27convert_result_type_wrapperISA_SB_N2at6native12_GLOBAL__N_110CustomProdEEEEE10hipError_tPvRmT0_T1_jT2_SS_T4_T3_P12ihipStream_tbEUlT_E_NS1_11comp_targetILNS1_3genE0ELNS1_11target_archE4294967295ELNS1_3gpuE0ELNS1_3repE0EEENS1_30default_config_static_selectorELNS0_4arch9wavefront6targetE0EEEvSR_.num_named_barrier, 0
	.set _ZN7rocprim17ROCPRIM_400000_NS6detail17trampoline_kernelINS0_14default_configENS1_32segmented_reduce_config_selectorIN3c104HalfEEEZNS1_21segmented_reduce_implIS3_PKS6_PS6_PKlS6_N6hipcub16HIPCUB_304000_NS6detail27convert_result_type_wrapperISA_SB_N2at6native12_GLOBAL__N_110CustomProdEEEEE10hipError_tPvRmT0_T1_jT2_SS_T4_T3_P12ihipStream_tbEUlT_E_NS1_11comp_targetILNS1_3genE0ELNS1_11target_archE4294967295ELNS1_3gpuE0ELNS1_3repE0EEENS1_30default_config_static_selectorELNS0_4arch9wavefront6targetE0EEEvSR_.private_seg_size, 0
	.set _ZN7rocprim17ROCPRIM_400000_NS6detail17trampoline_kernelINS0_14default_configENS1_32segmented_reduce_config_selectorIN3c104HalfEEEZNS1_21segmented_reduce_implIS3_PKS6_PS6_PKlS6_N6hipcub16HIPCUB_304000_NS6detail27convert_result_type_wrapperISA_SB_N2at6native12_GLOBAL__N_110CustomProdEEEEE10hipError_tPvRmT0_T1_jT2_SS_T4_T3_P12ihipStream_tbEUlT_E_NS1_11comp_targetILNS1_3genE0ELNS1_11target_archE4294967295ELNS1_3gpuE0ELNS1_3repE0EEENS1_30default_config_static_selectorELNS0_4arch9wavefront6targetE0EEEvSR_.uses_vcc, 1
	.set _ZN7rocprim17ROCPRIM_400000_NS6detail17trampoline_kernelINS0_14default_configENS1_32segmented_reduce_config_selectorIN3c104HalfEEEZNS1_21segmented_reduce_implIS3_PKS6_PS6_PKlS6_N6hipcub16HIPCUB_304000_NS6detail27convert_result_type_wrapperISA_SB_N2at6native12_GLOBAL__N_110CustomProdEEEEE10hipError_tPvRmT0_T1_jT2_SS_T4_T3_P12ihipStream_tbEUlT_E_NS1_11comp_targetILNS1_3genE0ELNS1_11target_archE4294967295ELNS1_3gpuE0ELNS1_3repE0EEENS1_30default_config_static_selectorELNS0_4arch9wavefront6targetE0EEEvSR_.uses_flat_scratch, 0
	.set _ZN7rocprim17ROCPRIM_400000_NS6detail17trampoline_kernelINS0_14default_configENS1_32segmented_reduce_config_selectorIN3c104HalfEEEZNS1_21segmented_reduce_implIS3_PKS6_PS6_PKlS6_N6hipcub16HIPCUB_304000_NS6detail27convert_result_type_wrapperISA_SB_N2at6native12_GLOBAL__N_110CustomProdEEEEE10hipError_tPvRmT0_T1_jT2_SS_T4_T3_P12ihipStream_tbEUlT_E_NS1_11comp_targetILNS1_3genE0ELNS1_11target_archE4294967295ELNS1_3gpuE0ELNS1_3repE0EEENS1_30default_config_static_selectorELNS0_4arch9wavefront6targetE0EEEvSR_.has_dyn_sized_stack, 0
	.set _ZN7rocprim17ROCPRIM_400000_NS6detail17trampoline_kernelINS0_14default_configENS1_32segmented_reduce_config_selectorIN3c104HalfEEEZNS1_21segmented_reduce_implIS3_PKS6_PS6_PKlS6_N6hipcub16HIPCUB_304000_NS6detail27convert_result_type_wrapperISA_SB_N2at6native12_GLOBAL__N_110CustomProdEEEEE10hipError_tPvRmT0_T1_jT2_SS_T4_T3_P12ihipStream_tbEUlT_E_NS1_11comp_targetILNS1_3genE0ELNS1_11target_archE4294967295ELNS1_3gpuE0ELNS1_3repE0EEENS1_30default_config_static_selectorELNS0_4arch9wavefront6targetE0EEEvSR_.has_recursion, 0
	.set _ZN7rocprim17ROCPRIM_400000_NS6detail17trampoline_kernelINS0_14default_configENS1_32segmented_reduce_config_selectorIN3c104HalfEEEZNS1_21segmented_reduce_implIS3_PKS6_PS6_PKlS6_N6hipcub16HIPCUB_304000_NS6detail27convert_result_type_wrapperISA_SB_N2at6native12_GLOBAL__N_110CustomProdEEEEE10hipError_tPvRmT0_T1_jT2_SS_T4_T3_P12ihipStream_tbEUlT_E_NS1_11comp_targetILNS1_3genE0ELNS1_11target_archE4294967295ELNS1_3gpuE0ELNS1_3repE0EEENS1_30default_config_static_selectorELNS0_4arch9wavefront6targetE0EEEvSR_.has_indirect_call, 0
	.section	.AMDGPU.csdata,"",@progbits
; Kernel info:
; codeLenInByte = 3796
; TotalNumSgprs: 30
; NumVgprs: 21
; ScratchSize: 0
; MemoryBound: 0
; FloatMode: 240
; IeeeMode: 1
; LDSByteSize: 16 bytes/workgroup (compile time only)
; SGPRBlocks: 0
; VGPRBlocks: 1
; NumSGPRsForWavesPerEU: 30
; NumVGPRsForWavesPerEU: 21
; NamedBarCnt: 0
; Occupancy: 16
; WaveLimiterHint : 1
; COMPUTE_PGM_RSRC2:SCRATCH_EN: 0
; COMPUTE_PGM_RSRC2:USER_SGPR: 2
; COMPUTE_PGM_RSRC2:TRAP_HANDLER: 0
; COMPUTE_PGM_RSRC2:TGID_X_EN: 1
; COMPUTE_PGM_RSRC2:TGID_Y_EN: 0
; COMPUTE_PGM_RSRC2:TGID_Z_EN: 0
; COMPUTE_PGM_RSRC2:TIDIG_COMP_CNT: 0
	.section	.text._ZN7rocprim17ROCPRIM_400000_NS6detail17trampoline_kernelINS0_14default_configENS1_32segmented_reduce_config_selectorIN3c104HalfEEEZNS1_21segmented_reduce_implIS3_PKS6_PS6_PKlS6_N6hipcub16HIPCUB_304000_NS6detail27convert_result_type_wrapperISA_SB_N2at6native12_GLOBAL__N_110CustomProdEEEEE10hipError_tPvRmT0_T1_jT2_SS_T4_T3_P12ihipStream_tbEUlT_E_NS1_11comp_targetILNS1_3genE5ELNS1_11target_archE942ELNS1_3gpuE9ELNS1_3repE0EEENS1_30default_config_static_selectorELNS0_4arch9wavefront6targetE0EEEvSR_,"axG",@progbits,_ZN7rocprim17ROCPRIM_400000_NS6detail17trampoline_kernelINS0_14default_configENS1_32segmented_reduce_config_selectorIN3c104HalfEEEZNS1_21segmented_reduce_implIS3_PKS6_PS6_PKlS6_N6hipcub16HIPCUB_304000_NS6detail27convert_result_type_wrapperISA_SB_N2at6native12_GLOBAL__N_110CustomProdEEEEE10hipError_tPvRmT0_T1_jT2_SS_T4_T3_P12ihipStream_tbEUlT_E_NS1_11comp_targetILNS1_3genE5ELNS1_11target_archE942ELNS1_3gpuE9ELNS1_3repE0EEENS1_30default_config_static_selectorELNS0_4arch9wavefront6targetE0EEEvSR_,comdat
	.globl	_ZN7rocprim17ROCPRIM_400000_NS6detail17trampoline_kernelINS0_14default_configENS1_32segmented_reduce_config_selectorIN3c104HalfEEEZNS1_21segmented_reduce_implIS3_PKS6_PS6_PKlS6_N6hipcub16HIPCUB_304000_NS6detail27convert_result_type_wrapperISA_SB_N2at6native12_GLOBAL__N_110CustomProdEEEEE10hipError_tPvRmT0_T1_jT2_SS_T4_T3_P12ihipStream_tbEUlT_E_NS1_11comp_targetILNS1_3genE5ELNS1_11target_archE942ELNS1_3gpuE9ELNS1_3repE0EEENS1_30default_config_static_selectorELNS0_4arch9wavefront6targetE0EEEvSR_ ; -- Begin function _ZN7rocprim17ROCPRIM_400000_NS6detail17trampoline_kernelINS0_14default_configENS1_32segmented_reduce_config_selectorIN3c104HalfEEEZNS1_21segmented_reduce_implIS3_PKS6_PS6_PKlS6_N6hipcub16HIPCUB_304000_NS6detail27convert_result_type_wrapperISA_SB_N2at6native12_GLOBAL__N_110CustomProdEEEEE10hipError_tPvRmT0_T1_jT2_SS_T4_T3_P12ihipStream_tbEUlT_E_NS1_11comp_targetILNS1_3genE5ELNS1_11target_archE942ELNS1_3gpuE9ELNS1_3repE0EEENS1_30default_config_static_selectorELNS0_4arch9wavefront6targetE0EEEvSR_
	.p2align	8
	.type	_ZN7rocprim17ROCPRIM_400000_NS6detail17trampoline_kernelINS0_14default_configENS1_32segmented_reduce_config_selectorIN3c104HalfEEEZNS1_21segmented_reduce_implIS3_PKS6_PS6_PKlS6_N6hipcub16HIPCUB_304000_NS6detail27convert_result_type_wrapperISA_SB_N2at6native12_GLOBAL__N_110CustomProdEEEEE10hipError_tPvRmT0_T1_jT2_SS_T4_T3_P12ihipStream_tbEUlT_E_NS1_11comp_targetILNS1_3genE5ELNS1_11target_archE942ELNS1_3gpuE9ELNS1_3repE0EEENS1_30default_config_static_selectorELNS0_4arch9wavefront6targetE0EEEvSR_,@function
_ZN7rocprim17ROCPRIM_400000_NS6detail17trampoline_kernelINS0_14default_configENS1_32segmented_reduce_config_selectorIN3c104HalfEEEZNS1_21segmented_reduce_implIS3_PKS6_PS6_PKlS6_N6hipcub16HIPCUB_304000_NS6detail27convert_result_type_wrapperISA_SB_N2at6native12_GLOBAL__N_110CustomProdEEEEE10hipError_tPvRmT0_T1_jT2_SS_T4_T3_P12ihipStream_tbEUlT_E_NS1_11comp_targetILNS1_3genE5ELNS1_11target_archE942ELNS1_3gpuE9ELNS1_3repE0EEENS1_30default_config_static_selectorELNS0_4arch9wavefront6targetE0EEEvSR_: ; @_ZN7rocprim17ROCPRIM_400000_NS6detail17trampoline_kernelINS0_14default_configENS1_32segmented_reduce_config_selectorIN3c104HalfEEEZNS1_21segmented_reduce_implIS3_PKS6_PS6_PKlS6_N6hipcub16HIPCUB_304000_NS6detail27convert_result_type_wrapperISA_SB_N2at6native12_GLOBAL__N_110CustomProdEEEEE10hipError_tPvRmT0_T1_jT2_SS_T4_T3_P12ihipStream_tbEUlT_E_NS1_11comp_targetILNS1_3genE5ELNS1_11target_archE942ELNS1_3gpuE9ELNS1_3repE0EEENS1_30default_config_static_selectorELNS0_4arch9wavefront6targetE0EEEvSR_
; %bb.0:
	.section	.rodata,"a",@progbits
	.p2align	6, 0x0
	.amdhsa_kernel _ZN7rocprim17ROCPRIM_400000_NS6detail17trampoline_kernelINS0_14default_configENS1_32segmented_reduce_config_selectorIN3c104HalfEEEZNS1_21segmented_reduce_implIS3_PKS6_PS6_PKlS6_N6hipcub16HIPCUB_304000_NS6detail27convert_result_type_wrapperISA_SB_N2at6native12_GLOBAL__N_110CustomProdEEEEE10hipError_tPvRmT0_T1_jT2_SS_T4_T3_P12ihipStream_tbEUlT_E_NS1_11comp_targetILNS1_3genE5ELNS1_11target_archE942ELNS1_3gpuE9ELNS1_3repE0EEENS1_30default_config_static_selectorELNS0_4arch9wavefront6targetE0EEEvSR_
		.amdhsa_group_segment_fixed_size 0
		.amdhsa_private_segment_fixed_size 0
		.amdhsa_kernarg_size 48
		.amdhsa_user_sgpr_count 2
		.amdhsa_user_sgpr_dispatch_ptr 0
		.amdhsa_user_sgpr_queue_ptr 0
		.amdhsa_user_sgpr_kernarg_segment_ptr 1
		.amdhsa_user_sgpr_dispatch_id 0
		.amdhsa_user_sgpr_kernarg_preload_length 0
		.amdhsa_user_sgpr_kernarg_preload_offset 0
		.amdhsa_user_sgpr_private_segment_size 0
		.amdhsa_wavefront_size32 1
		.amdhsa_uses_dynamic_stack 0
		.amdhsa_enable_private_segment 0
		.amdhsa_system_sgpr_workgroup_id_x 1
		.amdhsa_system_sgpr_workgroup_id_y 0
		.amdhsa_system_sgpr_workgroup_id_z 0
		.amdhsa_system_sgpr_workgroup_info 0
		.amdhsa_system_vgpr_workitem_id 0
		.amdhsa_next_free_vgpr 1
		.amdhsa_next_free_sgpr 1
		.amdhsa_named_barrier_count 0
		.amdhsa_reserve_vcc 0
		.amdhsa_float_round_mode_32 0
		.amdhsa_float_round_mode_16_64 0
		.amdhsa_float_denorm_mode_32 3
		.amdhsa_float_denorm_mode_16_64 3
		.amdhsa_fp16_overflow 0
		.amdhsa_memory_ordered 1
		.amdhsa_forward_progress 1
		.amdhsa_inst_pref_size 0
		.amdhsa_round_robin_scheduling 0
		.amdhsa_exception_fp_ieee_invalid_op 0
		.amdhsa_exception_fp_denorm_src 0
		.amdhsa_exception_fp_ieee_div_zero 0
		.amdhsa_exception_fp_ieee_overflow 0
		.amdhsa_exception_fp_ieee_underflow 0
		.amdhsa_exception_fp_ieee_inexact 0
		.amdhsa_exception_int_div_zero 0
	.end_amdhsa_kernel
	.section	.text._ZN7rocprim17ROCPRIM_400000_NS6detail17trampoline_kernelINS0_14default_configENS1_32segmented_reduce_config_selectorIN3c104HalfEEEZNS1_21segmented_reduce_implIS3_PKS6_PS6_PKlS6_N6hipcub16HIPCUB_304000_NS6detail27convert_result_type_wrapperISA_SB_N2at6native12_GLOBAL__N_110CustomProdEEEEE10hipError_tPvRmT0_T1_jT2_SS_T4_T3_P12ihipStream_tbEUlT_E_NS1_11comp_targetILNS1_3genE5ELNS1_11target_archE942ELNS1_3gpuE9ELNS1_3repE0EEENS1_30default_config_static_selectorELNS0_4arch9wavefront6targetE0EEEvSR_,"axG",@progbits,_ZN7rocprim17ROCPRIM_400000_NS6detail17trampoline_kernelINS0_14default_configENS1_32segmented_reduce_config_selectorIN3c104HalfEEEZNS1_21segmented_reduce_implIS3_PKS6_PS6_PKlS6_N6hipcub16HIPCUB_304000_NS6detail27convert_result_type_wrapperISA_SB_N2at6native12_GLOBAL__N_110CustomProdEEEEE10hipError_tPvRmT0_T1_jT2_SS_T4_T3_P12ihipStream_tbEUlT_E_NS1_11comp_targetILNS1_3genE5ELNS1_11target_archE942ELNS1_3gpuE9ELNS1_3repE0EEENS1_30default_config_static_selectorELNS0_4arch9wavefront6targetE0EEEvSR_,comdat
.Lfunc_end239:
	.size	_ZN7rocprim17ROCPRIM_400000_NS6detail17trampoline_kernelINS0_14default_configENS1_32segmented_reduce_config_selectorIN3c104HalfEEEZNS1_21segmented_reduce_implIS3_PKS6_PS6_PKlS6_N6hipcub16HIPCUB_304000_NS6detail27convert_result_type_wrapperISA_SB_N2at6native12_GLOBAL__N_110CustomProdEEEEE10hipError_tPvRmT0_T1_jT2_SS_T4_T3_P12ihipStream_tbEUlT_E_NS1_11comp_targetILNS1_3genE5ELNS1_11target_archE942ELNS1_3gpuE9ELNS1_3repE0EEENS1_30default_config_static_selectorELNS0_4arch9wavefront6targetE0EEEvSR_, .Lfunc_end239-_ZN7rocprim17ROCPRIM_400000_NS6detail17trampoline_kernelINS0_14default_configENS1_32segmented_reduce_config_selectorIN3c104HalfEEEZNS1_21segmented_reduce_implIS3_PKS6_PS6_PKlS6_N6hipcub16HIPCUB_304000_NS6detail27convert_result_type_wrapperISA_SB_N2at6native12_GLOBAL__N_110CustomProdEEEEE10hipError_tPvRmT0_T1_jT2_SS_T4_T3_P12ihipStream_tbEUlT_E_NS1_11comp_targetILNS1_3genE5ELNS1_11target_archE942ELNS1_3gpuE9ELNS1_3repE0EEENS1_30default_config_static_selectorELNS0_4arch9wavefront6targetE0EEEvSR_
                                        ; -- End function
	.set _ZN7rocprim17ROCPRIM_400000_NS6detail17trampoline_kernelINS0_14default_configENS1_32segmented_reduce_config_selectorIN3c104HalfEEEZNS1_21segmented_reduce_implIS3_PKS6_PS6_PKlS6_N6hipcub16HIPCUB_304000_NS6detail27convert_result_type_wrapperISA_SB_N2at6native12_GLOBAL__N_110CustomProdEEEEE10hipError_tPvRmT0_T1_jT2_SS_T4_T3_P12ihipStream_tbEUlT_E_NS1_11comp_targetILNS1_3genE5ELNS1_11target_archE942ELNS1_3gpuE9ELNS1_3repE0EEENS1_30default_config_static_selectorELNS0_4arch9wavefront6targetE0EEEvSR_.num_vgpr, 0
	.set _ZN7rocprim17ROCPRIM_400000_NS6detail17trampoline_kernelINS0_14default_configENS1_32segmented_reduce_config_selectorIN3c104HalfEEEZNS1_21segmented_reduce_implIS3_PKS6_PS6_PKlS6_N6hipcub16HIPCUB_304000_NS6detail27convert_result_type_wrapperISA_SB_N2at6native12_GLOBAL__N_110CustomProdEEEEE10hipError_tPvRmT0_T1_jT2_SS_T4_T3_P12ihipStream_tbEUlT_E_NS1_11comp_targetILNS1_3genE5ELNS1_11target_archE942ELNS1_3gpuE9ELNS1_3repE0EEENS1_30default_config_static_selectorELNS0_4arch9wavefront6targetE0EEEvSR_.num_agpr, 0
	.set _ZN7rocprim17ROCPRIM_400000_NS6detail17trampoline_kernelINS0_14default_configENS1_32segmented_reduce_config_selectorIN3c104HalfEEEZNS1_21segmented_reduce_implIS3_PKS6_PS6_PKlS6_N6hipcub16HIPCUB_304000_NS6detail27convert_result_type_wrapperISA_SB_N2at6native12_GLOBAL__N_110CustomProdEEEEE10hipError_tPvRmT0_T1_jT2_SS_T4_T3_P12ihipStream_tbEUlT_E_NS1_11comp_targetILNS1_3genE5ELNS1_11target_archE942ELNS1_3gpuE9ELNS1_3repE0EEENS1_30default_config_static_selectorELNS0_4arch9wavefront6targetE0EEEvSR_.numbered_sgpr, 0
	.set _ZN7rocprim17ROCPRIM_400000_NS6detail17trampoline_kernelINS0_14default_configENS1_32segmented_reduce_config_selectorIN3c104HalfEEEZNS1_21segmented_reduce_implIS3_PKS6_PS6_PKlS6_N6hipcub16HIPCUB_304000_NS6detail27convert_result_type_wrapperISA_SB_N2at6native12_GLOBAL__N_110CustomProdEEEEE10hipError_tPvRmT0_T1_jT2_SS_T4_T3_P12ihipStream_tbEUlT_E_NS1_11comp_targetILNS1_3genE5ELNS1_11target_archE942ELNS1_3gpuE9ELNS1_3repE0EEENS1_30default_config_static_selectorELNS0_4arch9wavefront6targetE0EEEvSR_.num_named_barrier, 0
	.set _ZN7rocprim17ROCPRIM_400000_NS6detail17trampoline_kernelINS0_14default_configENS1_32segmented_reduce_config_selectorIN3c104HalfEEEZNS1_21segmented_reduce_implIS3_PKS6_PS6_PKlS6_N6hipcub16HIPCUB_304000_NS6detail27convert_result_type_wrapperISA_SB_N2at6native12_GLOBAL__N_110CustomProdEEEEE10hipError_tPvRmT0_T1_jT2_SS_T4_T3_P12ihipStream_tbEUlT_E_NS1_11comp_targetILNS1_3genE5ELNS1_11target_archE942ELNS1_3gpuE9ELNS1_3repE0EEENS1_30default_config_static_selectorELNS0_4arch9wavefront6targetE0EEEvSR_.private_seg_size, 0
	.set _ZN7rocprim17ROCPRIM_400000_NS6detail17trampoline_kernelINS0_14default_configENS1_32segmented_reduce_config_selectorIN3c104HalfEEEZNS1_21segmented_reduce_implIS3_PKS6_PS6_PKlS6_N6hipcub16HIPCUB_304000_NS6detail27convert_result_type_wrapperISA_SB_N2at6native12_GLOBAL__N_110CustomProdEEEEE10hipError_tPvRmT0_T1_jT2_SS_T4_T3_P12ihipStream_tbEUlT_E_NS1_11comp_targetILNS1_3genE5ELNS1_11target_archE942ELNS1_3gpuE9ELNS1_3repE0EEENS1_30default_config_static_selectorELNS0_4arch9wavefront6targetE0EEEvSR_.uses_vcc, 0
	.set _ZN7rocprim17ROCPRIM_400000_NS6detail17trampoline_kernelINS0_14default_configENS1_32segmented_reduce_config_selectorIN3c104HalfEEEZNS1_21segmented_reduce_implIS3_PKS6_PS6_PKlS6_N6hipcub16HIPCUB_304000_NS6detail27convert_result_type_wrapperISA_SB_N2at6native12_GLOBAL__N_110CustomProdEEEEE10hipError_tPvRmT0_T1_jT2_SS_T4_T3_P12ihipStream_tbEUlT_E_NS1_11comp_targetILNS1_3genE5ELNS1_11target_archE942ELNS1_3gpuE9ELNS1_3repE0EEENS1_30default_config_static_selectorELNS0_4arch9wavefront6targetE0EEEvSR_.uses_flat_scratch, 0
	.set _ZN7rocprim17ROCPRIM_400000_NS6detail17trampoline_kernelINS0_14default_configENS1_32segmented_reduce_config_selectorIN3c104HalfEEEZNS1_21segmented_reduce_implIS3_PKS6_PS6_PKlS6_N6hipcub16HIPCUB_304000_NS6detail27convert_result_type_wrapperISA_SB_N2at6native12_GLOBAL__N_110CustomProdEEEEE10hipError_tPvRmT0_T1_jT2_SS_T4_T3_P12ihipStream_tbEUlT_E_NS1_11comp_targetILNS1_3genE5ELNS1_11target_archE942ELNS1_3gpuE9ELNS1_3repE0EEENS1_30default_config_static_selectorELNS0_4arch9wavefront6targetE0EEEvSR_.has_dyn_sized_stack, 0
	.set _ZN7rocprim17ROCPRIM_400000_NS6detail17trampoline_kernelINS0_14default_configENS1_32segmented_reduce_config_selectorIN3c104HalfEEEZNS1_21segmented_reduce_implIS3_PKS6_PS6_PKlS6_N6hipcub16HIPCUB_304000_NS6detail27convert_result_type_wrapperISA_SB_N2at6native12_GLOBAL__N_110CustomProdEEEEE10hipError_tPvRmT0_T1_jT2_SS_T4_T3_P12ihipStream_tbEUlT_E_NS1_11comp_targetILNS1_3genE5ELNS1_11target_archE942ELNS1_3gpuE9ELNS1_3repE0EEENS1_30default_config_static_selectorELNS0_4arch9wavefront6targetE0EEEvSR_.has_recursion, 0
	.set _ZN7rocprim17ROCPRIM_400000_NS6detail17trampoline_kernelINS0_14default_configENS1_32segmented_reduce_config_selectorIN3c104HalfEEEZNS1_21segmented_reduce_implIS3_PKS6_PS6_PKlS6_N6hipcub16HIPCUB_304000_NS6detail27convert_result_type_wrapperISA_SB_N2at6native12_GLOBAL__N_110CustomProdEEEEE10hipError_tPvRmT0_T1_jT2_SS_T4_T3_P12ihipStream_tbEUlT_E_NS1_11comp_targetILNS1_3genE5ELNS1_11target_archE942ELNS1_3gpuE9ELNS1_3repE0EEENS1_30default_config_static_selectorELNS0_4arch9wavefront6targetE0EEEvSR_.has_indirect_call, 0
	.section	.AMDGPU.csdata,"",@progbits
; Kernel info:
; codeLenInByte = 0
; TotalNumSgprs: 0
; NumVgprs: 0
; ScratchSize: 0
; MemoryBound: 0
; FloatMode: 240
; IeeeMode: 1
; LDSByteSize: 0 bytes/workgroup (compile time only)
; SGPRBlocks: 0
; VGPRBlocks: 0
; NumSGPRsForWavesPerEU: 1
; NumVGPRsForWavesPerEU: 1
; NamedBarCnt: 0
; Occupancy: 16
; WaveLimiterHint : 0
; COMPUTE_PGM_RSRC2:SCRATCH_EN: 0
; COMPUTE_PGM_RSRC2:USER_SGPR: 2
; COMPUTE_PGM_RSRC2:TRAP_HANDLER: 0
; COMPUTE_PGM_RSRC2:TGID_X_EN: 1
; COMPUTE_PGM_RSRC2:TGID_Y_EN: 0
; COMPUTE_PGM_RSRC2:TGID_Z_EN: 0
; COMPUTE_PGM_RSRC2:TIDIG_COMP_CNT: 0
	.section	.text._ZN7rocprim17ROCPRIM_400000_NS6detail17trampoline_kernelINS0_14default_configENS1_32segmented_reduce_config_selectorIN3c104HalfEEEZNS1_21segmented_reduce_implIS3_PKS6_PS6_PKlS6_N6hipcub16HIPCUB_304000_NS6detail27convert_result_type_wrapperISA_SB_N2at6native12_GLOBAL__N_110CustomProdEEEEE10hipError_tPvRmT0_T1_jT2_SS_T4_T3_P12ihipStream_tbEUlT_E_NS1_11comp_targetILNS1_3genE10ELNS1_11target_archE1201ELNS1_3gpuE5ELNS1_3repE0EEENS1_30default_config_static_selectorELNS0_4arch9wavefront6targetE0EEEvSR_,"axG",@progbits,_ZN7rocprim17ROCPRIM_400000_NS6detail17trampoline_kernelINS0_14default_configENS1_32segmented_reduce_config_selectorIN3c104HalfEEEZNS1_21segmented_reduce_implIS3_PKS6_PS6_PKlS6_N6hipcub16HIPCUB_304000_NS6detail27convert_result_type_wrapperISA_SB_N2at6native12_GLOBAL__N_110CustomProdEEEEE10hipError_tPvRmT0_T1_jT2_SS_T4_T3_P12ihipStream_tbEUlT_E_NS1_11comp_targetILNS1_3genE10ELNS1_11target_archE1201ELNS1_3gpuE5ELNS1_3repE0EEENS1_30default_config_static_selectorELNS0_4arch9wavefront6targetE0EEEvSR_,comdat
	.globl	_ZN7rocprim17ROCPRIM_400000_NS6detail17trampoline_kernelINS0_14default_configENS1_32segmented_reduce_config_selectorIN3c104HalfEEEZNS1_21segmented_reduce_implIS3_PKS6_PS6_PKlS6_N6hipcub16HIPCUB_304000_NS6detail27convert_result_type_wrapperISA_SB_N2at6native12_GLOBAL__N_110CustomProdEEEEE10hipError_tPvRmT0_T1_jT2_SS_T4_T3_P12ihipStream_tbEUlT_E_NS1_11comp_targetILNS1_3genE10ELNS1_11target_archE1201ELNS1_3gpuE5ELNS1_3repE0EEENS1_30default_config_static_selectorELNS0_4arch9wavefront6targetE0EEEvSR_ ; -- Begin function _ZN7rocprim17ROCPRIM_400000_NS6detail17trampoline_kernelINS0_14default_configENS1_32segmented_reduce_config_selectorIN3c104HalfEEEZNS1_21segmented_reduce_implIS3_PKS6_PS6_PKlS6_N6hipcub16HIPCUB_304000_NS6detail27convert_result_type_wrapperISA_SB_N2at6native12_GLOBAL__N_110CustomProdEEEEE10hipError_tPvRmT0_T1_jT2_SS_T4_T3_P12ihipStream_tbEUlT_E_NS1_11comp_targetILNS1_3genE10ELNS1_11target_archE1201ELNS1_3gpuE5ELNS1_3repE0EEENS1_30default_config_static_selectorELNS0_4arch9wavefront6targetE0EEEvSR_
	.p2align	8
	.type	_ZN7rocprim17ROCPRIM_400000_NS6detail17trampoline_kernelINS0_14default_configENS1_32segmented_reduce_config_selectorIN3c104HalfEEEZNS1_21segmented_reduce_implIS3_PKS6_PS6_PKlS6_N6hipcub16HIPCUB_304000_NS6detail27convert_result_type_wrapperISA_SB_N2at6native12_GLOBAL__N_110CustomProdEEEEE10hipError_tPvRmT0_T1_jT2_SS_T4_T3_P12ihipStream_tbEUlT_E_NS1_11comp_targetILNS1_3genE10ELNS1_11target_archE1201ELNS1_3gpuE5ELNS1_3repE0EEENS1_30default_config_static_selectorELNS0_4arch9wavefront6targetE0EEEvSR_,@function
_ZN7rocprim17ROCPRIM_400000_NS6detail17trampoline_kernelINS0_14default_configENS1_32segmented_reduce_config_selectorIN3c104HalfEEEZNS1_21segmented_reduce_implIS3_PKS6_PS6_PKlS6_N6hipcub16HIPCUB_304000_NS6detail27convert_result_type_wrapperISA_SB_N2at6native12_GLOBAL__N_110CustomProdEEEEE10hipError_tPvRmT0_T1_jT2_SS_T4_T3_P12ihipStream_tbEUlT_E_NS1_11comp_targetILNS1_3genE10ELNS1_11target_archE1201ELNS1_3gpuE5ELNS1_3repE0EEENS1_30default_config_static_selectorELNS0_4arch9wavefront6targetE0EEEvSR_: ; @_ZN7rocprim17ROCPRIM_400000_NS6detail17trampoline_kernelINS0_14default_configENS1_32segmented_reduce_config_selectorIN3c104HalfEEEZNS1_21segmented_reduce_implIS3_PKS6_PS6_PKlS6_N6hipcub16HIPCUB_304000_NS6detail27convert_result_type_wrapperISA_SB_N2at6native12_GLOBAL__N_110CustomProdEEEEE10hipError_tPvRmT0_T1_jT2_SS_T4_T3_P12ihipStream_tbEUlT_E_NS1_11comp_targetILNS1_3genE10ELNS1_11target_archE1201ELNS1_3gpuE5ELNS1_3repE0EEENS1_30default_config_static_selectorELNS0_4arch9wavefront6targetE0EEEvSR_
; %bb.0:
	.section	.rodata,"a",@progbits
	.p2align	6, 0x0
	.amdhsa_kernel _ZN7rocprim17ROCPRIM_400000_NS6detail17trampoline_kernelINS0_14default_configENS1_32segmented_reduce_config_selectorIN3c104HalfEEEZNS1_21segmented_reduce_implIS3_PKS6_PS6_PKlS6_N6hipcub16HIPCUB_304000_NS6detail27convert_result_type_wrapperISA_SB_N2at6native12_GLOBAL__N_110CustomProdEEEEE10hipError_tPvRmT0_T1_jT2_SS_T4_T3_P12ihipStream_tbEUlT_E_NS1_11comp_targetILNS1_3genE10ELNS1_11target_archE1201ELNS1_3gpuE5ELNS1_3repE0EEENS1_30default_config_static_selectorELNS0_4arch9wavefront6targetE0EEEvSR_
		.amdhsa_group_segment_fixed_size 0
		.amdhsa_private_segment_fixed_size 0
		.amdhsa_kernarg_size 48
		.amdhsa_user_sgpr_count 2
		.amdhsa_user_sgpr_dispatch_ptr 0
		.amdhsa_user_sgpr_queue_ptr 0
		.amdhsa_user_sgpr_kernarg_segment_ptr 1
		.amdhsa_user_sgpr_dispatch_id 0
		.amdhsa_user_sgpr_kernarg_preload_length 0
		.amdhsa_user_sgpr_kernarg_preload_offset 0
		.amdhsa_user_sgpr_private_segment_size 0
		.amdhsa_wavefront_size32 1
		.amdhsa_uses_dynamic_stack 0
		.amdhsa_enable_private_segment 0
		.amdhsa_system_sgpr_workgroup_id_x 1
		.amdhsa_system_sgpr_workgroup_id_y 0
		.amdhsa_system_sgpr_workgroup_id_z 0
		.amdhsa_system_sgpr_workgroup_info 0
		.amdhsa_system_vgpr_workitem_id 0
		.amdhsa_next_free_vgpr 1
		.amdhsa_next_free_sgpr 1
		.amdhsa_named_barrier_count 0
		.amdhsa_reserve_vcc 0
		.amdhsa_float_round_mode_32 0
		.amdhsa_float_round_mode_16_64 0
		.amdhsa_float_denorm_mode_32 3
		.amdhsa_float_denorm_mode_16_64 3
		.amdhsa_fp16_overflow 0
		.amdhsa_memory_ordered 1
		.amdhsa_forward_progress 1
		.amdhsa_inst_pref_size 0
		.amdhsa_round_robin_scheduling 0
		.amdhsa_exception_fp_ieee_invalid_op 0
		.amdhsa_exception_fp_denorm_src 0
		.amdhsa_exception_fp_ieee_div_zero 0
		.amdhsa_exception_fp_ieee_overflow 0
		.amdhsa_exception_fp_ieee_underflow 0
		.amdhsa_exception_fp_ieee_inexact 0
		.amdhsa_exception_int_div_zero 0
	.end_amdhsa_kernel
	.section	.text._ZN7rocprim17ROCPRIM_400000_NS6detail17trampoline_kernelINS0_14default_configENS1_32segmented_reduce_config_selectorIN3c104HalfEEEZNS1_21segmented_reduce_implIS3_PKS6_PS6_PKlS6_N6hipcub16HIPCUB_304000_NS6detail27convert_result_type_wrapperISA_SB_N2at6native12_GLOBAL__N_110CustomProdEEEEE10hipError_tPvRmT0_T1_jT2_SS_T4_T3_P12ihipStream_tbEUlT_E_NS1_11comp_targetILNS1_3genE10ELNS1_11target_archE1201ELNS1_3gpuE5ELNS1_3repE0EEENS1_30default_config_static_selectorELNS0_4arch9wavefront6targetE0EEEvSR_,"axG",@progbits,_ZN7rocprim17ROCPRIM_400000_NS6detail17trampoline_kernelINS0_14default_configENS1_32segmented_reduce_config_selectorIN3c104HalfEEEZNS1_21segmented_reduce_implIS3_PKS6_PS6_PKlS6_N6hipcub16HIPCUB_304000_NS6detail27convert_result_type_wrapperISA_SB_N2at6native12_GLOBAL__N_110CustomProdEEEEE10hipError_tPvRmT0_T1_jT2_SS_T4_T3_P12ihipStream_tbEUlT_E_NS1_11comp_targetILNS1_3genE10ELNS1_11target_archE1201ELNS1_3gpuE5ELNS1_3repE0EEENS1_30default_config_static_selectorELNS0_4arch9wavefront6targetE0EEEvSR_,comdat
.Lfunc_end240:
	.size	_ZN7rocprim17ROCPRIM_400000_NS6detail17trampoline_kernelINS0_14default_configENS1_32segmented_reduce_config_selectorIN3c104HalfEEEZNS1_21segmented_reduce_implIS3_PKS6_PS6_PKlS6_N6hipcub16HIPCUB_304000_NS6detail27convert_result_type_wrapperISA_SB_N2at6native12_GLOBAL__N_110CustomProdEEEEE10hipError_tPvRmT0_T1_jT2_SS_T4_T3_P12ihipStream_tbEUlT_E_NS1_11comp_targetILNS1_3genE10ELNS1_11target_archE1201ELNS1_3gpuE5ELNS1_3repE0EEENS1_30default_config_static_selectorELNS0_4arch9wavefront6targetE0EEEvSR_, .Lfunc_end240-_ZN7rocprim17ROCPRIM_400000_NS6detail17trampoline_kernelINS0_14default_configENS1_32segmented_reduce_config_selectorIN3c104HalfEEEZNS1_21segmented_reduce_implIS3_PKS6_PS6_PKlS6_N6hipcub16HIPCUB_304000_NS6detail27convert_result_type_wrapperISA_SB_N2at6native12_GLOBAL__N_110CustomProdEEEEE10hipError_tPvRmT0_T1_jT2_SS_T4_T3_P12ihipStream_tbEUlT_E_NS1_11comp_targetILNS1_3genE10ELNS1_11target_archE1201ELNS1_3gpuE5ELNS1_3repE0EEENS1_30default_config_static_selectorELNS0_4arch9wavefront6targetE0EEEvSR_
                                        ; -- End function
	.set _ZN7rocprim17ROCPRIM_400000_NS6detail17trampoline_kernelINS0_14default_configENS1_32segmented_reduce_config_selectorIN3c104HalfEEEZNS1_21segmented_reduce_implIS3_PKS6_PS6_PKlS6_N6hipcub16HIPCUB_304000_NS6detail27convert_result_type_wrapperISA_SB_N2at6native12_GLOBAL__N_110CustomProdEEEEE10hipError_tPvRmT0_T1_jT2_SS_T4_T3_P12ihipStream_tbEUlT_E_NS1_11comp_targetILNS1_3genE10ELNS1_11target_archE1201ELNS1_3gpuE5ELNS1_3repE0EEENS1_30default_config_static_selectorELNS0_4arch9wavefront6targetE0EEEvSR_.num_vgpr, 0
	.set _ZN7rocprim17ROCPRIM_400000_NS6detail17trampoline_kernelINS0_14default_configENS1_32segmented_reduce_config_selectorIN3c104HalfEEEZNS1_21segmented_reduce_implIS3_PKS6_PS6_PKlS6_N6hipcub16HIPCUB_304000_NS6detail27convert_result_type_wrapperISA_SB_N2at6native12_GLOBAL__N_110CustomProdEEEEE10hipError_tPvRmT0_T1_jT2_SS_T4_T3_P12ihipStream_tbEUlT_E_NS1_11comp_targetILNS1_3genE10ELNS1_11target_archE1201ELNS1_3gpuE5ELNS1_3repE0EEENS1_30default_config_static_selectorELNS0_4arch9wavefront6targetE0EEEvSR_.num_agpr, 0
	.set _ZN7rocprim17ROCPRIM_400000_NS6detail17trampoline_kernelINS0_14default_configENS1_32segmented_reduce_config_selectorIN3c104HalfEEEZNS1_21segmented_reduce_implIS3_PKS6_PS6_PKlS6_N6hipcub16HIPCUB_304000_NS6detail27convert_result_type_wrapperISA_SB_N2at6native12_GLOBAL__N_110CustomProdEEEEE10hipError_tPvRmT0_T1_jT2_SS_T4_T3_P12ihipStream_tbEUlT_E_NS1_11comp_targetILNS1_3genE10ELNS1_11target_archE1201ELNS1_3gpuE5ELNS1_3repE0EEENS1_30default_config_static_selectorELNS0_4arch9wavefront6targetE0EEEvSR_.numbered_sgpr, 0
	.set _ZN7rocprim17ROCPRIM_400000_NS6detail17trampoline_kernelINS0_14default_configENS1_32segmented_reduce_config_selectorIN3c104HalfEEEZNS1_21segmented_reduce_implIS3_PKS6_PS6_PKlS6_N6hipcub16HIPCUB_304000_NS6detail27convert_result_type_wrapperISA_SB_N2at6native12_GLOBAL__N_110CustomProdEEEEE10hipError_tPvRmT0_T1_jT2_SS_T4_T3_P12ihipStream_tbEUlT_E_NS1_11comp_targetILNS1_3genE10ELNS1_11target_archE1201ELNS1_3gpuE5ELNS1_3repE0EEENS1_30default_config_static_selectorELNS0_4arch9wavefront6targetE0EEEvSR_.num_named_barrier, 0
	.set _ZN7rocprim17ROCPRIM_400000_NS6detail17trampoline_kernelINS0_14default_configENS1_32segmented_reduce_config_selectorIN3c104HalfEEEZNS1_21segmented_reduce_implIS3_PKS6_PS6_PKlS6_N6hipcub16HIPCUB_304000_NS6detail27convert_result_type_wrapperISA_SB_N2at6native12_GLOBAL__N_110CustomProdEEEEE10hipError_tPvRmT0_T1_jT2_SS_T4_T3_P12ihipStream_tbEUlT_E_NS1_11comp_targetILNS1_3genE10ELNS1_11target_archE1201ELNS1_3gpuE5ELNS1_3repE0EEENS1_30default_config_static_selectorELNS0_4arch9wavefront6targetE0EEEvSR_.private_seg_size, 0
	.set _ZN7rocprim17ROCPRIM_400000_NS6detail17trampoline_kernelINS0_14default_configENS1_32segmented_reduce_config_selectorIN3c104HalfEEEZNS1_21segmented_reduce_implIS3_PKS6_PS6_PKlS6_N6hipcub16HIPCUB_304000_NS6detail27convert_result_type_wrapperISA_SB_N2at6native12_GLOBAL__N_110CustomProdEEEEE10hipError_tPvRmT0_T1_jT2_SS_T4_T3_P12ihipStream_tbEUlT_E_NS1_11comp_targetILNS1_3genE10ELNS1_11target_archE1201ELNS1_3gpuE5ELNS1_3repE0EEENS1_30default_config_static_selectorELNS0_4arch9wavefront6targetE0EEEvSR_.uses_vcc, 0
	.set _ZN7rocprim17ROCPRIM_400000_NS6detail17trampoline_kernelINS0_14default_configENS1_32segmented_reduce_config_selectorIN3c104HalfEEEZNS1_21segmented_reduce_implIS3_PKS6_PS6_PKlS6_N6hipcub16HIPCUB_304000_NS6detail27convert_result_type_wrapperISA_SB_N2at6native12_GLOBAL__N_110CustomProdEEEEE10hipError_tPvRmT0_T1_jT2_SS_T4_T3_P12ihipStream_tbEUlT_E_NS1_11comp_targetILNS1_3genE10ELNS1_11target_archE1201ELNS1_3gpuE5ELNS1_3repE0EEENS1_30default_config_static_selectorELNS0_4arch9wavefront6targetE0EEEvSR_.uses_flat_scratch, 0
	.set _ZN7rocprim17ROCPRIM_400000_NS6detail17trampoline_kernelINS0_14default_configENS1_32segmented_reduce_config_selectorIN3c104HalfEEEZNS1_21segmented_reduce_implIS3_PKS6_PS6_PKlS6_N6hipcub16HIPCUB_304000_NS6detail27convert_result_type_wrapperISA_SB_N2at6native12_GLOBAL__N_110CustomProdEEEEE10hipError_tPvRmT0_T1_jT2_SS_T4_T3_P12ihipStream_tbEUlT_E_NS1_11comp_targetILNS1_3genE10ELNS1_11target_archE1201ELNS1_3gpuE5ELNS1_3repE0EEENS1_30default_config_static_selectorELNS0_4arch9wavefront6targetE0EEEvSR_.has_dyn_sized_stack, 0
	.set _ZN7rocprim17ROCPRIM_400000_NS6detail17trampoline_kernelINS0_14default_configENS1_32segmented_reduce_config_selectorIN3c104HalfEEEZNS1_21segmented_reduce_implIS3_PKS6_PS6_PKlS6_N6hipcub16HIPCUB_304000_NS6detail27convert_result_type_wrapperISA_SB_N2at6native12_GLOBAL__N_110CustomProdEEEEE10hipError_tPvRmT0_T1_jT2_SS_T4_T3_P12ihipStream_tbEUlT_E_NS1_11comp_targetILNS1_3genE10ELNS1_11target_archE1201ELNS1_3gpuE5ELNS1_3repE0EEENS1_30default_config_static_selectorELNS0_4arch9wavefront6targetE0EEEvSR_.has_recursion, 0
	.set _ZN7rocprim17ROCPRIM_400000_NS6detail17trampoline_kernelINS0_14default_configENS1_32segmented_reduce_config_selectorIN3c104HalfEEEZNS1_21segmented_reduce_implIS3_PKS6_PS6_PKlS6_N6hipcub16HIPCUB_304000_NS6detail27convert_result_type_wrapperISA_SB_N2at6native12_GLOBAL__N_110CustomProdEEEEE10hipError_tPvRmT0_T1_jT2_SS_T4_T3_P12ihipStream_tbEUlT_E_NS1_11comp_targetILNS1_3genE10ELNS1_11target_archE1201ELNS1_3gpuE5ELNS1_3repE0EEENS1_30default_config_static_selectorELNS0_4arch9wavefront6targetE0EEEvSR_.has_indirect_call, 0
	.section	.AMDGPU.csdata,"",@progbits
; Kernel info:
; codeLenInByte = 0
; TotalNumSgprs: 0
; NumVgprs: 0
; ScratchSize: 0
; MemoryBound: 0
; FloatMode: 240
; IeeeMode: 1
; LDSByteSize: 0 bytes/workgroup (compile time only)
; SGPRBlocks: 0
; VGPRBlocks: 0
; NumSGPRsForWavesPerEU: 1
; NumVGPRsForWavesPerEU: 1
; NamedBarCnt: 0
; Occupancy: 16
; WaveLimiterHint : 0
; COMPUTE_PGM_RSRC2:SCRATCH_EN: 0
; COMPUTE_PGM_RSRC2:USER_SGPR: 2
; COMPUTE_PGM_RSRC2:TRAP_HANDLER: 0
; COMPUTE_PGM_RSRC2:TGID_X_EN: 1
; COMPUTE_PGM_RSRC2:TGID_Y_EN: 0
; COMPUTE_PGM_RSRC2:TGID_Z_EN: 0
; COMPUTE_PGM_RSRC2:TIDIG_COMP_CNT: 0
	.section	.text._ZN7rocprim17ROCPRIM_400000_NS6detail17trampoline_kernelINS0_14default_configENS1_32segmented_reduce_config_selectorIN3c104HalfEEEZNS1_21segmented_reduce_implIS3_PKS6_PS6_PKlS6_N6hipcub16HIPCUB_304000_NS6detail27convert_result_type_wrapperISA_SB_N2at6native12_GLOBAL__N_110CustomProdEEEEE10hipError_tPvRmT0_T1_jT2_SS_T4_T3_P12ihipStream_tbEUlT_E_NS1_11comp_targetILNS1_3genE4ELNS1_11target_archE910ELNS1_3gpuE8ELNS1_3repE0EEENS1_30default_config_static_selectorELNS0_4arch9wavefront6targetE0EEEvSR_,"axG",@progbits,_ZN7rocprim17ROCPRIM_400000_NS6detail17trampoline_kernelINS0_14default_configENS1_32segmented_reduce_config_selectorIN3c104HalfEEEZNS1_21segmented_reduce_implIS3_PKS6_PS6_PKlS6_N6hipcub16HIPCUB_304000_NS6detail27convert_result_type_wrapperISA_SB_N2at6native12_GLOBAL__N_110CustomProdEEEEE10hipError_tPvRmT0_T1_jT2_SS_T4_T3_P12ihipStream_tbEUlT_E_NS1_11comp_targetILNS1_3genE4ELNS1_11target_archE910ELNS1_3gpuE8ELNS1_3repE0EEENS1_30default_config_static_selectorELNS0_4arch9wavefront6targetE0EEEvSR_,comdat
	.globl	_ZN7rocprim17ROCPRIM_400000_NS6detail17trampoline_kernelINS0_14default_configENS1_32segmented_reduce_config_selectorIN3c104HalfEEEZNS1_21segmented_reduce_implIS3_PKS6_PS6_PKlS6_N6hipcub16HIPCUB_304000_NS6detail27convert_result_type_wrapperISA_SB_N2at6native12_GLOBAL__N_110CustomProdEEEEE10hipError_tPvRmT0_T1_jT2_SS_T4_T3_P12ihipStream_tbEUlT_E_NS1_11comp_targetILNS1_3genE4ELNS1_11target_archE910ELNS1_3gpuE8ELNS1_3repE0EEENS1_30default_config_static_selectorELNS0_4arch9wavefront6targetE0EEEvSR_ ; -- Begin function _ZN7rocprim17ROCPRIM_400000_NS6detail17trampoline_kernelINS0_14default_configENS1_32segmented_reduce_config_selectorIN3c104HalfEEEZNS1_21segmented_reduce_implIS3_PKS6_PS6_PKlS6_N6hipcub16HIPCUB_304000_NS6detail27convert_result_type_wrapperISA_SB_N2at6native12_GLOBAL__N_110CustomProdEEEEE10hipError_tPvRmT0_T1_jT2_SS_T4_T3_P12ihipStream_tbEUlT_E_NS1_11comp_targetILNS1_3genE4ELNS1_11target_archE910ELNS1_3gpuE8ELNS1_3repE0EEENS1_30default_config_static_selectorELNS0_4arch9wavefront6targetE0EEEvSR_
	.p2align	8
	.type	_ZN7rocprim17ROCPRIM_400000_NS6detail17trampoline_kernelINS0_14default_configENS1_32segmented_reduce_config_selectorIN3c104HalfEEEZNS1_21segmented_reduce_implIS3_PKS6_PS6_PKlS6_N6hipcub16HIPCUB_304000_NS6detail27convert_result_type_wrapperISA_SB_N2at6native12_GLOBAL__N_110CustomProdEEEEE10hipError_tPvRmT0_T1_jT2_SS_T4_T3_P12ihipStream_tbEUlT_E_NS1_11comp_targetILNS1_3genE4ELNS1_11target_archE910ELNS1_3gpuE8ELNS1_3repE0EEENS1_30default_config_static_selectorELNS0_4arch9wavefront6targetE0EEEvSR_,@function
_ZN7rocprim17ROCPRIM_400000_NS6detail17trampoline_kernelINS0_14default_configENS1_32segmented_reduce_config_selectorIN3c104HalfEEEZNS1_21segmented_reduce_implIS3_PKS6_PS6_PKlS6_N6hipcub16HIPCUB_304000_NS6detail27convert_result_type_wrapperISA_SB_N2at6native12_GLOBAL__N_110CustomProdEEEEE10hipError_tPvRmT0_T1_jT2_SS_T4_T3_P12ihipStream_tbEUlT_E_NS1_11comp_targetILNS1_3genE4ELNS1_11target_archE910ELNS1_3gpuE8ELNS1_3repE0EEENS1_30default_config_static_selectorELNS0_4arch9wavefront6targetE0EEEvSR_: ; @_ZN7rocprim17ROCPRIM_400000_NS6detail17trampoline_kernelINS0_14default_configENS1_32segmented_reduce_config_selectorIN3c104HalfEEEZNS1_21segmented_reduce_implIS3_PKS6_PS6_PKlS6_N6hipcub16HIPCUB_304000_NS6detail27convert_result_type_wrapperISA_SB_N2at6native12_GLOBAL__N_110CustomProdEEEEE10hipError_tPvRmT0_T1_jT2_SS_T4_T3_P12ihipStream_tbEUlT_E_NS1_11comp_targetILNS1_3genE4ELNS1_11target_archE910ELNS1_3gpuE8ELNS1_3repE0EEENS1_30default_config_static_selectorELNS0_4arch9wavefront6targetE0EEEvSR_
; %bb.0:
	.section	.rodata,"a",@progbits
	.p2align	6, 0x0
	.amdhsa_kernel _ZN7rocprim17ROCPRIM_400000_NS6detail17trampoline_kernelINS0_14default_configENS1_32segmented_reduce_config_selectorIN3c104HalfEEEZNS1_21segmented_reduce_implIS3_PKS6_PS6_PKlS6_N6hipcub16HIPCUB_304000_NS6detail27convert_result_type_wrapperISA_SB_N2at6native12_GLOBAL__N_110CustomProdEEEEE10hipError_tPvRmT0_T1_jT2_SS_T4_T3_P12ihipStream_tbEUlT_E_NS1_11comp_targetILNS1_3genE4ELNS1_11target_archE910ELNS1_3gpuE8ELNS1_3repE0EEENS1_30default_config_static_selectorELNS0_4arch9wavefront6targetE0EEEvSR_
		.amdhsa_group_segment_fixed_size 0
		.amdhsa_private_segment_fixed_size 0
		.amdhsa_kernarg_size 48
		.amdhsa_user_sgpr_count 2
		.amdhsa_user_sgpr_dispatch_ptr 0
		.amdhsa_user_sgpr_queue_ptr 0
		.amdhsa_user_sgpr_kernarg_segment_ptr 1
		.amdhsa_user_sgpr_dispatch_id 0
		.amdhsa_user_sgpr_kernarg_preload_length 0
		.amdhsa_user_sgpr_kernarg_preload_offset 0
		.amdhsa_user_sgpr_private_segment_size 0
		.amdhsa_wavefront_size32 1
		.amdhsa_uses_dynamic_stack 0
		.amdhsa_enable_private_segment 0
		.amdhsa_system_sgpr_workgroup_id_x 1
		.amdhsa_system_sgpr_workgroup_id_y 0
		.amdhsa_system_sgpr_workgroup_id_z 0
		.amdhsa_system_sgpr_workgroup_info 0
		.amdhsa_system_vgpr_workitem_id 0
		.amdhsa_next_free_vgpr 1
		.amdhsa_next_free_sgpr 1
		.amdhsa_named_barrier_count 0
		.amdhsa_reserve_vcc 0
		.amdhsa_float_round_mode_32 0
		.amdhsa_float_round_mode_16_64 0
		.amdhsa_float_denorm_mode_32 3
		.amdhsa_float_denorm_mode_16_64 3
		.amdhsa_fp16_overflow 0
		.amdhsa_memory_ordered 1
		.amdhsa_forward_progress 1
		.amdhsa_inst_pref_size 0
		.amdhsa_round_robin_scheduling 0
		.amdhsa_exception_fp_ieee_invalid_op 0
		.amdhsa_exception_fp_denorm_src 0
		.amdhsa_exception_fp_ieee_div_zero 0
		.amdhsa_exception_fp_ieee_overflow 0
		.amdhsa_exception_fp_ieee_underflow 0
		.amdhsa_exception_fp_ieee_inexact 0
		.amdhsa_exception_int_div_zero 0
	.end_amdhsa_kernel
	.section	.text._ZN7rocprim17ROCPRIM_400000_NS6detail17trampoline_kernelINS0_14default_configENS1_32segmented_reduce_config_selectorIN3c104HalfEEEZNS1_21segmented_reduce_implIS3_PKS6_PS6_PKlS6_N6hipcub16HIPCUB_304000_NS6detail27convert_result_type_wrapperISA_SB_N2at6native12_GLOBAL__N_110CustomProdEEEEE10hipError_tPvRmT0_T1_jT2_SS_T4_T3_P12ihipStream_tbEUlT_E_NS1_11comp_targetILNS1_3genE4ELNS1_11target_archE910ELNS1_3gpuE8ELNS1_3repE0EEENS1_30default_config_static_selectorELNS0_4arch9wavefront6targetE0EEEvSR_,"axG",@progbits,_ZN7rocprim17ROCPRIM_400000_NS6detail17trampoline_kernelINS0_14default_configENS1_32segmented_reduce_config_selectorIN3c104HalfEEEZNS1_21segmented_reduce_implIS3_PKS6_PS6_PKlS6_N6hipcub16HIPCUB_304000_NS6detail27convert_result_type_wrapperISA_SB_N2at6native12_GLOBAL__N_110CustomProdEEEEE10hipError_tPvRmT0_T1_jT2_SS_T4_T3_P12ihipStream_tbEUlT_E_NS1_11comp_targetILNS1_3genE4ELNS1_11target_archE910ELNS1_3gpuE8ELNS1_3repE0EEENS1_30default_config_static_selectorELNS0_4arch9wavefront6targetE0EEEvSR_,comdat
.Lfunc_end241:
	.size	_ZN7rocprim17ROCPRIM_400000_NS6detail17trampoline_kernelINS0_14default_configENS1_32segmented_reduce_config_selectorIN3c104HalfEEEZNS1_21segmented_reduce_implIS3_PKS6_PS6_PKlS6_N6hipcub16HIPCUB_304000_NS6detail27convert_result_type_wrapperISA_SB_N2at6native12_GLOBAL__N_110CustomProdEEEEE10hipError_tPvRmT0_T1_jT2_SS_T4_T3_P12ihipStream_tbEUlT_E_NS1_11comp_targetILNS1_3genE4ELNS1_11target_archE910ELNS1_3gpuE8ELNS1_3repE0EEENS1_30default_config_static_selectorELNS0_4arch9wavefront6targetE0EEEvSR_, .Lfunc_end241-_ZN7rocprim17ROCPRIM_400000_NS6detail17trampoline_kernelINS0_14default_configENS1_32segmented_reduce_config_selectorIN3c104HalfEEEZNS1_21segmented_reduce_implIS3_PKS6_PS6_PKlS6_N6hipcub16HIPCUB_304000_NS6detail27convert_result_type_wrapperISA_SB_N2at6native12_GLOBAL__N_110CustomProdEEEEE10hipError_tPvRmT0_T1_jT2_SS_T4_T3_P12ihipStream_tbEUlT_E_NS1_11comp_targetILNS1_3genE4ELNS1_11target_archE910ELNS1_3gpuE8ELNS1_3repE0EEENS1_30default_config_static_selectorELNS0_4arch9wavefront6targetE0EEEvSR_
                                        ; -- End function
	.set _ZN7rocprim17ROCPRIM_400000_NS6detail17trampoline_kernelINS0_14default_configENS1_32segmented_reduce_config_selectorIN3c104HalfEEEZNS1_21segmented_reduce_implIS3_PKS6_PS6_PKlS6_N6hipcub16HIPCUB_304000_NS6detail27convert_result_type_wrapperISA_SB_N2at6native12_GLOBAL__N_110CustomProdEEEEE10hipError_tPvRmT0_T1_jT2_SS_T4_T3_P12ihipStream_tbEUlT_E_NS1_11comp_targetILNS1_3genE4ELNS1_11target_archE910ELNS1_3gpuE8ELNS1_3repE0EEENS1_30default_config_static_selectorELNS0_4arch9wavefront6targetE0EEEvSR_.num_vgpr, 0
	.set _ZN7rocprim17ROCPRIM_400000_NS6detail17trampoline_kernelINS0_14default_configENS1_32segmented_reduce_config_selectorIN3c104HalfEEEZNS1_21segmented_reduce_implIS3_PKS6_PS6_PKlS6_N6hipcub16HIPCUB_304000_NS6detail27convert_result_type_wrapperISA_SB_N2at6native12_GLOBAL__N_110CustomProdEEEEE10hipError_tPvRmT0_T1_jT2_SS_T4_T3_P12ihipStream_tbEUlT_E_NS1_11comp_targetILNS1_3genE4ELNS1_11target_archE910ELNS1_3gpuE8ELNS1_3repE0EEENS1_30default_config_static_selectorELNS0_4arch9wavefront6targetE0EEEvSR_.num_agpr, 0
	.set _ZN7rocprim17ROCPRIM_400000_NS6detail17trampoline_kernelINS0_14default_configENS1_32segmented_reduce_config_selectorIN3c104HalfEEEZNS1_21segmented_reduce_implIS3_PKS6_PS6_PKlS6_N6hipcub16HIPCUB_304000_NS6detail27convert_result_type_wrapperISA_SB_N2at6native12_GLOBAL__N_110CustomProdEEEEE10hipError_tPvRmT0_T1_jT2_SS_T4_T3_P12ihipStream_tbEUlT_E_NS1_11comp_targetILNS1_3genE4ELNS1_11target_archE910ELNS1_3gpuE8ELNS1_3repE0EEENS1_30default_config_static_selectorELNS0_4arch9wavefront6targetE0EEEvSR_.numbered_sgpr, 0
	.set _ZN7rocprim17ROCPRIM_400000_NS6detail17trampoline_kernelINS0_14default_configENS1_32segmented_reduce_config_selectorIN3c104HalfEEEZNS1_21segmented_reduce_implIS3_PKS6_PS6_PKlS6_N6hipcub16HIPCUB_304000_NS6detail27convert_result_type_wrapperISA_SB_N2at6native12_GLOBAL__N_110CustomProdEEEEE10hipError_tPvRmT0_T1_jT2_SS_T4_T3_P12ihipStream_tbEUlT_E_NS1_11comp_targetILNS1_3genE4ELNS1_11target_archE910ELNS1_3gpuE8ELNS1_3repE0EEENS1_30default_config_static_selectorELNS0_4arch9wavefront6targetE0EEEvSR_.num_named_barrier, 0
	.set _ZN7rocprim17ROCPRIM_400000_NS6detail17trampoline_kernelINS0_14default_configENS1_32segmented_reduce_config_selectorIN3c104HalfEEEZNS1_21segmented_reduce_implIS3_PKS6_PS6_PKlS6_N6hipcub16HIPCUB_304000_NS6detail27convert_result_type_wrapperISA_SB_N2at6native12_GLOBAL__N_110CustomProdEEEEE10hipError_tPvRmT0_T1_jT2_SS_T4_T3_P12ihipStream_tbEUlT_E_NS1_11comp_targetILNS1_3genE4ELNS1_11target_archE910ELNS1_3gpuE8ELNS1_3repE0EEENS1_30default_config_static_selectorELNS0_4arch9wavefront6targetE0EEEvSR_.private_seg_size, 0
	.set _ZN7rocprim17ROCPRIM_400000_NS6detail17trampoline_kernelINS0_14default_configENS1_32segmented_reduce_config_selectorIN3c104HalfEEEZNS1_21segmented_reduce_implIS3_PKS6_PS6_PKlS6_N6hipcub16HIPCUB_304000_NS6detail27convert_result_type_wrapperISA_SB_N2at6native12_GLOBAL__N_110CustomProdEEEEE10hipError_tPvRmT0_T1_jT2_SS_T4_T3_P12ihipStream_tbEUlT_E_NS1_11comp_targetILNS1_3genE4ELNS1_11target_archE910ELNS1_3gpuE8ELNS1_3repE0EEENS1_30default_config_static_selectorELNS0_4arch9wavefront6targetE0EEEvSR_.uses_vcc, 0
	.set _ZN7rocprim17ROCPRIM_400000_NS6detail17trampoline_kernelINS0_14default_configENS1_32segmented_reduce_config_selectorIN3c104HalfEEEZNS1_21segmented_reduce_implIS3_PKS6_PS6_PKlS6_N6hipcub16HIPCUB_304000_NS6detail27convert_result_type_wrapperISA_SB_N2at6native12_GLOBAL__N_110CustomProdEEEEE10hipError_tPvRmT0_T1_jT2_SS_T4_T3_P12ihipStream_tbEUlT_E_NS1_11comp_targetILNS1_3genE4ELNS1_11target_archE910ELNS1_3gpuE8ELNS1_3repE0EEENS1_30default_config_static_selectorELNS0_4arch9wavefront6targetE0EEEvSR_.uses_flat_scratch, 0
	.set _ZN7rocprim17ROCPRIM_400000_NS6detail17trampoline_kernelINS0_14default_configENS1_32segmented_reduce_config_selectorIN3c104HalfEEEZNS1_21segmented_reduce_implIS3_PKS6_PS6_PKlS6_N6hipcub16HIPCUB_304000_NS6detail27convert_result_type_wrapperISA_SB_N2at6native12_GLOBAL__N_110CustomProdEEEEE10hipError_tPvRmT0_T1_jT2_SS_T4_T3_P12ihipStream_tbEUlT_E_NS1_11comp_targetILNS1_3genE4ELNS1_11target_archE910ELNS1_3gpuE8ELNS1_3repE0EEENS1_30default_config_static_selectorELNS0_4arch9wavefront6targetE0EEEvSR_.has_dyn_sized_stack, 0
	.set _ZN7rocprim17ROCPRIM_400000_NS6detail17trampoline_kernelINS0_14default_configENS1_32segmented_reduce_config_selectorIN3c104HalfEEEZNS1_21segmented_reduce_implIS3_PKS6_PS6_PKlS6_N6hipcub16HIPCUB_304000_NS6detail27convert_result_type_wrapperISA_SB_N2at6native12_GLOBAL__N_110CustomProdEEEEE10hipError_tPvRmT0_T1_jT2_SS_T4_T3_P12ihipStream_tbEUlT_E_NS1_11comp_targetILNS1_3genE4ELNS1_11target_archE910ELNS1_3gpuE8ELNS1_3repE0EEENS1_30default_config_static_selectorELNS0_4arch9wavefront6targetE0EEEvSR_.has_recursion, 0
	.set _ZN7rocprim17ROCPRIM_400000_NS6detail17trampoline_kernelINS0_14default_configENS1_32segmented_reduce_config_selectorIN3c104HalfEEEZNS1_21segmented_reduce_implIS3_PKS6_PS6_PKlS6_N6hipcub16HIPCUB_304000_NS6detail27convert_result_type_wrapperISA_SB_N2at6native12_GLOBAL__N_110CustomProdEEEEE10hipError_tPvRmT0_T1_jT2_SS_T4_T3_P12ihipStream_tbEUlT_E_NS1_11comp_targetILNS1_3genE4ELNS1_11target_archE910ELNS1_3gpuE8ELNS1_3repE0EEENS1_30default_config_static_selectorELNS0_4arch9wavefront6targetE0EEEvSR_.has_indirect_call, 0
	.section	.AMDGPU.csdata,"",@progbits
; Kernel info:
; codeLenInByte = 0
; TotalNumSgprs: 0
; NumVgprs: 0
; ScratchSize: 0
; MemoryBound: 0
; FloatMode: 240
; IeeeMode: 1
; LDSByteSize: 0 bytes/workgroup (compile time only)
; SGPRBlocks: 0
; VGPRBlocks: 0
; NumSGPRsForWavesPerEU: 1
; NumVGPRsForWavesPerEU: 1
; NamedBarCnt: 0
; Occupancy: 16
; WaveLimiterHint : 0
; COMPUTE_PGM_RSRC2:SCRATCH_EN: 0
; COMPUTE_PGM_RSRC2:USER_SGPR: 2
; COMPUTE_PGM_RSRC2:TRAP_HANDLER: 0
; COMPUTE_PGM_RSRC2:TGID_X_EN: 1
; COMPUTE_PGM_RSRC2:TGID_Y_EN: 0
; COMPUTE_PGM_RSRC2:TGID_Z_EN: 0
; COMPUTE_PGM_RSRC2:TIDIG_COMP_CNT: 0
	.section	.text._ZN7rocprim17ROCPRIM_400000_NS6detail17trampoline_kernelINS0_14default_configENS1_32segmented_reduce_config_selectorIN3c104HalfEEEZNS1_21segmented_reduce_implIS3_PKS6_PS6_PKlS6_N6hipcub16HIPCUB_304000_NS6detail27convert_result_type_wrapperISA_SB_N2at6native12_GLOBAL__N_110CustomProdEEEEE10hipError_tPvRmT0_T1_jT2_SS_T4_T3_P12ihipStream_tbEUlT_E_NS1_11comp_targetILNS1_3genE3ELNS1_11target_archE908ELNS1_3gpuE7ELNS1_3repE0EEENS1_30default_config_static_selectorELNS0_4arch9wavefront6targetE0EEEvSR_,"axG",@progbits,_ZN7rocprim17ROCPRIM_400000_NS6detail17trampoline_kernelINS0_14default_configENS1_32segmented_reduce_config_selectorIN3c104HalfEEEZNS1_21segmented_reduce_implIS3_PKS6_PS6_PKlS6_N6hipcub16HIPCUB_304000_NS6detail27convert_result_type_wrapperISA_SB_N2at6native12_GLOBAL__N_110CustomProdEEEEE10hipError_tPvRmT0_T1_jT2_SS_T4_T3_P12ihipStream_tbEUlT_E_NS1_11comp_targetILNS1_3genE3ELNS1_11target_archE908ELNS1_3gpuE7ELNS1_3repE0EEENS1_30default_config_static_selectorELNS0_4arch9wavefront6targetE0EEEvSR_,comdat
	.globl	_ZN7rocprim17ROCPRIM_400000_NS6detail17trampoline_kernelINS0_14default_configENS1_32segmented_reduce_config_selectorIN3c104HalfEEEZNS1_21segmented_reduce_implIS3_PKS6_PS6_PKlS6_N6hipcub16HIPCUB_304000_NS6detail27convert_result_type_wrapperISA_SB_N2at6native12_GLOBAL__N_110CustomProdEEEEE10hipError_tPvRmT0_T1_jT2_SS_T4_T3_P12ihipStream_tbEUlT_E_NS1_11comp_targetILNS1_3genE3ELNS1_11target_archE908ELNS1_3gpuE7ELNS1_3repE0EEENS1_30default_config_static_selectorELNS0_4arch9wavefront6targetE0EEEvSR_ ; -- Begin function _ZN7rocprim17ROCPRIM_400000_NS6detail17trampoline_kernelINS0_14default_configENS1_32segmented_reduce_config_selectorIN3c104HalfEEEZNS1_21segmented_reduce_implIS3_PKS6_PS6_PKlS6_N6hipcub16HIPCUB_304000_NS6detail27convert_result_type_wrapperISA_SB_N2at6native12_GLOBAL__N_110CustomProdEEEEE10hipError_tPvRmT0_T1_jT2_SS_T4_T3_P12ihipStream_tbEUlT_E_NS1_11comp_targetILNS1_3genE3ELNS1_11target_archE908ELNS1_3gpuE7ELNS1_3repE0EEENS1_30default_config_static_selectorELNS0_4arch9wavefront6targetE0EEEvSR_
	.p2align	8
	.type	_ZN7rocprim17ROCPRIM_400000_NS6detail17trampoline_kernelINS0_14default_configENS1_32segmented_reduce_config_selectorIN3c104HalfEEEZNS1_21segmented_reduce_implIS3_PKS6_PS6_PKlS6_N6hipcub16HIPCUB_304000_NS6detail27convert_result_type_wrapperISA_SB_N2at6native12_GLOBAL__N_110CustomProdEEEEE10hipError_tPvRmT0_T1_jT2_SS_T4_T3_P12ihipStream_tbEUlT_E_NS1_11comp_targetILNS1_3genE3ELNS1_11target_archE908ELNS1_3gpuE7ELNS1_3repE0EEENS1_30default_config_static_selectorELNS0_4arch9wavefront6targetE0EEEvSR_,@function
_ZN7rocprim17ROCPRIM_400000_NS6detail17trampoline_kernelINS0_14default_configENS1_32segmented_reduce_config_selectorIN3c104HalfEEEZNS1_21segmented_reduce_implIS3_PKS6_PS6_PKlS6_N6hipcub16HIPCUB_304000_NS6detail27convert_result_type_wrapperISA_SB_N2at6native12_GLOBAL__N_110CustomProdEEEEE10hipError_tPvRmT0_T1_jT2_SS_T4_T3_P12ihipStream_tbEUlT_E_NS1_11comp_targetILNS1_3genE3ELNS1_11target_archE908ELNS1_3gpuE7ELNS1_3repE0EEENS1_30default_config_static_selectorELNS0_4arch9wavefront6targetE0EEEvSR_: ; @_ZN7rocprim17ROCPRIM_400000_NS6detail17trampoline_kernelINS0_14default_configENS1_32segmented_reduce_config_selectorIN3c104HalfEEEZNS1_21segmented_reduce_implIS3_PKS6_PS6_PKlS6_N6hipcub16HIPCUB_304000_NS6detail27convert_result_type_wrapperISA_SB_N2at6native12_GLOBAL__N_110CustomProdEEEEE10hipError_tPvRmT0_T1_jT2_SS_T4_T3_P12ihipStream_tbEUlT_E_NS1_11comp_targetILNS1_3genE3ELNS1_11target_archE908ELNS1_3gpuE7ELNS1_3repE0EEENS1_30default_config_static_selectorELNS0_4arch9wavefront6targetE0EEEvSR_
; %bb.0:
	.section	.rodata,"a",@progbits
	.p2align	6, 0x0
	.amdhsa_kernel _ZN7rocprim17ROCPRIM_400000_NS6detail17trampoline_kernelINS0_14default_configENS1_32segmented_reduce_config_selectorIN3c104HalfEEEZNS1_21segmented_reduce_implIS3_PKS6_PS6_PKlS6_N6hipcub16HIPCUB_304000_NS6detail27convert_result_type_wrapperISA_SB_N2at6native12_GLOBAL__N_110CustomProdEEEEE10hipError_tPvRmT0_T1_jT2_SS_T4_T3_P12ihipStream_tbEUlT_E_NS1_11comp_targetILNS1_3genE3ELNS1_11target_archE908ELNS1_3gpuE7ELNS1_3repE0EEENS1_30default_config_static_selectorELNS0_4arch9wavefront6targetE0EEEvSR_
		.amdhsa_group_segment_fixed_size 0
		.amdhsa_private_segment_fixed_size 0
		.amdhsa_kernarg_size 48
		.amdhsa_user_sgpr_count 2
		.amdhsa_user_sgpr_dispatch_ptr 0
		.amdhsa_user_sgpr_queue_ptr 0
		.amdhsa_user_sgpr_kernarg_segment_ptr 1
		.amdhsa_user_sgpr_dispatch_id 0
		.amdhsa_user_sgpr_kernarg_preload_length 0
		.amdhsa_user_sgpr_kernarg_preload_offset 0
		.amdhsa_user_sgpr_private_segment_size 0
		.amdhsa_wavefront_size32 1
		.amdhsa_uses_dynamic_stack 0
		.amdhsa_enable_private_segment 0
		.amdhsa_system_sgpr_workgroup_id_x 1
		.amdhsa_system_sgpr_workgroup_id_y 0
		.amdhsa_system_sgpr_workgroup_id_z 0
		.amdhsa_system_sgpr_workgroup_info 0
		.amdhsa_system_vgpr_workitem_id 0
		.amdhsa_next_free_vgpr 1
		.amdhsa_next_free_sgpr 1
		.amdhsa_named_barrier_count 0
		.amdhsa_reserve_vcc 0
		.amdhsa_float_round_mode_32 0
		.amdhsa_float_round_mode_16_64 0
		.amdhsa_float_denorm_mode_32 3
		.amdhsa_float_denorm_mode_16_64 3
		.amdhsa_fp16_overflow 0
		.amdhsa_memory_ordered 1
		.amdhsa_forward_progress 1
		.amdhsa_inst_pref_size 0
		.amdhsa_round_robin_scheduling 0
		.amdhsa_exception_fp_ieee_invalid_op 0
		.amdhsa_exception_fp_denorm_src 0
		.amdhsa_exception_fp_ieee_div_zero 0
		.amdhsa_exception_fp_ieee_overflow 0
		.amdhsa_exception_fp_ieee_underflow 0
		.amdhsa_exception_fp_ieee_inexact 0
		.amdhsa_exception_int_div_zero 0
	.end_amdhsa_kernel
	.section	.text._ZN7rocprim17ROCPRIM_400000_NS6detail17trampoline_kernelINS0_14default_configENS1_32segmented_reduce_config_selectorIN3c104HalfEEEZNS1_21segmented_reduce_implIS3_PKS6_PS6_PKlS6_N6hipcub16HIPCUB_304000_NS6detail27convert_result_type_wrapperISA_SB_N2at6native12_GLOBAL__N_110CustomProdEEEEE10hipError_tPvRmT0_T1_jT2_SS_T4_T3_P12ihipStream_tbEUlT_E_NS1_11comp_targetILNS1_3genE3ELNS1_11target_archE908ELNS1_3gpuE7ELNS1_3repE0EEENS1_30default_config_static_selectorELNS0_4arch9wavefront6targetE0EEEvSR_,"axG",@progbits,_ZN7rocprim17ROCPRIM_400000_NS6detail17trampoline_kernelINS0_14default_configENS1_32segmented_reduce_config_selectorIN3c104HalfEEEZNS1_21segmented_reduce_implIS3_PKS6_PS6_PKlS6_N6hipcub16HIPCUB_304000_NS6detail27convert_result_type_wrapperISA_SB_N2at6native12_GLOBAL__N_110CustomProdEEEEE10hipError_tPvRmT0_T1_jT2_SS_T4_T3_P12ihipStream_tbEUlT_E_NS1_11comp_targetILNS1_3genE3ELNS1_11target_archE908ELNS1_3gpuE7ELNS1_3repE0EEENS1_30default_config_static_selectorELNS0_4arch9wavefront6targetE0EEEvSR_,comdat
.Lfunc_end242:
	.size	_ZN7rocprim17ROCPRIM_400000_NS6detail17trampoline_kernelINS0_14default_configENS1_32segmented_reduce_config_selectorIN3c104HalfEEEZNS1_21segmented_reduce_implIS3_PKS6_PS6_PKlS6_N6hipcub16HIPCUB_304000_NS6detail27convert_result_type_wrapperISA_SB_N2at6native12_GLOBAL__N_110CustomProdEEEEE10hipError_tPvRmT0_T1_jT2_SS_T4_T3_P12ihipStream_tbEUlT_E_NS1_11comp_targetILNS1_3genE3ELNS1_11target_archE908ELNS1_3gpuE7ELNS1_3repE0EEENS1_30default_config_static_selectorELNS0_4arch9wavefront6targetE0EEEvSR_, .Lfunc_end242-_ZN7rocprim17ROCPRIM_400000_NS6detail17trampoline_kernelINS0_14default_configENS1_32segmented_reduce_config_selectorIN3c104HalfEEEZNS1_21segmented_reduce_implIS3_PKS6_PS6_PKlS6_N6hipcub16HIPCUB_304000_NS6detail27convert_result_type_wrapperISA_SB_N2at6native12_GLOBAL__N_110CustomProdEEEEE10hipError_tPvRmT0_T1_jT2_SS_T4_T3_P12ihipStream_tbEUlT_E_NS1_11comp_targetILNS1_3genE3ELNS1_11target_archE908ELNS1_3gpuE7ELNS1_3repE0EEENS1_30default_config_static_selectorELNS0_4arch9wavefront6targetE0EEEvSR_
                                        ; -- End function
	.set _ZN7rocprim17ROCPRIM_400000_NS6detail17trampoline_kernelINS0_14default_configENS1_32segmented_reduce_config_selectorIN3c104HalfEEEZNS1_21segmented_reduce_implIS3_PKS6_PS6_PKlS6_N6hipcub16HIPCUB_304000_NS6detail27convert_result_type_wrapperISA_SB_N2at6native12_GLOBAL__N_110CustomProdEEEEE10hipError_tPvRmT0_T1_jT2_SS_T4_T3_P12ihipStream_tbEUlT_E_NS1_11comp_targetILNS1_3genE3ELNS1_11target_archE908ELNS1_3gpuE7ELNS1_3repE0EEENS1_30default_config_static_selectorELNS0_4arch9wavefront6targetE0EEEvSR_.num_vgpr, 0
	.set _ZN7rocprim17ROCPRIM_400000_NS6detail17trampoline_kernelINS0_14default_configENS1_32segmented_reduce_config_selectorIN3c104HalfEEEZNS1_21segmented_reduce_implIS3_PKS6_PS6_PKlS6_N6hipcub16HIPCUB_304000_NS6detail27convert_result_type_wrapperISA_SB_N2at6native12_GLOBAL__N_110CustomProdEEEEE10hipError_tPvRmT0_T1_jT2_SS_T4_T3_P12ihipStream_tbEUlT_E_NS1_11comp_targetILNS1_3genE3ELNS1_11target_archE908ELNS1_3gpuE7ELNS1_3repE0EEENS1_30default_config_static_selectorELNS0_4arch9wavefront6targetE0EEEvSR_.num_agpr, 0
	.set _ZN7rocprim17ROCPRIM_400000_NS6detail17trampoline_kernelINS0_14default_configENS1_32segmented_reduce_config_selectorIN3c104HalfEEEZNS1_21segmented_reduce_implIS3_PKS6_PS6_PKlS6_N6hipcub16HIPCUB_304000_NS6detail27convert_result_type_wrapperISA_SB_N2at6native12_GLOBAL__N_110CustomProdEEEEE10hipError_tPvRmT0_T1_jT2_SS_T4_T3_P12ihipStream_tbEUlT_E_NS1_11comp_targetILNS1_3genE3ELNS1_11target_archE908ELNS1_3gpuE7ELNS1_3repE0EEENS1_30default_config_static_selectorELNS0_4arch9wavefront6targetE0EEEvSR_.numbered_sgpr, 0
	.set _ZN7rocprim17ROCPRIM_400000_NS6detail17trampoline_kernelINS0_14default_configENS1_32segmented_reduce_config_selectorIN3c104HalfEEEZNS1_21segmented_reduce_implIS3_PKS6_PS6_PKlS6_N6hipcub16HIPCUB_304000_NS6detail27convert_result_type_wrapperISA_SB_N2at6native12_GLOBAL__N_110CustomProdEEEEE10hipError_tPvRmT0_T1_jT2_SS_T4_T3_P12ihipStream_tbEUlT_E_NS1_11comp_targetILNS1_3genE3ELNS1_11target_archE908ELNS1_3gpuE7ELNS1_3repE0EEENS1_30default_config_static_selectorELNS0_4arch9wavefront6targetE0EEEvSR_.num_named_barrier, 0
	.set _ZN7rocprim17ROCPRIM_400000_NS6detail17trampoline_kernelINS0_14default_configENS1_32segmented_reduce_config_selectorIN3c104HalfEEEZNS1_21segmented_reduce_implIS3_PKS6_PS6_PKlS6_N6hipcub16HIPCUB_304000_NS6detail27convert_result_type_wrapperISA_SB_N2at6native12_GLOBAL__N_110CustomProdEEEEE10hipError_tPvRmT0_T1_jT2_SS_T4_T3_P12ihipStream_tbEUlT_E_NS1_11comp_targetILNS1_3genE3ELNS1_11target_archE908ELNS1_3gpuE7ELNS1_3repE0EEENS1_30default_config_static_selectorELNS0_4arch9wavefront6targetE0EEEvSR_.private_seg_size, 0
	.set _ZN7rocprim17ROCPRIM_400000_NS6detail17trampoline_kernelINS0_14default_configENS1_32segmented_reduce_config_selectorIN3c104HalfEEEZNS1_21segmented_reduce_implIS3_PKS6_PS6_PKlS6_N6hipcub16HIPCUB_304000_NS6detail27convert_result_type_wrapperISA_SB_N2at6native12_GLOBAL__N_110CustomProdEEEEE10hipError_tPvRmT0_T1_jT2_SS_T4_T3_P12ihipStream_tbEUlT_E_NS1_11comp_targetILNS1_3genE3ELNS1_11target_archE908ELNS1_3gpuE7ELNS1_3repE0EEENS1_30default_config_static_selectorELNS0_4arch9wavefront6targetE0EEEvSR_.uses_vcc, 0
	.set _ZN7rocprim17ROCPRIM_400000_NS6detail17trampoline_kernelINS0_14default_configENS1_32segmented_reduce_config_selectorIN3c104HalfEEEZNS1_21segmented_reduce_implIS3_PKS6_PS6_PKlS6_N6hipcub16HIPCUB_304000_NS6detail27convert_result_type_wrapperISA_SB_N2at6native12_GLOBAL__N_110CustomProdEEEEE10hipError_tPvRmT0_T1_jT2_SS_T4_T3_P12ihipStream_tbEUlT_E_NS1_11comp_targetILNS1_3genE3ELNS1_11target_archE908ELNS1_3gpuE7ELNS1_3repE0EEENS1_30default_config_static_selectorELNS0_4arch9wavefront6targetE0EEEvSR_.uses_flat_scratch, 0
	.set _ZN7rocprim17ROCPRIM_400000_NS6detail17trampoline_kernelINS0_14default_configENS1_32segmented_reduce_config_selectorIN3c104HalfEEEZNS1_21segmented_reduce_implIS3_PKS6_PS6_PKlS6_N6hipcub16HIPCUB_304000_NS6detail27convert_result_type_wrapperISA_SB_N2at6native12_GLOBAL__N_110CustomProdEEEEE10hipError_tPvRmT0_T1_jT2_SS_T4_T3_P12ihipStream_tbEUlT_E_NS1_11comp_targetILNS1_3genE3ELNS1_11target_archE908ELNS1_3gpuE7ELNS1_3repE0EEENS1_30default_config_static_selectorELNS0_4arch9wavefront6targetE0EEEvSR_.has_dyn_sized_stack, 0
	.set _ZN7rocprim17ROCPRIM_400000_NS6detail17trampoline_kernelINS0_14default_configENS1_32segmented_reduce_config_selectorIN3c104HalfEEEZNS1_21segmented_reduce_implIS3_PKS6_PS6_PKlS6_N6hipcub16HIPCUB_304000_NS6detail27convert_result_type_wrapperISA_SB_N2at6native12_GLOBAL__N_110CustomProdEEEEE10hipError_tPvRmT0_T1_jT2_SS_T4_T3_P12ihipStream_tbEUlT_E_NS1_11comp_targetILNS1_3genE3ELNS1_11target_archE908ELNS1_3gpuE7ELNS1_3repE0EEENS1_30default_config_static_selectorELNS0_4arch9wavefront6targetE0EEEvSR_.has_recursion, 0
	.set _ZN7rocprim17ROCPRIM_400000_NS6detail17trampoline_kernelINS0_14default_configENS1_32segmented_reduce_config_selectorIN3c104HalfEEEZNS1_21segmented_reduce_implIS3_PKS6_PS6_PKlS6_N6hipcub16HIPCUB_304000_NS6detail27convert_result_type_wrapperISA_SB_N2at6native12_GLOBAL__N_110CustomProdEEEEE10hipError_tPvRmT0_T1_jT2_SS_T4_T3_P12ihipStream_tbEUlT_E_NS1_11comp_targetILNS1_3genE3ELNS1_11target_archE908ELNS1_3gpuE7ELNS1_3repE0EEENS1_30default_config_static_selectorELNS0_4arch9wavefront6targetE0EEEvSR_.has_indirect_call, 0
	.section	.AMDGPU.csdata,"",@progbits
; Kernel info:
; codeLenInByte = 0
; TotalNumSgprs: 0
; NumVgprs: 0
; ScratchSize: 0
; MemoryBound: 0
; FloatMode: 240
; IeeeMode: 1
; LDSByteSize: 0 bytes/workgroup (compile time only)
; SGPRBlocks: 0
; VGPRBlocks: 0
; NumSGPRsForWavesPerEU: 1
; NumVGPRsForWavesPerEU: 1
; NamedBarCnt: 0
; Occupancy: 16
; WaveLimiterHint : 0
; COMPUTE_PGM_RSRC2:SCRATCH_EN: 0
; COMPUTE_PGM_RSRC2:USER_SGPR: 2
; COMPUTE_PGM_RSRC2:TRAP_HANDLER: 0
; COMPUTE_PGM_RSRC2:TGID_X_EN: 1
; COMPUTE_PGM_RSRC2:TGID_Y_EN: 0
; COMPUTE_PGM_RSRC2:TGID_Z_EN: 0
; COMPUTE_PGM_RSRC2:TIDIG_COMP_CNT: 0
	.section	.text._ZN7rocprim17ROCPRIM_400000_NS6detail17trampoline_kernelINS0_14default_configENS1_32segmented_reduce_config_selectorIN3c104HalfEEEZNS1_21segmented_reduce_implIS3_PKS6_PS6_PKlS6_N6hipcub16HIPCUB_304000_NS6detail27convert_result_type_wrapperISA_SB_N2at6native12_GLOBAL__N_110CustomProdEEEEE10hipError_tPvRmT0_T1_jT2_SS_T4_T3_P12ihipStream_tbEUlT_E_NS1_11comp_targetILNS1_3genE2ELNS1_11target_archE906ELNS1_3gpuE6ELNS1_3repE0EEENS1_30default_config_static_selectorELNS0_4arch9wavefront6targetE0EEEvSR_,"axG",@progbits,_ZN7rocprim17ROCPRIM_400000_NS6detail17trampoline_kernelINS0_14default_configENS1_32segmented_reduce_config_selectorIN3c104HalfEEEZNS1_21segmented_reduce_implIS3_PKS6_PS6_PKlS6_N6hipcub16HIPCUB_304000_NS6detail27convert_result_type_wrapperISA_SB_N2at6native12_GLOBAL__N_110CustomProdEEEEE10hipError_tPvRmT0_T1_jT2_SS_T4_T3_P12ihipStream_tbEUlT_E_NS1_11comp_targetILNS1_3genE2ELNS1_11target_archE906ELNS1_3gpuE6ELNS1_3repE0EEENS1_30default_config_static_selectorELNS0_4arch9wavefront6targetE0EEEvSR_,comdat
	.globl	_ZN7rocprim17ROCPRIM_400000_NS6detail17trampoline_kernelINS0_14default_configENS1_32segmented_reduce_config_selectorIN3c104HalfEEEZNS1_21segmented_reduce_implIS3_PKS6_PS6_PKlS6_N6hipcub16HIPCUB_304000_NS6detail27convert_result_type_wrapperISA_SB_N2at6native12_GLOBAL__N_110CustomProdEEEEE10hipError_tPvRmT0_T1_jT2_SS_T4_T3_P12ihipStream_tbEUlT_E_NS1_11comp_targetILNS1_3genE2ELNS1_11target_archE906ELNS1_3gpuE6ELNS1_3repE0EEENS1_30default_config_static_selectorELNS0_4arch9wavefront6targetE0EEEvSR_ ; -- Begin function _ZN7rocprim17ROCPRIM_400000_NS6detail17trampoline_kernelINS0_14default_configENS1_32segmented_reduce_config_selectorIN3c104HalfEEEZNS1_21segmented_reduce_implIS3_PKS6_PS6_PKlS6_N6hipcub16HIPCUB_304000_NS6detail27convert_result_type_wrapperISA_SB_N2at6native12_GLOBAL__N_110CustomProdEEEEE10hipError_tPvRmT0_T1_jT2_SS_T4_T3_P12ihipStream_tbEUlT_E_NS1_11comp_targetILNS1_3genE2ELNS1_11target_archE906ELNS1_3gpuE6ELNS1_3repE0EEENS1_30default_config_static_selectorELNS0_4arch9wavefront6targetE0EEEvSR_
	.p2align	8
	.type	_ZN7rocprim17ROCPRIM_400000_NS6detail17trampoline_kernelINS0_14default_configENS1_32segmented_reduce_config_selectorIN3c104HalfEEEZNS1_21segmented_reduce_implIS3_PKS6_PS6_PKlS6_N6hipcub16HIPCUB_304000_NS6detail27convert_result_type_wrapperISA_SB_N2at6native12_GLOBAL__N_110CustomProdEEEEE10hipError_tPvRmT0_T1_jT2_SS_T4_T3_P12ihipStream_tbEUlT_E_NS1_11comp_targetILNS1_3genE2ELNS1_11target_archE906ELNS1_3gpuE6ELNS1_3repE0EEENS1_30default_config_static_selectorELNS0_4arch9wavefront6targetE0EEEvSR_,@function
_ZN7rocprim17ROCPRIM_400000_NS6detail17trampoline_kernelINS0_14default_configENS1_32segmented_reduce_config_selectorIN3c104HalfEEEZNS1_21segmented_reduce_implIS3_PKS6_PS6_PKlS6_N6hipcub16HIPCUB_304000_NS6detail27convert_result_type_wrapperISA_SB_N2at6native12_GLOBAL__N_110CustomProdEEEEE10hipError_tPvRmT0_T1_jT2_SS_T4_T3_P12ihipStream_tbEUlT_E_NS1_11comp_targetILNS1_3genE2ELNS1_11target_archE906ELNS1_3gpuE6ELNS1_3repE0EEENS1_30default_config_static_selectorELNS0_4arch9wavefront6targetE0EEEvSR_: ; @_ZN7rocprim17ROCPRIM_400000_NS6detail17trampoline_kernelINS0_14default_configENS1_32segmented_reduce_config_selectorIN3c104HalfEEEZNS1_21segmented_reduce_implIS3_PKS6_PS6_PKlS6_N6hipcub16HIPCUB_304000_NS6detail27convert_result_type_wrapperISA_SB_N2at6native12_GLOBAL__N_110CustomProdEEEEE10hipError_tPvRmT0_T1_jT2_SS_T4_T3_P12ihipStream_tbEUlT_E_NS1_11comp_targetILNS1_3genE2ELNS1_11target_archE906ELNS1_3gpuE6ELNS1_3repE0EEENS1_30default_config_static_selectorELNS0_4arch9wavefront6targetE0EEEvSR_
; %bb.0:
	.section	.rodata,"a",@progbits
	.p2align	6, 0x0
	.amdhsa_kernel _ZN7rocprim17ROCPRIM_400000_NS6detail17trampoline_kernelINS0_14default_configENS1_32segmented_reduce_config_selectorIN3c104HalfEEEZNS1_21segmented_reduce_implIS3_PKS6_PS6_PKlS6_N6hipcub16HIPCUB_304000_NS6detail27convert_result_type_wrapperISA_SB_N2at6native12_GLOBAL__N_110CustomProdEEEEE10hipError_tPvRmT0_T1_jT2_SS_T4_T3_P12ihipStream_tbEUlT_E_NS1_11comp_targetILNS1_3genE2ELNS1_11target_archE906ELNS1_3gpuE6ELNS1_3repE0EEENS1_30default_config_static_selectorELNS0_4arch9wavefront6targetE0EEEvSR_
		.amdhsa_group_segment_fixed_size 0
		.amdhsa_private_segment_fixed_size 0
		.amdhsa_kernarg_size 48
		.amdhsa_user_sgpr_count 2
		.amdhsa_user_sgpr_dispatch_ptr 0
		.amdhsa_user_sgpr_queue_ptr 0
		.amdhsa_user_sgpr_kernarg_segment_ptr 1
		.amdhsa_user_sgpr_dispatch_id 0
		.amdhsa_user_sgpr_kernarg_preload_length 0
		.amdhsa_user_sgpr_kernarg_preload_offset 0
		.amdhsa_user_sgpr_private_segment_size 0
		.amdhsa_wavefront_size32 1
		.amdhsa_uses_dynamic_stack 0
		.amdhsa_enable_private_segment 0
		.amdhsa_system_sgpr_workgroup_id_x 1
		.amdhsa_system_sgpr_workgroup_id_y 0
		.amdhsa_system_sgpr_workgroup_id_z 0
		.amdhsa_system_sgpr_workgroup_info 0
		.amdhsa_system_vgpr_workitem_id 0
		.amdhsa_next_free_vgpr 1
		.amdhsa_next_free_sgpr 1
		.amdhsa_named_barrier_count 0
		.amdhsa_reserve_vcc 0
		.amdhsa_float_round_mode_32 0
		.amdhsa_float_round_mode_16_64 0
		.amdhsa_float_denorm_mode_32 3
		.amdhsa_float_denorm_mode_16_64 3
		.amdhsa_fp16_overflow 0
		.amdhsa_memory_ordered 1
		.amdhsa_forward_progress 1
		.amdhsa_inst_pref_size 0
		.amdhsa_round_robin_scheduling 0
		.amdhsa_exception_fp_ieee_invalid_op 0
		.amdhsa_exception_fp_denorm_src 0
		.amdhsa_exception_fp_ieee_div_zero 0
		.amdhsa_exception_fp_ieee_overflow 0
		.amdhsa_exception_fp_ieee_underflow 0
		.amdhsa_exception_fp_ieee_inexact 0
		.amdhsa_exception_int_div_zero 0
	.end_amdhsa_kernel
	.section	.text._ZN7rocprim17ROCPRIM_400000_NS6detail17trampoline_kernelINS0_14default_configENS1_32segmented_reduce_config_selectorIN3c104HalfEEEZNS1_21segmented_reduce_implIS3_PKS6_PS6_PKlS6_N6hipcub16HIPCUB_304000_NS6detail27convert_result_type_wrapperISA_SB_N2at6native12_GLOBAL__N_110CustomProdEEEEE10hipError_tPvRmT0_T1_jT2_SS_T4_T3_P12ihipStream_tbEUlT_E_NS1_11comp_targetILNS1_3genE2ELNS1_11target_archE906ELNS1_3gpuE6ELNS1_3repE0EEENS1_30default_config_static_selectorELNS0_4arch9wavefront6targetE0EEEvSR_,"axG",@progbits,_ZN7rocprim17ROCPRIM_400000_NS6detail17trampoline_kernelINS0_14default_configENS1_32segmented_reduce_config_selectorIN3c104HalfEEEZNS1_21segmented_reduce_implIS3_PKS6_PS6_PKlS6_N6hipcub16HIPCUB_304000_NS6detail27convert_result_type_wrapperISA_SB_N2at6native12_GLOBAL__N_110CustomProdEEEEE10hipError_tPvRmT0_T1_jT2_SS_T4_T3_P12ihipStream_tbEUlT_E_NS1_11comp_targetILNS1_3genE2ELNS1_11target_archE906ELNS1_3gpuE6ELNS1_3repE0EEENS1_30default_config_static_selectorELNS0_4arch9wavefront6targetE0EEEvSR_,comdat
.Lfunc_end243:
	.size	_ZN7rocprim17ROCPRIM_400000_NS6detail17trampoline_kernelINS0_14default_configENS1_32segmented_reduce_config_selectorIN3c104HalfEEEZNS1_21segmented_reduce_implIS3_PKS6_PS6_PKlS6_N6hipcub16HIPCUB_304000_NS6detail27convert_result_type_wrapperISA_SB_N2at6native12_GLOBAL__N_110CustomProdEEEEE10hipError_tPvRmT0_T1_jT2_SS_T4_T3_P12ihipStream_tbEUlT_E_NS1_11comp_targetILNS1_3genE2ELNS1_11target_archE906ELNS1_3gpuE6ELNS1_3repE0EEENS1_30default_config_static_selectorELNS0_4arch9wavefront6targetE0EEEvSR_, .Lfunc_end243-_ZN7rocprim17ROCPRIM_400000_NS6detail17trampoline_kernelINS0_14default_configENS1_32segmented_reduce_config_selectorIN3c104HalfEEEZNS1_21segmented_reduce_implIS3_PKS6_PS6_PKlS6_N6hipcub16HIPCUB_304000_NS6detail27convert_result_type_wrapperISA_SB_N2at6native12_GLOBAL__N_110CustomProdEEEEE10hipError_tPvRmT0_T1_jT2_SS_T4_T3_P12ihipStream_tbEUlT_E_NS1_11comp_targetILNS1_3genE2ELNS1_11target_archE906ELNS1_3gpuE6ELNS1_3repE0EEENS1_30default_config_static_selectorELNS0_4arch9wavefront6targetE0EEEvSR_
                                        ; -- End function
	.set _ZN7rocprim17ROCPRIM_400000_NS6detail17trampoline_kernelINS0_14default_configENS1_32segmented_reduce_config_selectorIN3c104HalfEEEZNS1_21segmented_reduce_implIS3_PKS6_PS6_PKlS6_N6hipcub16HIPCUB_304000_NS6detail27convert_result_type_wrapperISA_SB_N2at6native12_GLOBAL__N_110CustomProdEEEEE10hipError_tPvRmT0_T1_jT2_SS_T4_T3_P12ihipStream_tbEUlT_E_NS1_11comp_targetILNS1_3genE2ELNS1_11target_archE906ELNS1_3gpuE6ELNS1_3repE0EEENS1_30default_config_static_selectorELNS0_4arch9wavefront6targetE0EEEvSR_.num_vgpr, 0
	.set _ZN7rocprim17ROCPRIM_400000_NS6detail17trampoline_kernelINS0_14default_configENS1_32segmented_reduce_config_selectorIN3c104HalfEEEZNS1_21segmented_reduce_implIS3_PKS6_PS6_PKlS6_N6hipcub16HIPCUB_304000_NS6detail27convert_result_type_wrapperISA_SB_N2at6native12_GLOBAL__N_110CustomProdEEEEE10hipError_tPvRmT0_T1_jT2_SS_T4_T3_P12ihipStream_tbEUlT_E_NS1_11comp_targetILNS1_3genE2ELNS1_11target_archE906ELNS1_3gpuE6ELNS1_3repE0EEENS1_30default_config_static_selectorELNS0_4arch9wavefront6targetE0EEEvSR_.num_agpr, 0
	.set _ZN7rocprim17ROCPRIM_400000_NS6detail17trampoline_kernelINS0_14default_configENS1_32segmented_reduce_config_selectorIN3c104HalfEEEZNS1_21segmented_reduce_implIS3_PKS6_PS6_PKlS6_N6hipcub16HIPCUB_304000_NS6detail27convert_result_type_wrapperISA_SB_N2at6native12_GLOBAL__N_110CustomProdEEEEE10hipError_tPvRmT0_T1_jT2_SS_T4_T3_P12ihipStream_tbEUlT_E_NS1_11comp_targetILNS1_3genE2ELNS1_11target_archE906ELNS1_3gpuE6ELNS1_3repE0EEENS1_30default_config_static_selectorELNS0_4arch9wavefront6targetE0EEEvSR_.numbered_sgpr, 0
	.set _ZN7rocprim17ROCPRIM_400000_NS6detail17trampoline_kernelINS0_14default_configENS1_32segmented_reduce_config_selectorIN3c104HalfEEEZNS1_21segmented_reduce_implIS3_PKS6_PS6_PKlS6_N6hipcub16HIPCUB_304000_NS6detail27convert_result_type_wrapperISA_SB_N2at6native12_GLOBAL__N_110CustomProdEEEEE10hipError_tPvRmT0_T1_jT2_SS_T4_T3_P12ihipStream_tbEUlT_E_NS1_11comp_targetILNS1_3genE2ELNS1_11target_archE906ELNS1_3gpuE6ELNS1_3repE0EEENS1_30default_config_static_selectorELNS0_4arch9wavefront6targetE0EEEvSR_.num_named_barrier, 0
	.set _ZN7rocprim17ROCPRIM_400000_NS6detail17trampoline_kernelINS0_14default_configENS1_32segmented_reduce_config_selectorIN3c104HalfEEEZNS1_21segmented_reduce_implIS3_PKS6_PS6_PKlS6_N6hipcub16HIPCUB_304000_NS6detail27convert_result_type_wrapperISA_SB_N2at6native12_GLOBAL__N_110CustomProdEEEEE10hipError_tPvRmT0_T1_jT2_SS_T4_T3_P12ihipStream_tbEUlT_E_NS1_11comp_targetILNS1_3genE2ELNS1_11target_archE906ELNS1_3gpuE6ELNS1_3repE0EEENS1_30default_config_static_selectorELNS0_4arch9wavefront6targetE0EEEvSR_.private_seg_size, 0
	.set _ZN7rocprim17ROCPRIM_400000_NS6detail17trampoline_kernelINS0_14default_configENS1_32segmented_reduce_config_selectorIN3c104HalfEEEZNS1_21segmented_reduce_implIS3_PKS6_PS6_PKlS6_N6hipcub16HIPCUB_304000_NS6detail27convert_result_type_wrapperISA_SB_N2at6native12_GLOBAL__N_110CustomProdEEEEE10hipError_tPvRmT0_T1_jT2_SS_T4_T3_P12ihipStream_tbEUlT_E_NS1_11comp_targetILNS1_3genE2ELNS1_11target_archE906ELNS1_3gpuE6ELNS1_3repE0EEENS1_30default_config_static_selectorELNS0_4arch9wavefront6targetE0EEEvSR_.uses_vcc, 0
	.set _ZN7rocprim17ROCPRIM_400000_NS6detail17trampoline_kernelINS0_14default_configENS1_32segmented_reduce_config_selectorIN3c104HalfEEEZNS1_21segmented_reduce_implIS3_PKS6_PS6_PKlS6_N6hipcub16HIPCUB_304000_NS6detail27convert_result_type_wrapperISA_SB_N2at6native12_GLOBAL__N_110CustomProdEEEEE10hipError_tPvRmT0_T1_jT2_SS_T4_T3_P12ihipStream_tbEUlT_E_NS1_11comp_targetILNS1_3genE2ELNS1_11target_archE906ELNS1_3gpuE6ELNS1_3repE0EEENS1_30default_config_static_selectorELNS0_4arch9wavefront6targetE0EEEvSR_.uses_flat_scratch, 0
	.set _ZN7rocprim17ROCPRIM_400000_NS6detail17trampoline_kernelINS0_14default_configENS1_32segmented_reduce_config_selectorIN3c104HalfEEEZNS1_21segmented_reduce_implIS3_PKS6_PS6_PKlS6_N6hipcub16HIPCUB_304000_NS6detail27convert_result_type_wrapperISA_SB_N2at6native12_GLOBAL__N_110CustomProdEEEEE10hipError_tPvRmT0_T1_jT2_SS_T4_T3_P12ihipStream_tbEUlT_E_NS1_11comp_targetILNS1_3genE2ELNS1_11target_archE906ELNS1_3gpuE6ELNS1_3repE0EEENS1_30default_config_static_selectorELNS0_4arch9wavefront6targetE0EEEvSR_.has_dyn_sized_stack, 0
	.set _ZN7rocprim17ROCPRIM_400000_NS6detail17trampoline_kernelINS0_14default_configENS1_32segmented_reduce_config_selectorIN3c104HalfEEEZNS1_21segmented_reduce_implIS3_PKS6_PS6_PKlS6_N6hipcub16HIPCUB_304000_NS6detail27convert_result_type_wrapperISA_SB_N2at6native12_GLOBAL__N_110CustomProdEEEEE10hipError_tPvRmT0_T1_jT2_SS_T4_T3_P12ihipStream_tbEUlT_E_NS1_11comp_targetILNS1_3genE2ELNS1_11target_archE906ELNS1_3gpuE6ELNS1_3repE0EEENS1_30default_config_static_selectorELNS0_4arch9wavefront6targetE0EEEvSR_.has_recursion, 0
	.set _ZN7rocprim17ROCPRIM_400000_NS6detail17trampoline_kernelINS0_14default_configENS1_32segmented_reduce_config_selectorIN3c104HalfEEEZNS1_21segmented_reduce_implIS3_PKS6_PS6_PKlS6_N6hipcub16HIPCUB_304000_NS6detail27convert_result_type_wrapperISA_SB_N2at6native12_GLOBAL__N_110CustomProdEEEEE10hipError_tPvRmT0_T1_jT2_SS_T4_T3_P12ihipStream_tbEUlT_E_NS1_11comp_targetILNS1_3genE2ELNS1_11target_archE906ELNS1_3gpuE6ELNS1_3repE0EEENS1_30default_config_static_selectorELNS0_4arch9wavefront6targetE0EEEvSR_.has_indirect_call, 0
	.section	.AMDGPU.csdata,"",@progbits
; Kernel info:
; codeLenInByte = 0
; TotalNumSgprs: 0
; NumVgprs: 0
; ScratchSize: 0
; MemoryBound: 0
; FloatMode: 240
; IeeeMode: 1
; LDSByteSize: 0 bytes/workgroup (compile time only)
; SGPRBlocks: 0
; VGPRBlocks: 0
; NumSGPRsForWavesPerEU: 1
; NumVGPRsForWavesPerEU: 1
; NamedBarCnt: 0
; Occupancy: 16
; WaveLimiterHint : 0
; COMPUTE_PGM_RSRC2:SCRATCH_EN: 0
; COMPUTE_PGM_RSRC2:USER_SGPR: 2
; COMPUTE_PGM_RSRC2:TRAP_HANDLER: 0
; COMPUTE_PGM_RSRC2:TGID_X_EN: 1
; COMPUTE_PGM_RSRC2:TGID_Y_EN: 0
; COMPUTE_PGM_RSRC2:TGID_Z_EN: 0
; COMPUTE_PGM_RSRC2:TIDIG_COMP_CNT: 0
	.section	.text._ZN7rocprim17ROCPRIM_400000_NS6detail17trampoline_kernelINS0_14default_configENS1_32segmented_reduce_config_selectorIN3c104HalfEEEZNS1_21segmented_reduce_implIS3_PKS6_PS6_PKlS6_N6hipcub16HIPCUB_304000_NS6detail27convert_result_type_wrapperISA_SB_N2at6native12_GLOBAL__N_110CustomProdEEEEE10hipError_tPvRmT0_T1_jT2_SS_T4_T3_P12ihipStream_tbEUlT_E_NS1_11comp_targetILNS1_3genE9ELNS1_11target_archE1100ELNS1_3gpuE3ELNS1_3repE0EEENS1_30default_config_static_selectorELNS0_4arch9wavefront6targetE0EEEvSR_,"axG",@progbits,_ZN7rocprim17ROCPRIM_400000_NS6detail17trampoline_kernelINS0_14default_configENS1_32segmented_reduce_config_selectorIN3c104HalfEEEZNS1_21segmented_reduce_implIS3_PKS6_PS6_PKlS6_N6hipcub16HIPCUB_304000_NS6detail27convert_result_type_wrapperISA_SB_N2at6native12_GLOBAL__N_110CustomProdEEEEE10hipError_tPvRmT0_T1_jT2_SS_T4_T3_P12ihipStream_tbEUlT_E_NS1_11comp_targetILNS1_3genE9ELNS1_11target_archE1100ELNS1_3gpuE3ELNS1_3repE0EEENS1_30default_config_static_selectorELNS0_4arch9wavefront6targetE0EEEvSR_,comdat
	.globl	_ZN7rocprim17ROCPRIM_400000_NS6detail17trampoline_kernelINS0_14default_configENS1_32segmented_reduce_config_selectorIN3c104HalfEEEZNS1_21segmented_reduce_implIS3_PKS6_PS6_PKlS6_N6hipcub16HIPCUB_304000_NS6detail27convert_result_type_wrapperISA_SB_N2at6native12_GLOBAL__N_110CustomProdEEEEE10hipError_tPvRmT0_T1_jT2_SS_T4_T3_P12ihipStream_tbEUlT_E_NS1_11comp_targetILNS1_3genE9ELNS1_11target_archE1100ELNS1_3gpuE3ELNS1_3repE0EEENS1_30default_config_static_selectorELNS0_4arch9wavefront6targetE0EEEvSR_ ; -- Begin function _ZN7rocprim17ROCPRIM_400000_NS6detail17trampoline_kernelINS0_14default_configENS1_32segmented_reduce_config_selectorIN3c104HalfEEEZNS1_21segmented_reduce_implIS3_PKS6_PS6_PKlS6_N6hipcub16HIPCUB_304000_NS6detail27convert_result_type_wrapperISA_SB_N2at6native12_GLOBAL__N_110CustomProdEEEEE10hipError_tPvRmT0_T1_jT2_SS_T4_T3_P12ihipStream_tbEUlT_E_NS1_11comp_targetILNS1_3genE9ELNS1_11target_archE1100ELNS1_3gpuE3ELNS1_3repE0EEENS1_30default_config_static_selectorELNS0_4arch9wavefront6targetE0EEEvSR_
	.p2align	8
	.type	_ZN7rocprim17ROCPRIM_400000_NS6detail17trampoline_kernelINS0_14default_configENS1_32segmented_reduce_config_selectorIN3c104HalfEEEZNS1_21segmented_reduce_implIS3_PKS6_PS6_PKlS6_N6hipcub16HIPCUB_304000_NS6detail27convert_result_type_wrapperISA_SB_N2at6native12_GLOBAL__N_110CustomProdEEEEE10hipError_tPvRmT0_T1_jT2_SS_T4_T3_P12ihipStream_tbEUlT_E_NS1_11comp_targetILNS1_3genE9ELNS1_11target_archE1100ELNS1_3gpuE3ELNS1_3repE0EEENS1_30default_config_static_selectorELNS0_4arch9wavefront6targetE0EEEvSR_,@function
_ZN7rocprim17ROCPRIM_400000_NS6detail17trampoline_kernelINS0_14default_configENS1_32segmented_reduce_config_selectorIN3c104HalfEEEZNS1_21segmented_reduce_implIS3_PKS6_PS6_PKlS6_N6hipcub16HIPCUB_304000_NS6detail27convert_result_type_wrapperISA_SB_N2at6native12_GLOBAL__N_110CustomProdEEEEE10hipError_tPvRmT0_T1_jT2_SS_T4_T3_P12ihipStream_tbEUlT_E_NS1_11comp_targetILNS1_3genE9ELNS1_11target_archE1100ELNS1_3gpuE3ELNS1_3repE0EEENS1_30default_config_static_selectorELNS0_4arch9wavefront6targetE0EEEvSR_: ; @_ZN7rocprim17ROCPRIM_400000_NS6detail17trampoline_kernelINS0_14default_configENS1_32segmented_reduce_config_selectorIN3c104HalfEEEZNS1_21segmented_reduce_implIS3_PKS6_PS6_PKlS6_N6hipcub16HIPCUB_304000_NS6detail27convert_result_type_wrapperISA_SB_N2at6native12_GLOBAL__N_110CustomProdEEEEE10hipError_tPvRmT0_T1_jT2_SS_T4_T3_P12ihipStream_tbEUlT_E_NS1_11comp_targetILNS1_3genE9ELNS1_11target_archE1100ELNS1_3gpuE3ELNS1_3repE0EEENS1_30default_config_static_selectorELNS0_4arch9wavefront6targetE0EEEvSR_
; %bb.0:
	.section	.rodata,"a",@progbits
	.p2align	6, 0x0
	.amdhsa_kernel _ZN7rocprim17ROCPRIM_400000_NS6detail17trampoline_kernelINS0_14default_configENS1_32segmented_reduce_config_selectorIN3c104HalfEEEZNS1_21segmented_reduce_implIS3_PKS6_PS6_PKlS6_N6hipcub16HIPCUB_304000_NS6detail27convert_result_type_wrapperISA_SB_N2at6native12_GLOBAL__N_110CustomProdEEEEE10hipError_tPvRmT0_T1_jT2_SS_T4_T3_P12ihipStream_tbEUlT_E_NS1_11comp_targetILNS1_3genE9ELNS1_11target_archE1100ELNS1_3gpuE3ELNS1_3repE0EEENS1_30default_config_static_selectorELNS0_4arch9wavefront6targetE0EEEvSR_
		.amdhsa_group_segment_fixed_size 0
		.amdhsa_private_segment_fixed_size 0
		.amdhsa_kernarg_size 48
		.amdhsa_user_sgpr_count 2
		.amdhsa_user_sgpr_dispatch_ptr 0
		.amdhsa_user_sgpr_queue_ptr 0
		.amdhsa_user_sgpr_kernarg_segment_ptr 1
		.amdhsa_user_sgpr_dispatch_id 0
		.amdhsa_user_sgpr_kernarg_preload_length 0
		.amdhsa_user_sgpr_kernarg_preload_offset 0
		.amdhsa_user_sgpr_private_segment_size 0
		.amdhsa_wavefront_size32 1
		.amdhsa_uses_dynamic_stack 0
		.amdhsa_enable_private_segment 0
		.amdhsa_system_sgpr_workgroup_id_x 1
		.amdhsa_system_sgpr_workgroup_id_y 0
		.amdhsa_system_sgpr_workgroup_id_z 0
		.amdhsa_system_sgpr_workgroup_info 0
		.amdhsa_system_vgpr_workitem_id 0
		.amdhsa_next_free_vgpr 1
		.amdhsa_next_free_sgpr 1
		.amdhsa_named_barrier_count 0
		.amdhsa_reserve_vcc 0
		.amdhsa_float_round_mode_32 0
		.amdhsa_float_round_mode_16_64 0
		.amdhsa_float_denorm_mode_32 3
		.amdhsa_float_denorm_mode_16_64 3
		.amdhsa_fp16_overflow 0
		.amdhsa_memory_ordered 1
		.amdhsa_forward_progress 1
		.amdhsa_inst_pref_size 0
		.amdhsa_round_robin_scheduling 0
		.amdhsa_exception_fp_ieee_invalid_op 0
		.amdhsa_exception_fp_denorm_src 0
		.amdhsa_exception_fp_ieee_div_zero 0
		.amdhsa_exception_fp_ieee_overflow 0
		.amdhsa_exception_fp_ieee_underflow 0
		.amdhsa_exception_fp_ieee_inexact 0
		.amdhsa_exception_int_div_zero 0
	.end_amdhsa_kernel
	.section	.text._ZN7rocprim17ROCPRIM_400000_NS6detail17trampoline_kernelINS0_14default_configENS1_32segmented_reduce_config_selectorIN3c104HalfEEEZNS1_21segmented_reduce_implIS3_PKS6_PS6_PKlS6_N6hipcub16HIPCUB_304000_NS6detail27convert_result_type_wrapperISA_SB_N2at6native12_GLOBAL__N_110CustomProdEEEEE10hipError_tPvRmT0_T1_jT2_SS_T4_T3_P12ihipStream_tbEUlT_E_NS1_11comp_targetILNS1_3genE9ELNS1_11target_archE1100ELNS1_3gpuE3ELNS1_3repE0EEENS1_30default_config_static_selectorELNS0_4arch9wavefront6targetE0EEEvSR_,"axG",@progbits,_ZN7rocprim17ROCPRIM_400000_NS6detail17trampoline_kernelINS0_14default_configENS1_32segmented_reduce_config_selectorIN3c104HalfEEEZNS1_21segmented_reduce_implIS3_PKS6_PS6_PKlS6_N6hipcub16HIPCUB_304000_NS6detail27convert_result_type_wrapperISA_SB_N2at6native12_GLOBAL__N_110CustomProdEEEEE10hipError_tPvRmT0_T1_jT2_SS_T4_T3_P12ihipStream_tbEUlT_E_NS1_11comp_targetILNS1_3genE9ELNS1_11target_archE1100ELNS1_3gpuE3ELNS1_3repE0EEENS1_30default_config_static_selectorELNS0_4arch9wavefront6targetE0EEEvSR_,comdat
.Lfunc_end244:
	.size	_ZN7rocprim17ROCPRIM_400000_NS6detail17trampoline_kernelINS0_14default_configENS1_32segmented_reduce_config_selectorIN3c104HalfEEEZNS1_21segmented_reduce_implIS3_PKS6_PS6_PKlS6_N6hipcub16HIPCUB_304000_NS6detail27convert_result_type_wrapperISA_SB_N2at6native12_GLOBAL__N_110CustomProdEEEEE10hipError_tPvRmT0_T1_jT2_SS_T4_T3_P12ihipStream_tbEUlT_E_NS1_11comp_targetILNS1_3genE9ELNS1_11target_archE1100ELNS1_3gpuE3ELNS1_3repE0EEENS1_30default_config_static_selectorELNS0_4arch9wavefront6targetE0EEEvSR_, .Lfunc_end244-_ZN7rocprim17ROCPRIM_400000_NS6detail17trampoline_kernelINS0_14default_configENS1_32segmented_reduce_config_selectorIN3c104HalfEEEZNS1_21segmented_reduce_implIS3_PKS6_PS6_PKlS6_N6hipcub16HIPCUB_304000_NS6detail27convert_result_type_wrapperISA_SB_N2at6native12_GLOBAL__N_110CustomProdEEEEE10hipError_tPvRmT0_T1_jT2_SS_T4_T3_P12ihipStream_tbEUlT_E_NS1_11comp_targetILNS1_3genE9ELNS1_11target_archE1100ELNS1_3gpuE3ELNS1_3repE0EEENS1_30default_config_static_selectorELNS0_4arch9wavefront6targetE0EEEvSR_
                                        ; -- End function
	.set _ZN7rocprim17ROCPRIM_400000_NS6detail17trampoline_kernelINS0_14default_configENS1_32segmented_reduce_config_selectorIN3c104HalfEEEZNS1_21segmented_reduce_implIS3_PKS6_PS6_PKlS6_N6hipcub16HIPCUB_304000_NS6detail27convert_result_type_wrapperISA_SB_N2at6native12_GLOBAL__N_110CustomProdEEEEE10hipError_tPvRmT0_T1_jT2_SS_T4_T3_P12ihipStream_tbEUlT_E_NS1_11comp_targetILNS1_3genE9ELNS1_11target_archE1100ELNS1_3gpuE3ELNS1_3repE0EEENS1_30default_config_static_selectorELNS0_4arch9wavefront6targetE0EEEvSR_.num_vgpr, 0
	.set _ZN7rocprim17ROCPRIM_400000_NS6detail17trampoline_kernelINS0_14default_configENS1_32segmented_reduce_config_selectorIN3c104HalfEEEZNS1_21segmented_reduce_implIS3_PKS6_PS6_PKlS6_N6hipcub16HIPCUB_304000_NS6detail27convert_result_type_wrapperISA_SB_N2at6native12_GLOBAL__N_110CustomProdEEEEE10hipError_tPvRmT0_T1_jT2_SS_T4_T3_P12ihipStream_tbEUlT_E_NS1_11comp_targetILNS1_3genE9ELNS1_11target_archE1100ELNS1_3gpuE3ELNS1_3repE0EEENS1_30default_config_static_selectorELNS0_4arch9wavefront6targetE0EEEvSR_.num_agpr, 0
	.set _ZN7rocprim17ROCPRIM_400000_NS6detail17trampoline_kernelINS0_14default_configENS1_32segmented_reduce_config_selectorIN3c104HalfEEEZNS1_21segmented_reduce_implIS3_PKS6_PS6_PKlS6_N6hipcub16HIPCUB_304000_NS6detail27convert_result_type_wrapperISA_SB_N2at6native12_GLOBAL__N_110CustomProdEEEEE10hipError_tPvRmT0_T1_jT2_SS_T4_T3_P12ihipStream_tbEUlT_E_NS1_11comp_targetILNS1_3genE9ELNS1_11target_archE1100ELNS1_3gpuE3ELNS1_3repE0EEENS1_30default_config_static_selectorELNS0_4arch9wavefront6targetE0EEEvSR_.numbered_sgpr, 0
	.set _ZN7rocprim17ROCPRIM_400000_NS6detail17trampoline_kernelINS0_14default_configENS1_32segmented_reduce_config_selectorIN3c104HalfEEEZNS1_21segmented_reduce_implIS3_PKS6_PS6_PKlS6_N6hipcub16HIPCUB_304000_NS6detail27convert_result_type_wrapperISA_SB_N2at6native12_GLOBAL__N_110CustomProdEEEEE10hipError_tPvRmT0_T1_jT2_SS_T4_T3_P12ihipStream_tbEUlT_E_NS1_11comp_targetILNS1_3genE9ELNS1_11target_archE1100ELNS1_3gpuE3ELNS1_3repE0EEENS1_30default_config_static_selectorELNS0_4arch9wavefront6targetE0EEEvSR_.num_named_barrier, 0
	.set _ZN7rocprim17ROCPRIM_400000_NS6detail17trampoline_kernelINS0_14default_configENS1_32segmented_reduce_config_selectorIN3c104HalfEEEZNS1_21segmented_reduce_implIS3_PKS6_PS6_PKlS6_N6hipcub16HIPCUB_304000_NS6detail27convert_result_type_wrapperISA_SB_N2at6native12_GLOBAL__N_110CustomProdEEEEE10hipError_tPvRmT0_T1_jT2_SS_T4_T3_P12ihipStream_tbEUlT_E_NS1_11comp_targetILNS1_3genE9ELNS1_11target_archE1100ELNS1_3gpuE3ELNS1_3repE0EEENS1_30default_config_static_selectorELNS0_4arch9wavefront6targetE0EEEvSR_.private_seg_size, 0
	.set _ZN7rocprim17ROCPRIM_400000_NS6detail17trampoline_kernelINS0_14default_configENS1_32segmented_reduce_config_selectorIN3c104HalfEEEZNS1_21segmented_reduce_implIS3_PKS6_PS6_PKlS6_N6hipcub16HIPCUB_304000_NS6detail27convert_result_type_wrapperISA_SB_N2at6native12_GLOBAL__N_110CustomProdEEEEE10hipError_tPvRmT0_T1_jT2_SS_T4_T3_P12ihipStream_tbEUlT_E_NS1_11comp_targetILNS1_3genE9ELNS1_11target_archE1100ELNS1_3gpuE3ELNS1_3repE0EEENS1_30default_config_static_selectorELNS0_4arch9wavefront6targetE0EEEvSR_.uses_vcc, 0
	.set _ZN7rocprim17ROCPRIM_400000_NS6detail17trampoline_kernelINS0_14default_configENS1_32segmented_reduce_config_selectorIN3c104HalfEEEZNS1_21segmented_reduce_implIS3_PKS6_PS6_PKlS6_N6hipcub16HIPCUB_304000_NS6detail27convert_result_type_wrapperISA_SB_N2at6native12_GLOBAL__N_110CustomProdEEEEE10hipError_tPvRmT0_T1_jT2_SS_T4_T3_P12ihipStream_tbEUlT_E_NS1_11comp_targetILNS1_3genE9ELNS1_11target_archE1100ELNS1_3gpuE3ELNS1_3repE0EEENS1_30default_config_static_selectorELNS0_4arch9wavefront6targetE0EEEvSR_.uses_flat_scratch, 0
	.set _ZN7rocprim17ROCPRIM_400000_NS6detail17trampoline_kernelINS0_14default_configENS1_32segmented_reduce_config_selectorIN3c104HalfEEEZNS1_21segmented_reduce_implIS3_PKS6_PS6_PKlS6_N6hipcub16HIPCUB_304000_NS6detail27convert_result_type_wrapperISA_SB_N2at6native12_GLOBAL__N_110CustomProdEEEEE10hipError_tPvRmT0_T1_jT2_SS_T4_T3_P12ihipStream_tbEUlT_E_NS1_11comp_targetILNS1_3genE9ELNS1_11target_archE1100ELNS1_3gpuE3ELNS1_3repE0EEENS1_30default_config_static_selectorELNS0_4arch9wavefront6targetE0EEEvSR_.has_dyn_sized_stack, 0
	.set _ZN7rocprim17ROCPRIM_400000_NS6detail17trampoline_kernelINS0_14default_configENS1_32segmented_reduce_config_selectorIN3c104HalfEEEZNS1_21segmented_reduce_implIS3_PKS6_PS6_PKlS6_N6hipcub16HIPCUB_304000_NS6detail27convert_result_type_wrapperISA_SB_N2at6native12_GLOBAL__N_110CustomProdEEEEE10hipError_tPvRmT0_T1_jT2_SS_T4_T3_P12ihipStream_tbEUlT_E_NS1_11comp_targetILNS1_3genE9ELNS1_11target_archE1100ELNS1_3gpuE3ELNS1_3repE0EEENS1_30default_config_static_selectorELNS0_4arch9wavefront6targetE0EEEvSR_.has_recursion, 0
	.set _ZN7rocprim17ROCPRIM_400000_NS6detail17trampoline_kernelINS0_14default_configENS1_32segmented_reduce_config_selectorIN3c104HalfEEEZNS1_21segmented_reduce_implIS3_PKS6_PS6_PKlS6_N6hipcub16HIPCUB_304000_NS6detail27convert_result_type_wrapperISA_SB_N2at6native12_GLOBAL__N_110CustomProdEEEEE10hipError_tPvRmT0_T1_jT2_SS_T4_T3_P12ihipStream_tbEUlT_E_NS1_11comp_targetILNS1_3genE9ELNS1_11target_archE1100ELNS1_3gpuE3ELNS1_3repE0EEENS1_30default_config_static_selectorELNS0_4arch9wavefront6targetE0EEEvSR_.has_indirect_call, 0
	.section	.AMDGPU.csdata,"",@progbits
; Kernel info:
; codeLenInByte = 0
; TotalNumSgprs: 0
; NumVgprs: 0
; ScratchSize: 0
; MemoryBound: 0
; FloatMode: 240
; IeeeMode: 1
; LDSByteSize: 0 bytes/workgroup (compile time only)
; SGPRBlocks: 0
; VGPRBlocks: 0
; NumSGPRsForWavesPerEU: 1
; NumVGPRsForWavesPerEU: 1
; NamedBarCnt: 0
; Occupancy: 16
; WaveLimiterHint : 0
; COMPUTE_PGM_RSRC2:SCRATCH_EN: 0
; COMPUTE_PGM_RSRC2:USER_SGPR: 2
; COMPUTE_PGM_RSRC2:TRAP_HANDLER: 0
; COMPUTE_PGM_RSRC2:TGID_X_EN: 1
; COMPUTE_PGM_RSRC2:TGID_Y_EN: 0
; COMPUTE_PGM_RSRC2:TGID_Z_EN: 0
; COMPUTE_PGM_RSRC2:TIDIG_COMP_CNT: 0
	.section	.text._ZN7rocprim17ROCPRIM_400000_NS6detail17trampoline_kernelINS0_14default_configENS1_32segmented_reduce_config_selectorIN3c104HalfEEEZNS1_21segmented_reduce_implIS3_PKS6_PS6_PKlS6_N6hipcub16HIPCUB_304000_NS6detail27convert_result_type_wrapperISA_SB_N2at6native12_GLOBAL__N_110CustomProdEEEEE10hipError_tPvRmT0_T1_jT2_SS_T4_T3_P12ihipStream_tbEUlT_E_NS1_11comp_targetILNS1_3genE8ELNS1_11target_archE1030ELNS1_3gpuE2ELNS1_3repE0EEENS1_30default_config_static_selectorELNS0_4arch9wavefront6targetE0EEEvSR_,"axG",@progbits,_ZN7rocprim17ROCPRIM_400000_NS6detail17trampoline_kernelINS0_14default_configENS1_32segmented_reduce_config_selectorIN3c104HalfEEEZNS1_21segmented_reduce_implIS3_PKS6_PS6_PKlS6_N6hipcub16HIPCUB_304000_NS6detail27convert_result_type_wrapperISA_SB_N2at6native12_GLOBAL__N_110CustomProdEEEEE10hipError_tPvRmT0_T1_jT2_SS_T4_T3_P12ihipStream_tbEUlT_E_NS1_11comp_targetILNS1_3genE8ELNS1_11target_archE1030ELNS1_3gpuE2ELNS1_3repE0EEENS1_30default_config_static_selectorELNS0_4arch9wavefront6targetE0EEEvSR_,comdat
	.globl	_ZN7rocprim17ROCPRIM_400000_NS6detail17trampoline_kernelINS0_14default_configENS1_32segmented_reduce_config_selectorIN3c104HalfEEEZNS1_21segmented_reduce_implIS3_PKS6_PS6_PKlS6_N6hipcub16HIPCUB_304000_NS6detail27convert_result_type_wrapperISA_SB_N2at6native12_GLOBAL__N_110CustomProdEEEEE10hipError_tPvRmT0_T1_jT2_SS_T4_T3_P12ihipStream_tbEUlT_E_NS1_11comp_targetILNS1_3genE8ELNS1_11target_archE1030ELNS1_3gpuE2ELNS1_3repE0EEENS1_30default_config_static_selectorELNS0_4arch9wavefront6targetE0EEEvSR_ ; -- Begin function _ZN7rocprim17ROCPRIM_400000_NS6detail17trampoline_kernelINS0_14default_configENS1_32segmented_reduce_config_selectorIN3c104HalfEEEZNS1_21segmented_reduce_implIS3_PKS6_PS6_PKlS6_N6hipcub16HIPCUB_304000_NS6detail27convert_result_type_wrapperISA_SB_N2at6native12_GLOBAL__N_110CustomProdEEEEE10hipError_tPvRmT0_T1_jT2_SS_T4_T3_P12ihipStream_tbEUlT_E_NS1_11comp_targetILNS1_3genE8ELNS1_11target_archE1030ELNS1_3gpuE2ELNS1_3repE0EEENS1_30default_config_static_selectorELNS0_4arch9wavefront6targetE0EEEvSR_
	.p2align	8
	.type	_ZN7rocprim17ROCPRIM_400000_NS6detail17trampoline_kernelINS0_14default_configENS1_32segmented_reduce_config_selectorIN3c104HalfEEEZNS1_21segmented_reduce_implIS3_PKS6_PS6_PKlS6_N6hipcub16HIPCUB_304000_NS6detail27convert_result_type_wrapperISA_SB_N2at6native12_GLOBAL__N_110CustomProdEEEEE10hipError_tPvRmT0_T1_jT2_SS_T4_T3_P12ihipStream_tbEUlT_E_NS1_11comp_targetILNS1_3genE8ELNS1_11target_archE1030ELNS1_3gpuE2ELNS1_3repE0EEENS1_30default_config_static_selectorELNS0_4arch9wavefront6targetE0EEEvSR_,@function
_ZN7rocprim17ROCPRIM_400000_NS6detail17trampoline_kernelINS0_14default_configENS1_32segmented_reduce_config_selectorIN3c104HalfEEEZNS1_21segmented_reduce_implIS3_PKS6_PS6_PKlS6_N6hipcub16HIPCUB_304000_NS6detail27convert_result_type_wrapperISA_SB_N2at6native12_GLOBAL__N_110CustomProdEEEEE10hipError_tPvRmT0_T1_jT2_SS_T4_T3_P12ihipStream_tbEUlT_E_NS1_11comp_targetILNS1_3genE8ELNS1_11target_archE1030ELNS1_3gpuE2ELNS1_3repE0EEENS1_30default_config_static_selectorELNS0_4arch9wavefront6targetE0EEEvSR_: ; @_ZN7rocprim17ROCPRIM_400000_NS6detail17trampoline_kernelINS0_14default_configENS1_32segmented_reduce_config_selectorIN3c104HalfEEEZNS1_21segmented_reduce_implIS3_PKS6_PS6_PKlS6_N6hipcub16HIPCUB_304000_NS6detail27convert_result_type_wrapperISA_SB_N2at6native12_GLOBAL__N_110CustomProdEEEEE10hipError_tPvRmT0_T1_jT2_SS_T4_T3_P12ihipStream_tbEUlT_E_NS1_11comp_targetILNS1_3genE8ELNS1_11target_archE1030ELNS1_3gpuE2ELNS1_3repE0EEENS1_30default_config_static_selectorELNS0_4arch9wavefront6targetE0EEEvSR_
; %bb.0:
	.section	.rodata,"a",@progbits
	.p2align	6, 0x0
	.amdhsa_kernel _ZN7rocprim17ROCPRIM_400000_NS6detail17trampoline_kernelINS0_14default_configENS1_32segmented_reduce_config_selectorIN3c104HalfEEEZNS1_21segmented_reduce_implIS3_PKS6_PS6_PKlS6_N6hipcub16HIPCUB_304000_NS6detail27convert_result_type_wrapperISA_SB_N2at6native12_GLOBAL__N_110CustomProdEEEEE10hipError_tPvRmT0_T1_jT2_SS_T4_T3_P12ihipStream_tbEUlT_E_NS1_11comp_targetILNS1_3genE8ELNS1_11target_archE1030ELNS1_3gpuE2ELNS1_3repE0EEENS1_30default_config_static_selectorELNS0_4arch9wavefront6targetE0EEEvSR_
		.amdhsa_group_segment_fixed_size 0
		.amdhsa_private_segment_fixed_size 0
		.amdhsa_kernarg_size 48
		.amdhsa_user_sgpr_count 2
		.amdhsa_user_sgpr_dispatch_ptr 0
		.amdhsa_user_sgpr_queue_ptr 0
		.amdhsa_user_sgpr_kernarg_segment_ptr 1
		.amdhsa_user_sgpr_dispatch_id 0
		.amdhsa_user_sgpr_kernarg_preload_length 0
		.amdhsa_user_sgpr_kernarg_preload_offset 0
		.amdhsa_user_sgpr_private_segment_size 0
		.amdhsa_wavefront_size32 1
		.amdhsa_uses_dynamic_stack 0
		.amdhsa_enable_private_segment 0
		.amdhsa_system_sgpr_workgroup_id_x 1
		.amdhsa_system_sgpr_workgroup_id_y 0
		.amdhsa_system_sgpr_workgroup_id_z 0
		.amdhsa_system_sgpr_workgroup_info 0
		.amdhsa_system_vgpr_workitem_id 0
		.amdhsa_next_free_vgpr 1
		.amdhsa_next_free_sgpr 1
		.amdhsa_named_barrier_count 0
		.amdhsa_reserve_vcc 0
		.amdhsa_float_round_mode_32 0
		.amdhsa_float_round_mode_16_64 0
		.amdhsa_float_denorm_mode_32 3
		.amdhsa_float_denorm_mode_16_64 3
		.amdhsa_fp16_overflow 0
		.amdhsa_memory_ordered 1
		.amdhsa_forward_progress 1
		.amdhsa_inst_pref_size 0
		.amdhsa_round_robin_scheduling 0
		.amdhsa_exception_fp_ieee_invalid_op 0
		.amdhsa_exception_fp_denorm_src 0
		.amdhsa_exception_fp_ieee_div_zero 0
		.amdhsa_exception_fp_ieee_overflow 0
		.amdhsa_exception_fp_ieee_underflow 0
		.amdhsa_exception_fp_ieee_inexact 0
		.amdhsa_exception_int_div_zero 0
	.end_amdhsa_kernel
	.section	.text._ZN7rocprim17ROCPRIM_400000_NS6detail17trampoline_kernelINS0_14default_configENS1_32segmented_reduce_config_selectorIN3c104HalfEEEZNS1_21segmented_reduce_implIS3_PKS6_PS6_PKlS6_N6hipcub16HIPCUB_304000_NS6detail27convert_result_type_wrapperISA_SB_N2at6native12_GLOBAL__N_110CustomProdEEEEE10hipError_tPvRmT0_T1_jT2_SS_T4_T3_P12ihipStream_tbEUlT_E_NS1_11comp_targetILNS1_3genE8ELNS1_11target_archE1030ELNS1_3gpuE2ELNS1_3repE0EEENS1_30default_config_static_selectorELNS0_4arch9wavefront6targetE0EEEvSR_,"axG",@progbits,_ZN7rocprim17ROCPRIM_400000_NS6detail17trampoline_kernelINS0_14default_configENS1_32segmented_reduce_config_selectorIN3c104HalfEEEZNS1_21segmented_reduce_implIS3_PKS6_PS6_PKlS6_N6hipcub16HIPCUB_304000_NS6detail27convert_result_type_wrapperISA_SB_N2at6native12_GLOBAL__N_110CustomProdEEEEE10hipError_tPvRmT0_T1_jT2_SS_T4_T3_P12ihipStream_tbEUlT_E_NS1_11comp_targetILNS1_3genE8ELNS1_11target_archE1030ELNS1_3gpuE2ELNS1_3repE0EEENS1_30default_config_static_selectorELNS0_4arch9wavefront6targetE0EEEvSR_,comdat
.Lfunc_end245:
	.size	_ZN7rocprim17ROCPRIM_400000_NS6detail17trampoline_kernelINS0_14default_configENS1_32segmented_reduce_config_selectorIN3c104HalfEEEZNS1_21segmented_reduce_implIS3_PKS6_PS6_PKlS6_N6hipcub16HIPCUB_304000_NS6detail27convert_result_type_wrapperISA_SB_N2at6native12_GLOBAL__N_110CustomProdEEEEE10hipError_tPvRmT0_T1_jT2_SS_T4_T3_P12ihipStream_tbEUlT_E_NS1_11comp_targetILNS1_3genE8ELNS1_11target_archE1030ELNS1_3gpuE2ELNS1_3repE0EEENS1_30default_config_static_selectorELNS0_4arch9wavefront6targetE0EEEvSR_, .Lfunc_end245-_ZN7rocprim17ROCPRIM_400000_NS6detail17trampoline_kernelINS0_14default_configENS1_32segmented_reduce_config_selectorIN3c104HalfEEEZNS1_21segmented_reduce_implIS3_PKS6_PS6_PKlS6_N6hipcub16HIPCUB_304000_NS6detail27convert_result_type_wrapperISA_SB_N2at6native12_GLOBAL__N_110CustomProdEEEEE10hipError_tPvRmT0_T1_jT2_SS_T4_T3_P12ihipStream_tbEUlT_E_NS1_11comp_targetILNS1_3genE8ELNS1_11target_archE1030ELNS1_3gpuE2ELNS1_3repE0EEENS1_30default_config_static_selectorELNS0_4arch9wavefront6targetE0EEEvSR_
                                        ; -- End function
	.set _ZN7rocprim17ROCPRIM_400000_NS6detail17trampoline_kernelINS0_14default_configENS1_32segmented_reduce_config_selectorIN3c104HalfEEEZNS1_21segmented_reduce_implIS3_PKS6_PS6_PKlS6_N6hipcub16HIPCUB_304000_NS6detail27convert_result_type_wrapperISA_SB_N2at6native12_GLOBAL__N_110CustomProdEEEEE10hipError_tPvRmT0_T1_jT2_SS_T4_T3_P12ihipStream_tbEUlT_E_NS1_11comp_targetILNS1_3genE8ELNS1_11target_archE1030ELNS1_3gpuE2ELNS1_3repE0EEENS1_30default_config_static_selectorELNS0_4arch9wavefront6targetE0EEEvSR_.num_vgpr, 0
	.set _ZN7rocprim17ROCPRIM_400000_NS6detail17trampoline_kernelINS0_14default_configENS1_32segmented_reduce_config_selectorIN3c104HalfEEEZNS1_21segmented_reduce_implIS3_PKS6_PS6_PKlS6_N6hipcub16HIPCUB_304000_NS6detail27convert_result_type_wrapperISA_SB_N2at6native12_GLOBAL__N_110CustomProdEEEEE10hipError_tPvRmT0_T1_jT2_SS_T4_T3_P12ihipStream_tbEUlT_E_NS1_11comp_targetILNS1_3genE8ELNS1_11target_archE1030ELNS1_3gpuE2ELNS1_3repE0EEENS1_30default_config_static_selectorELNS0_4arch9wavefront6targetE0EEEvSR_.num_agpr, 0
	.set _ZN7rocprim17ROCPRIM_400000_NS6detail17trampoline_kernelINS0_14default_configENS1_32segmented_reduce_config_selectorIN3c104HalfEEEZNS1_21segmented_reduce_implIS3_PKS6_PS6_PKlS6_N6hipcub16HIPCUB_304000_NS6detail27convert_result_type_wrapperISA_SB_N2at6native12_GLOBAL__N_110CustomProdEEEEE10hipError_tPvRmT0_T1_jT2_SS_T4_T3_P12ihipStream_tbEUlT_E_NS1_11comp_targetILNS1_3genE8ELNS1_11target_archE1030ELNS1_3gpuE2ELNS1_3repE0EEENS1_30default_config_static_selectorELNS0_4arch9wavefront6targetE0EEEvSR_.numbered_sgpr, 0
	.set _ZN7rocprim17ROCPRIM_400000_NS6detail17trampoline_kernelINS0_14default_configENS1_32segmented_reduce_config_selectorIN3c104HalfEEEZNS1_21segmented_reduce_implIS3_PKS6_PS6_PKlS6_N6hipcub16HIPCUB_304000_NS6detail27convert_result_type_wrapperISA_SB_N2at6native12_GLOBAL__N_110CustomProdEEEEE10hipError_tPvRmT0_T1_jT2_SS_T4_T3_P12ihipStream_tbEUlT_E_NS1_11comp_targetILNS1_3genE8ELNS1_11target_archE1030ELNS1_3gpuE2ELNS1_3repE0EEENS1_30default_config_static_selectorELNS0_4arch9wavefront6targetE0EEEvSR_.num_named_barrier, 0
	.set _ZN7rocprim17ROCPRIM_400000_NS6detail17trampoline_kernelINS0_14default_configENS1_32segmented_reduce_config_selectorIN3c104HalfEEEZNS1_21segmented_reduce_implIS3_PKS6_PS6_PKlS6_N6hipcub16HIPCUB_304000_NS6detail27convert_result_type_wrapperISA_SB_N2at6native12_GLOBAL__N_110CustomProdEEEEE10hipError_tPvRmT0_T1_jT2_SS_T4_T3_P12ihipStream_tbEUlT_E_NS1_11comp_targetILNS1_3genE8ELNS1_11target_archE1030ELNS1_3gpuE2ELNS1_3repE0EEENS1_30default_config_static_selectorELNS0_4arch9wavefront6targetE0EEEvSR_.private_seg_size, 0
	.set _ZN7rocprim17ROCPRIM_400000_NS6detail17trampoline_kernelINS0_14default_configENS1_32segmented_reduce_config_selectorIN3c104HalfEEEZNS1_21segmented_reduce_implIS3_PKS6_PS6_PKlS6_N6hipcub16HIPCUB_304000_NS6detail27convert_result_type_wrapperISA_SB_N2at6native12_GLOBAL__N_110CustomProdEEEEE10hipError_tPvRmT0_T1_jT2_SS_T4_T3_P12ihipStream_tbEUlT_E_NS1_11comp_targetILNS1_3genE8ELNS1_11target_archE1030ELNS1_3gpuE2ELNS1_3repE0EEENS1_30default_config_static_selectorELNS0_4arch9wavefront6targetE0EEEvSR_.uses_vcc, 0
	.set _ZN7rocprim17ROCPRIM_400000_NS6detail17trampoline_kernelINS0_14default_configENS1_32segmented_reduce_config_selectorIN3c104HalfEEEZNS1_21segmented_reduce_implIS3_PKS6_PS6_PKlS6_N6hipcub16HIPCUB_304000_NS6detail27convert_result_type_wrapperISA_SB_N2at6native12_GLOBAL__N_110CustomProdEEEEE10hipError_tPvRmT0_T1_jT2_SS_T4_T3_P12ihipStream_tbEUlT_E_NS1_11comp_targetILNS1_3genE8ELNS1_11target_archE1030ELNS1_3gpuE2ELNS1_3repE0EEENS1_30default_config_static_selectorELNS0_4arch9wavefront6targetE0EEEvSR_.uses_flat_scratch, 0
	.set _ZN7rocprim17ROCPRIM_400000_NS6detail17trampoline_kernelINS0_14default_configENS1_32segmented_reduce_config_selectorIN3c104HalfEEEZNS1_21segmented_reduce_implIS3_PKS6_PS6_PKlS6_N6hipcub16HIPCUB_304000_NS6detail27convert_result_type_wrapperISA_SB_N2at6native12_GLOBAL__N_110CustomProdEEEEE10hipError_tPvRmT0_T1_jT2_SS_T4_T3_P12ihipStream_tbEUlT_E_NS1_11comp_targetILNS1_3genE8ELNS1_11target_archE1030ELNS1_3gpuE2ELNS1_3repE0EEENS1_30default_config_static_selectorELNS0_4arch9wavefront6targetE0EEEvSR_.has_dyn_sized_stack, 0
	.set _ZN7rocprim17ROCPRIM_400000_NS6detail17trampoline_kernelINS0_14default_configENS1_32segmented_reduce_config_selectorIN3c104HalfEEEZNS1_21segmented_reduce_implIS3_PKS6_PS6_PKlS6_N6hipcub16HIPCUB_304000_NS6detail27convert_result_type_wrapperISA_SB_N2at6native12_GLOBAL__N_110CustomProdEEEEE10hipError_tPvRmT0_T1_jT2_SS_T4_T3_P12ihipStream_tbEUlT_E_NS1_11comp_targetILNS1_3genE8ELNS1_11target_archE1030ELNS1_3gpuE2ELNS1_3repE0EEENS1_30default_config_static_selectorELNS0_4arch9wavefront6targetE0EEEvSR_.has_recursion, 0
	.set _ZN7rocprim17ROCPRIM_400000_NS6detail17trampoline_kernelINS0_14default_configENS1_32segmented_reduce_config_selectorIN3c104HalfEEEZNS1_21segmented_reduce_implIS3_PKS6_PS6_PKlS6_N6hipcub16HIPCUB_304000_NS6detail27convert_result_type_wrapperISA_SB_N2at6native12_GLOBAL__N_110CustomProdEEEEE10hipError_tPvRmT0_T1_jT2_SS_T4_T3_P12ihipStream_tbEUlT_E_NS1_11comp_targetILNS1_3genE8ELNS1_11target_archE1030ELNS1_3gpuE2ELNS1_3repE0EEENS1_30default_config_static_selectorELNS0_4arch9wavefront6targetE0EEEvSR_.has_indirect_call, 0
	.section	.AMDGPU.csdata,"",@progbits
; Kernel info:
; codeLenInByte = 0
; TotalNumSgprs: 0
; NumVgprs: 0
; ScratchSize: 0
; MemoryBound: 0
; FloatMode: 240
; IeeeMode: 1
; LDSByteSize: 0 bytes/workgroup (compile time only)
; SGPRBlocks: 0
; VGPRBlocks: 0
; NumSGPRsForWavesPerEU: 1
; NumVGPRsForWavesPerEU: 1
; NamedBarCnt: 0
; Occupancy: 16
; WaveLimiterHint : 0
; COMPUTE_PGM_RSRC2:SCRATCH_EN: 0
; COMPUTE_PGM_RSRC2:USER_SGPR: 2
; COMPUTE_PGM_RSRC2:TRAP_HANDLER: 0
; COMPUTE_PGM_RSRC2:TGID_X_EN: 1
; COMPUTE_PGM_RSRC2:TGID_Y_EN: 0
; COMPUTE_PGM_RSRC2:TGID_Z_EN: 0
; COMPUTE_PGM_RSRC2:TIDIG_COMP_CNT: 0
	.section	.text._ZN2at6native12_GLOBAL__N_129segment_reduce_forward_kernelIN3c108BFloat16ElEEvNS0_13ReductionTypeEPT_PKS6_PKT0_SC_llbS6_lllllll,"axG",@progbits,_ZN2at6native12_GLOBAL__N_129segment_reduce_forward_kernelIN3c108BFloat16ElEEvNS0_13ReductionTypeEPT_PKS6_PKT0_SC_llbS6_lllllll,comdat
	.globl	_ZN2at6native12_GLOBAL__N_129segment_reduce_forward_kernelIN3c108BFloat16ElEEvNS0_13ReductionTypeEPT_PKS6_PKT0_SC_llbS6_lllllll ; -- Begin function _ZN2at6native12_GLOBAL__N_129segment_reduce_forward_kernelIN3c108BFloat16ElEEvNS0_13ReductionTypeEPT_PKS6_PKT0_SC_llbS6_lllllll
	.p2align	8
	.type	_ZN2at6native12_GLOBAL__N_129segment_reduce_forward_kernelIN3c108BFloat16ElEEvNS0_13ReductionTypeEPT_PKS6_PKT0_SC_llbS6_lllllll,@function
_ZN2at6native12_GLOBAL__N_129segment_reduce_forward_kernelIN3c108BFloat16ElEEvNS0_13ReductionTypeEPT_PKS6_PKT0_SC_llbS6_lllllll: ; @_ZN2at6native12_GLOBAL__N_129segment_reduce_forward_kernelIN3c108BFloat16ElEEvNS0_13ReductionTypeEPT_PKS6_PKT0_SC_llbS6_lllllll
; %bb.0:
	s_clause 0x2
	s_load_b32 s2, s[0:1], 0x84
	s_load_b128 s[28:31], s[0:1], 0x28
	s_load_b256 s[20:27], s[0:1], 0x40
	s_bfe_u32 s3, ttmp6, 0x4000c
	v_mov_b32_e32 v2, 0
	s_add_co_i32 s3, s3, 1
	s_and_b32 s4, ttmp6, 15
	s_mul_i32 s3, ttmp9, s3
	s_getreg_b32 s5, hwreg(HW_REG_IB_STS2, 6, 4)
	v_mov_b32_e32 v1, v2
	s_add_co_i32 s4, s4, s3
	s_wait_kmcnt 0x0
	s_and_b32 s2, s2, 0xffff
	s_cmp_eq_u32 s5, 0
	s_cselect_b32 s3, ttmp9, s4
	s_delay_alu instid0(SALU_CYCLE_1) | instskip(SKIP_1) | instid1(SALU_CYCLE_1)
	v_mad_nc_u64_u32 v[4:5], s2, s3, v[0:1]
	s_mul_u64 s[2:3], s[20:21], s[28:29]
	s_mul_u64 s[2:3], s[2:3], s[22:23]
	s_delay_alu instid0(VALU_DEP_1) | instid1(SALU_CYCLE_1)
	v_cmp_gt_i64_e32 vcc_lo, s[2:3], v[4:5]
	s_and_saveexec_b32 s2, vcc_lo
	s_cbranch_execz .LBB246_37
; %bb.1:
	v_or_b32_e32 v3, s23, v5
                                        ; implicit-def: $vgpr10_vgpr11
	s_mov_b32 s2, exec_lo
	s_delay_alu instid0(VALU_DEP_1)
	v_cmpx_ne_u64_e32 0, v[2:3]
	s_xor_b32 s3, exec_lo, s2
	s_cbranch_execz .LBB246_3
; %bb.2:
	s_ashr_i32 s4, s23, 31
	s_mov_b32 s15, 0
	s_mov_b32 s5, s4
	v_dual_mov_b32 v7, 0 :: v_dual_ashrrev_i32 v0, 31, v5
	s_add_nc_u64 s[6:7], s[22:23], s[4:5]
	s_delay_alu instid0(SALU_CYCLE_1) | instskip(NEXT) | instid1(VALU_DEP_1)
	s_xor_b64 s[6:7], s[6:7], s[4:5]
	v_mov_b32_e32 v1, v0
	s_cvt_f32_u32 s2, s6
	s_cvt_f32_u32 s5, s7
	s_sub_nc_u64 s[10:11], 0, s[6:7]
	v_dual_mov_b32 v9, v7 :: v_dual_mov_b32 v15, v7
	s_delay_alu instid0(SALU_CYCLE_1) | instskip(SKIP_1) | instid1(SALU_CYCLE_2)
	s_fmamk_f32 s2, s5, 0x4f800000, s2
	v_add_nc_u64_e32 v[2:3], v[4:5], v[0:1]
	v_s_rcp_f32 s2, s2
	s_delay_alu instid0(VALU_DEP_1) | instskip(NEXT) | instid1(VALU_DEP_2)
	v_xor_b32_e32 v6, v2, v0
	v_xor_b32_e32 v8, v3, v0
	;; [unrolled: 1-line block ×3, first 2 shown]
	s_delay_alu instid0(TRANS32_DEP_1) | instskip(NEXT) | instid1(SALU_CYCLE_3)
	s_mul_f32 s2, s2, 0x5f7ffffc
	s_mul_f32 s5, s2, 0x2f800000
	s_delay_alu instid0(SALU_CYCLE_3) | instskip(NEXT) | instid1(SALU_CYCLE_3)
	s_trunc_f32 s5, s5
	s_fmamk_f32 s2, s5, 0xcf800000, s2
	s_cvt_u32_f32 s9, s5
	s_delay_alu instid0(SALU_CYCLE_2) | instskip(NEXT) | instid1(SALU_CYCLE_3)
	s_cvt_u32_f32 s8, s2
	s_mul_u64 s[12:13], s[10:11], s[8:9]
	s_delay_alu instid0(SALU_CYCLE_1)
	s_mul_hi_u32 s17, s8, s13
	s_mul_i32 s16, s8, s13
	s_mul_hi_u32 s14, s8, s12
	s_mul_i32 s5, s9, s12
	s_add_nc_u64 s[16:17], s[14:15], s[16:17]
	s_mul_hi_u32 s2, s9, s12
	s_mul_hi_u32 s18, s9, s13
	s_add_co_u32 s5, s16, s5
	s_add_co_ci_u32 s14, s17, s2
	s_mul_i32 s12, s9, s13
	s_add_co_ci_u32 s13, s18, 0
	s_delay_alu instid0(SALU_CYCLE_1) | instskip(NEXT) | instid1(SALU_CYCLE_1)
	s_add_nc_u64 s[12:13], s[14:15], s[12:13]
	s_add_co_u32 s8, s8, s12
	s_cselect_b32 s2, -1, 0
	s_delay_alu instid0(SALU_CYCLE_1) | instskip(SKIP_1) | instid1(SALU_CYCLE_1)
	s_cmp_lg_u32 s2, 0
	s_add_co_ci_u32 s9, s9, s13
	s_mul_u64 s[10:11], s[10:11], s[8:9]
	s_delay_alu instid0(SALU_CYCLE_1)
	s_mul_hi_u32 s13, s8, s11
	s_mul_i32 s12, s8, s11
	s_mul_hi_u32 s14, s8, s10
	s_mul_i32 s5, s9, s10
	s_add_nc_u64 s[12:13], s[14:15], s[12:13]
	s_mul_hi_u32 s2, s9, s10
	s_mul_hi_u32 s16, s9, s11
	s_add_co_u32 s5, s12, s5
	s_add_co_ci_u32 s14, s13, s2
	s_mul_i32 s10, s9, s11
	s_add_co_ci_u32 s11, s16, 0
	s_delay_alu instid0(SALU_CYCLE_1) | instskip(NEXT) | instid1(SALU_CYCLE_1)
	s_add_nc_u64 s[10:11], s[14:15], s[10:11]
	s_add_co_u32 s2, s8, s10
	s_cselect_b32 s5, -1, 0
	v_mul_hi_u32 v14, v6, s2
	s_cmp_lg_u32 s5, 0
	s_add_co_ci_u32 s14, s9, s11
	s_mov_b64 s[8:9], 0xffffffff
	v_mul_u64_e32 v[10:11], s[14:15], v[6:7]
	s_and_b64 s[8:9], s[2:3], s[8:9]
	v_mul_u64_e32 v[12:13], s[14:15], v[8:9]
	v_mul_u64_e32 v[2:3], s[8:9], v[8:9]
	s_delay_alu instid0(VALU_DEP_3) | instskip(NEXT) | instid1(VALU_DEP_1)
	v_add_nc_u64_e32 v[10:11], v[14:15], v[10:11]
	v_add_co_u32 v1, vcc_lo, v10, v2
	s_delay_alu instid0(VALU_DEP_2) | instskip(SKIP_1) | instid1(VALU_DEP_1)
	v_add_co_ci_u32_e32 v14, vcc_lo, v11, v3, vcc_lo
	v_add_co_ci_u32_e32 v13, vcc_lo, 0, v13, vcc_lo
	v_add_nc_u64_e32 v[2:3], v[14:15], v[12:13]
	s_delay_alu instid0(VALU_DEP_1) | instskip(NEXT) | instid1(VALU_DEP_1)
	v_mul_u64_e32 v[10:11], s[6:7], v[2:3]
	v_sub_nc_u32_e32 v1, v8, v11
	s_delay_alu instid0(VALU_DEP_2) | instskip(NEXT) | instid1(VALU_DEP_1)
	v_sub_co_u32 v6, vcc_lo, v6, v10
	v_sub_co_ci_u32_e64 v10, null, v8, v11, vcc_lo
	s_delay_alu instid0(VALU_DEP_3) | instskip(NEXT) | instid1(VALU_DEP_3)
	v_subrev_co_ci_u32_e64 v1, null, s7, v1, vcc_lo
	v_sub_co_u32 v7, s2, v6, s6
	s_delay_alu instid0(VALU_DEP_1) | instskip(NEXT) | instid1(VALU_DEP_2)
	v_subrev_co_ci_u32_e64 v1, null, 0, v1, s2
	v_cmp_le_u32_e32 vcc_lo, s6, v7
	v_cndmask_b32_e64 v7, 0, -1, vcc_lo
	s_delay_alu instid0(VALU_DEP_3)
	v_cmp_le_u32_e32 vcc_lo, s7, v1
	v_cndmask_b32_e64 v8, 0, -1, vcc_lo
	v_cmp_le_u32_e32 vcc_lo, s6, v6
	v_cndmask_b32_e64 v11, 0, -1, vcc_lo
	;; [unrolled: 2-line block ×3, first 2 shown]
	v_cmp_eq_u32_e32 vcc_lo, s7, v1
	v_cndmask_b32_e32 v1, v8, v7, vcc_lo
	v_cmp_eq_u32_e32 vcc_lo, s7, v10
	v_add_nc_u64_e32 v[6:7], 2, v[2:3]
	v_add_nc_u64_e32 v[8:9], 1, v[2:3]
	v_cndmask_b32_e32 v10, v12, v11, vcc_lo
	v_cmp_ne_u32_e32 vcc_lo, 0, v1
	s_delay_alu instid0(VALU_DEP_2) | instskip(NEXT) | instid1(VALU_DEP_4)
	v_cmp_ne_u32_e64 s2, 0, v10
	v_dual_cndmask_b32 v6, v8, v6 :: v_dual_cndmask_b32 v1, v9, v7
	s_delay_alu instid0(VALU_DEP_1) | instskip(NEXT) | instid1(VALU_DEP_1)
	v_dual_cndmask_b32 v2, v2, v6, s2 :: v_dual_cndmask_b32 v3, v3, v1, s2
	v_dual_mov_b32 v1, v0 :: v_dual_bitop2_b32 v2, v2, v0 bitop3:0x14
	s_delay_alu instid0(VALU_DEP_2) | instskip(NEXT) | instid1(VALU_DEP_1)
	v_xor_b32_e32 v3, v3, v0
	v_sub_nc_u64_e32 v[10:11], v[2:3], v[0:1]
.LBB246_3:
	s_or_saveexec_b32 s2, s3
	s_clause 0x1
	s_load_b256 s[4:11], s[0:1], 0x8
	s_load_b256 s[12:19], s[0:1], 0x60
	s_xor_b32 exec_lo, exec_lo, s2
	s_cbranch_execz .LBB246_5
; %bb.4:
	v_cvt_f32_u32_e32 v0, s22
	s_sub_co_i32 s3, 0, s22
	v_mov_b32_e32 v11, 0
	s_delay_alu instid0(VALU_DEP_2) | instskip(SKIP_1) | instid1(TRANS32_DEP_1)
	v_rcp_iflag_f32_e32 v0, v0
	v_nop
	v_mul_f32_e32 v0, 0x4f7ffffe, v0
	s_delay_alu instid0(VALU_DEP_1) | instskip(NEXT) | instid1(VALU_DEP_1)
	v_cvt_u32_f32_e32 v0, v0
	v_mul_lo_u32 v1, s3, v0
	s_delay_alu instid0(VALU_DEP_1) | instskip(NEXT) | instid1(VALU_DEP_1)
	v_mul_hi_u32 v1, v0, v1
	v_add_nc_u32_e32 v0, v0, v1
	s_delay_alu instid0(VALU_DEP_1) | instskip(NEXT) | instid1(VALU_DEP_1)
	v_mul_hi_u32 v0, v4, v0
	v_mul_lo_u32 v1, v0, s22
	s_delay_alu instid0(VALU_DEP_1) | instskip(NEXT) | instid1(VALU_DEP_1)
	v_dual_add_nc_u32 v2, 1, v0 :: v_dual_sub_nc_u32 v1, v4, v1
	v_subrev_nc_u32_e32 v3, s22, v1
	v_cmp_le_u32_e32 vcc_lo, s22, v1
	s_delay_alu instid0(VALU_DEP_2) | instskip(NEXT) | instid1(VALU_DEP_1)
	v_dual_cndmask_b32 v1, v1, v3 :: v_dual_cndmask_b32 v0, v0, v2
	v_cmp_le_u32_e32 vcc_lo, s22, v1
	s_delay_alu instid0(VALU_DEP_2) | instskip(NEXT) | instid1(VALU_DEP_1)
	v_add_nc_u32_e32 v2, 1, v0
	v_cndmask_b32_e32 v10, v0, v2, vcc_lo
.LBB246_5:
	s_or_b32 exec_lo, exec_lo, s2
	v_dual_mov_b32 v0, 0 :: v_dual_bitop2_b32 v1, s29, v11 bitop3:0x54
                                        ; implicit-def: $vgpr6_vgpr7
	s_mov_b32 s2, exec_lo
	s_delay_alu instid0(VALU_DEP_1)
	v_cmpx_ne_u64_e32 0, v[0:1]
	s_xor_b32 s3, exec_lo, s2
	s_cbranch_execz .LBB246_7
; %bb.6:
	s_wait_kmcnt 0x0
	s_ashr_i32 s18, s29, 31
	s_mov_b32 s41, 0
	s_mov_b32 s19, s18
	v_dual_mov_b32 v9, v0 :: v_dual_ashrrev_i32 v2, 31, v11
	s_add_nc_u64 s[20:21], s[28:29], s[18:19]
	v_mov_b32_e32 v13, v0
	s_xor_b64 s[20:21], s[20:21], s[18:19]
	s_delay_alu instid0(VALU_DEP_2)
	v_mov_b32_e32 v3, v2
	s_cvt_f32_u32 s2, s20
	s_cvt_f32_u32 s19, s21
	s_sub_nc_u64 s[36:37], 0, s[20:21]
	v_mov_b32_e32 v19, v0
	v_add_nc_u64_e32 v[6:7], v[10:11], v[2:3]
	s_fmamk_f32 s2, s19, 0x4f800000, s2
	v_mov_b32_e32 v1, v0
	s_delay_alu instid0(SALU_CYCLE_2) | instskip(NEXT) | instid1(VALU_DEP_2)
	v_s_rcp_f32 s2, s2
	v_xor_b32_e32 v8, v6, v2
	s_delay_alu instid0(VALU_DEP_3) | instskip(SKIP_1) | instid1(TRANS32_DEP_1)
	v_xor_b32_e32 v12, v7, v2
	v_xor_b32_e32 v2, s18, v2
	s_mul_f32 s2, s2, 0x5f7ffffc
	s_delay_alu instid0(SALU_CYCLE_3) | instskip(NEXT) | instid1(SALU_CYCLE_3)
	s_mul_f32 s19, s2, 0x2f800000
	s_trunc_f32 s19, s19
	s_delay_alu instid0(SALU_CYCLE_3) | instskip(SKIP_1) | instid1(SALU_CYCLE_2)
	s_fmamk_f32 s2, s19, 0xcf800000, s2
	s_cvt_u32_f32 s35, s19
	s_cvt_u32_f32 s34, s2
	s_delay_alu instid0(SALU_CYCLE_3) | instskip(NEXT) | instid1(SALU_CYCLE_1)
	s_mul_u64 s[38:39], s[36:37], s[34:35]
	s_mul_hi_u32 s43, s34, s39
	s_mul_i32 s42, s34, s39
	s_mul_hi_u32 s40, s34, s38
	s_mul_i32 s19, s35, s38
	s_add_nc_u64 s[42:43], s[40:41], s[42:43]
	s_mul_hi_u32 s2, s35, s38
	s_mul_hi_u32 s33, s35, s39
	s_add_co_u32 s19, s42, s19
	s_add_co_ci_u32 s40, s43, s2
	s_mul_i32 s38, s35, s39
	s_add_co_ci_u32 s39, s33, 0
	s_delay_alu instid0(SALU_CYCLE_1) | instskip(NEXT) | instid1(SALU_CYCLE_1)
	s_add_nc_u64 s[38:39], s[40:41], s[38:39]
	s_add_co_u32 s34, s34, s38
	s_cselect_b32 s2, -1, 0
	s_delay_alu instid0(SALU_CYCLE_1) | instskip(SKIP_1) | instid1(SALU_CYCLE_1)
	s_cmp_lg_u32 s2, 0
	s_add_co_ci_u32 s35, s35, s39
	s_mul_u64 s[36:37], s[36:37], s[34:35]
	s_delay_alu instid0(SALU_CYCLE_1)
	s_mul_hi_u32 s39, s34, s37
	s_mul_i32 s38, s34, s37
	s_mul_hi_u32 s40, s34, s36
	s_mul_i32 s19, s35, s36
	s_add_nc_u64 s[38:39], s[40:41], s[38:39]
	s_mul_hi_u32 s2, s35, s36
	s_mul_hi_u32 s33, s35, s37
	s_add_co_u32 s19, s38, s19
	s_add_co_ci_u32 s40, s39, s2
	s_mul_i32 s36, s35, s37
	s_add_co_ci_u32 s37, s33, 0
	s_delay_alu instid0(SALU_CYCLE_1) | instskip(NEXT) | instid1(SALU_CYCLE_1)
	s_add_nc_u64 s[36:37], s[40:41], s[36:37]
	s_add_co_u32 s2, s34, s36
	s_cselect_b32 s19, -1, 0
	v_mul_hi_u32 v18, v8, s2
	s_cmp_lg_u32 s19, 0
	s_add_co_ci_u32 s40, s35, s37
	s_mov_b64 s[34:35], 0xffffffff
	v_mul_u64_e32 v[14:15], s[40:41], v[8:9]
	s_and_b64 s[34:35], s[2:3], s[34:35]
	v_mul_u64_e32 v[16:17], s[40:41], v[12:13]
	v_mul_u64_e32 v[6:7], s[34:35], v[12:13]
	s_delay_alu instid0(VALU_DEP_3) | instskip(NEXT) | instid1(VALU_DEP_1)
	v_add_nc_u64_e32 v[14:15], v[18:19], v[14:15]
	v_add_co_u32 v0, vcc_lo, v14, v6
	s_delay_alu instid0(VALU_DEP_2) | instskip(SKIP_1) | instid1(VALU_DEP_1)
	v_add_co_ci_u32_e32 v0, vcc_lo, v15, v7, vcc_lo
	v_add_co_ci_u32_e32 v17, vcc_lo, 0, v17, vcc_lo
	v_add_nc_u64_e32 v[0:1], v[0:1], v[16:17]
	s_delay_alu instid0(VALU_DEP_1) | instskip(NEXT) | instid1(VALU_DEP_1)
	v_mul_u64_e32 v[6:7], s[20:21], v[0:1]
	v_sub_nc_u32_e32 v3, v12, v7
	s_delay_alu instid0(VALU_DEP_2) | instskip(NEXT) | instid1(VALU_DEP_1)
	v_sub_co_u32 v6, vcc_lo, v8, v6
	v_sub_co_ci_u32_e64 v12, null, v12, v7, vcc_lo
	s_delay_alu instid0(VALU_DEP_3) | instskip(NEXT) | instid1(VALU_DEP_3)
	v_subrev_co_ci_u32_e64 v3, null, s21, v3, vcc_lo
	v_sub_co_u32 v8, s2, v6, s20
	s_delay_alu instid0(VALU_DEP_1) | instskip(NEXT) | instid1(VALU_DEP_2)
	v_subrev_co_ci_u32_e64 v3, null, 0, v3, s2
	v_cmp_le_u32_e32 vcc_lo, s20, v8
	v_cndmask_b32_e64 v7, 0, -1, vcc_lo
	s_delay_alu instid0(VALU_DEP_3)
	v_cmp_le_u32_e32 vcc_lo, s21, v3
	v_cndmask_b32_e64 v8, 0, -1, vcc_lo
	v_cmp_le_u32_e32 vcc_lo, s20, v6
	v_cndmask_b32_e64 v13, 0, -1, vcc_lo
	v_cmp_le_u32_e32 vcc_lo, s21, v12
	v_cndmask_b32_e64 v14, 0, -1, vcc_lo
	v_cmp_eq_u32_e32 vcc_lo, s21, v3
	v_cndmask_b32_e32 v3, v8, v7, vcc_lo
	v_cmp_eq_u32_e32 vcc_lo, s21, v12
	v_add_nc_u64_e32 v[6:7], 2, v[0:1]
	v_add_nc_u64_e32 v[8:9], 1, v[0:1]
	v_cndmask_b32_e32 v12, v14, v13, vcc_lo
	v_cmp_ne_u32_e32 vcc_lo, 0, v3
	s_delay_alu instid0(VALU_DEP_2) | instskip(NEXT) | instid1(VALU_DEP_4)
	v_cmp_ne_u32_e64 s2, 0, v12
	v_dual_cndmask_b32 v3, v9, v7 :: v_dual_cndmask_b32 v6, v8, v6
	s_delay_alu instid0(VALU_DEP_1) | instskip(NEXT) | instid1(VALU_DEP_1)
	v_dual_cndmask_b32 v1, v1, v3, s2 :: v_dual_cndmask_b32 v0, v0, v6, s2
	v_dual_mov_b32 v3, v2 :: v_dual_bitop2_b32 v1, v1, v2 bitop3:0x14
	s_delay_alu instid0(VALU_DEP_2) | instskip(NEXT) | instid1(VALU_DEP_1)
	v_xor_b32_e32 v0, v0, v2
	v_sub_nc_u64_e32 v[6:7], v[0:1], v[2:3]
.LBB246_7:
	s_and_not1_saveexec_b32 s2, s3
	s_cbranch_execz .LBB246_9
; %bb.8:
	v_cvt_f32_u32_e32 v0, s28
	s_sub_co_i32 s3, 0, s28
	v_mov_b32_e32 v7, 0
	s_delay_alu instid0(VALU_DEP_2) | instskip(SKIP_1) | instid1(TRANS32_DEP_1)
	v_rcp_iflag_f32_e32 v0, v0
	v_nop
	v_mul_f32_e32 v0, 0x4f7ffffe, v0
	s_delay_alu instid0(VALU_DEP_1) | instskip(NEXT) | instid1(VALU_DEP_1)
	v_cvt_u32_f32_e32 v0, v0
	v_mul_lo_u32 v1, s3, v0
	s_delay_alu instid0(VALU_DEP_1) | instskip(NEXT) | instid1(VALU_DEP_1)
	v_mul_hi_u32 v1, v0, v1
	v_add_nc_u32_e32 v0, v0, v1
	s_delay_alu instid0(VALU_DEP_1) | instskip(NEXT) | instid1(VALU_DEP_1)
	v_mul_hi_u32 v0, v10, v0
	v_mul_lo_u32 v1, v0, s28
	s_delay_alu instid0(VALU_DEP_1) | instskip(NEXT) | instid1(VALU_DEP_1)
	v_dual_add_nc_u32 v2, 1, v0 :: v_dual_sub_nc_u32 v1, v10, v1
	v_subrev_nc_u32_e32 v3, s28, v1
	v_cmp_le_u32_e32 vcc_lo, s28, v1
	s_delay_alu instid0(VALU_DEP_2) | instskip(NEXT) | instid1(VALU_DEP_1)
	v_dual_cndmask_b32 v1, v1, v3 :: v_dual_cndmask_b32 v0, v0, v2
	v_cmp_le_u32_e32 vcc_lo, s28, v1
	s_delay_alu instid0(VALU_DEP_2) | instskip(NEXT) | instid1(VALU_DEP_1)
	v_add_nc_u32_e32 v2, 1, v0
	v_cndmask_b32_e32 v6, v0, v2, vcc_lo
.LBB246_9:
	s_or_b32 exec_lo, exec_lo, s2
	s_add_nc_u64 s[2:3], s[28:29], 1
	s_delay_alu instid0(VALU_DEP_1) | instskip(SKIP_2) | instid1(SALU_CYCLE_1)
	v_mul_u64_e32 v[12:13], s[28:29], v[6:7]
	s_wait_kmcnt 0x0
	s_mul_u64 s[2:3], s[16:17], s[2:3]
	v_mul_u64_e32 v[0:1], s[2:3], v[6:7]
	s_delay_alu instid0(VALU_DEP_2) | instskip(SKIP_1) | instid1(VALU_DEP_3)
	v_sub_nc_u64_e32 v[8:9], v[10:11], v[12:13]
	v_mul_u64_e32 v[10:11], s[22:23], v[10:11]
	v_lshl_add_u64 v[0:1], v[0:1], 3, s[10:11]
	s_delay_alu instid0(VALU_DEP_1)
	v_lshl_add_u64 v[0:1], v[8:9], 3, v[0:1]
	global_load_b128 v[0:3], v[0:1], off
	s_clause 0x1
	s_load_b32 s11, s[0:1], 0x38
	s_load_b32 s10, s[0:1], 0x0
	s_wait_xcnt 0x0
	s_mov_b32 s1, exec_lo
	s_wait_kmcnt 0x0
	s_lshr_b32 s0, s11, 16
	s_delay_alu instid0(SALU_CYCLE_1)
	v_mov_b32_e32 v16, s0
	s_wait_loadcnt 0x0
	v_cmpx_lt_i64_e64 v[0:1], v[2:3]
	s_cbranch_execz .LBB246_28
; %bb.10:
	v_mul_u64_e32 v[14:15], s[26:27], v[6:7]
	v_lshlrev_b64_e32 v[16:17], 1, v[0:1]
	v_lshlrev_b64_e32 v[18:19], 1, v[4:5]
	s_cmp_lg_u32 s10, 0
	s_cselect_b32 s16, -1, 0
	s_delay_alu instid0(VALU_DEP_2) | instskip(NEXT) | instid1(VALU_DEP_1)
	v_lshl_add_u64 v[14:15], v[14:15], 1, v[16:17]
	v_mad_nc_u64_u32 v[16:17], s24, v14, v[18:19]
	s_delay_alu instid0(VALU_DEP_1) | instskip(NEXT) | instid1(VALU_DEP_1)
	v_mad_u32 v14, s25, v14, v17
	v_mad_u32 v17, s24, v15, v14
	v_lshlrev_b64_e32 v[14:15], 1, v[10:11]
	s_delay_alu instid0(VALU_DEP_1) | instskip(SKIP_2) | instid1(SALU_CYCLE_1)
	v_sub_nc_u64_e32 v[14:15], v[16:17], v[14:15]
	v_mov_b32_e32 v17, s0
	s_and_b32 s0, s10, -3
	s_cmp_lg_u32 s0, 1
	s_delay_alu instid0(VALU_DEP_1) | instskip(NEXT) | instid1(VALU_DEP_3)
	v_mov_b32_e32 v18, v17
	v_add_nc_u64_e32 v[14:15], s[6:7], v[14:15]
	s_mov_b32 s6, 0
	s_cselect_b32 s7, -1, 0
	s_lshl_b64 s[2:3], s[24:25], 1
	s_branch .LBB246_12
.LBB246_11:                             ;   in Loop: Header=BB246_12 Depth=1
	v_add_nc_u64_e32 v[0:1], 1, v[0:1]
	s_wait_xcnt 0x0
	v_add_nc_u64_e32 v[14:15], s[2:3], v[14:15]
	v_dual_mov_b32 v17, v16 :: v_dual_mov_b32 v18, v20
	s_delay_alu instid0(VALU_DEP_3) | instskip(SKIP_1) | instid1(SALU_CYCLE_1)
	v_cmp_ge_i64_e32 vcc_lo, v[0:1], v[2:3]
	s_or_b32 s6, vcc_lo, s6
	s_and_not1_b32 exec_lo, exec_lo, s6
	s_cbranch_execz .LBB246_27
.LBB246_12:                             ; =>This Inner Loop Header: Depth=1
	s_wait_loadcnt 0x0
	global_load_u16 v19, v[14:15], off
	s_and_b32 vcc_lo, exec_lo, s16
	s_cbranch_vccz .LBB246_25
; %bb.13:                               ;   in Loop: Header=BB246_12 Depth=1
	s_and_b32 vcc_lo, exec_lo, s7
	s_mov_b32 s0, -1
                                        ; implicit-def: $vgpr20
                                        ; implicit-def: $vgpr16
	s_cbranch_vccz .LBB246_22
; %bb.14:                               ;   in Loop: Header=BB246_12 Depth=1
	s_cmp_lt_i32 s10, 4
                                        ; implicit-def: $vgpr20
                                        ; implicit-def: $vgpr16
	s_cbranch_scc1 .LBB246_18
; %bb.15:                               ;   in Loop: Header=BB246_12 Depth=1
	v_dual_mov_b32 v20, v18 :: v_dual_mov_b32 v16, v17
	s_cmp_eq_u32 s10, 4
	s_cbranch_scc0 .LBB246_17
; %bb.16:                               ;   in Loop: Header=BB246_12 Depth=1
	s_wait_loadcnt 0x0
	v_dual_lshlrev_b32 v16, 16, v19 :: v_dual_lshlrev_b32 v20, 16, v18
	s_delay_alu instid0(VALU_DEP_1) | instskip(NEXT) | instid1(VALU_DEP_1)
	v_mul_f32_e32 v16, v20, v16
	v_bfe_u32 v20, v16, 16, 1
	v_cmp_o_f32_e32 vcc_lo, v16, v16
	s_delay_alu instid0(VALU_DEP_2) | instskip(NEXT) | instid1(VALU_DEP_1)
	v_add3_u32 v20, v16, v20, 0x7fff
	v_lshrrev_b32_e32 v20, 16, v20
	s_delay_alu instid0(VALU_DEP_1) | instskip(NEXT) | instid1(VALU_DEP_1)
	v_cndmask_b32_e32 v20, 0x7fc0, v20, vcc_lo
	v_mov_b32_e32 v16, v20
.LBB246_17:                             ;   in Loop: Header=BB246_12 Depth=1
	s_mov_b32 s0, 0
.LBB246_18:                             ;   in Loop: Header=BB246_12 Depth=1
	s_delay_alu instid0(SALU_CYCLE_1)
	s_and_not1_b32 vcc_lo, exec_lo, s0
	s_cbranch_vccnz .LBB246_21
; %bb.19:                               ;   in Loop: Header=BB246_12 Depth=1
	v_dual_mov_b32 v20, v18 :: v_dual_mov_b32 v16, v17
	s_cmp_lg_u32 s10, 2
	s_cbranch_scc1 .LBB246_21
; %bb.20:                               ;   in Loop: Header=BB246_12 Depth=1
	s_wait_loadcnt 0x0
	v_dual_lshlrev_b32 v16, 16, v19 :: v_dual_lshlrev_b32 v20, 16, v18
	s_delay_alu instid0(VALU_DEP_1) | instskip(NEXT) | instid1(VALU_DEP_2)
	v_cmp_u_f32_e32 vcc_lo, v16, v16
	v_cmp_lt_f32_e64 s0, v16, v20
	s_or_b32 vcc_lo, vcc_lo, s0
	v_cndmask_b32_e32 v20, v17, v19, vcc_lo
	s_delay_alu instid0(VALU_DEP_1)
	v_mov_b32_e32 v16, v20
.LBB246_21:                             ;   in Loop: Header=BB246_12 Depth=1
	s_mov_b32 s0, 0
.LBB246_22:                             ;   in Loop: Header=BB246_12 Depth=1
	s_delay_alu instid0(SALU_CYCLE_1)
	s_and_b32 vcc_lo, exec_lo, s0
	s_cbranch_vccz .LBB246_24
; %bb.23:                               ;   in Loop: Header=BB246_12 Depth=1
	s_wait_loadcnt 0x0
	v_dual_lshlrev_b32 v16, 16, v19 :: v_dual_lshlrev_b32 v20, 16, v18
	s_delay_alu instid0(VALU_DEP_1) | instskip(NEXT) | instid1(VALU_DEP_1)
	v_add_f32_e32 v16, v20, v16
	v_bfe_u32 v20, v16, 16, 1
	v_cmp_o_f32_e32 vcc_lo, v16, v16
	s_delay_alu instid0(VALU_DEP_2) | instskip(NEXT) | instid1(VALU_DEP_1)
	v_add3_u32 v20, v16, v20, 0x7fff
	v_lshrrev_b32_e32 v20, 16, v20
	s_delay_alu instid0(VALU_DEP_1) | instskip(NEXT) | instid1(VALU_DEP_1)
	v_cndmask_b32_e32 v20, 0x7fc0, v20, vcc_lo
	v_mov_b32_e32 v16, v20
.LBB246_24:                             ;   in Loop: Header=BB246_12 Depth=1
	s_cbranch_execnz .LBB246_11
	s_branch .LBB246_26
.LBB246_25:                             ;   in Loop: Header=BB246_12 Depth=1
                                        ; implicit-def: $vgpr20
                                        ; implicit-def: $vgpr16
.LBB246_26:                             ;   in Loop: Header=BB246_12 Depth=1
	s_wait_loadcnt 0x0
	v_dual_lshlrev_b32 v16, 16, v19 :: v_dual_lshlrev_b32 v18, 16, v18
	s_delay_alu instid0(VALU_DEP_1) | instskip(NEXT) | instid1(VALU_DEP_2)
	v_cmp_u_f32_e32 vcc_lo, v16, v16
	v_cmp_lt_f32_e64 s0, v18, v16
	s_or_b32 vcc_lo, vcc_lo, s0
	v_cndmask_b32_e32 v16, v17, v19, vcc_lo
	s_delay_alu instid0(VALU_DEP_1)
	v_mov_b32_e32 v20, v16
	s_branch .LBB246_11
.LBB246_27:
	s_or_b32 exec_lo, exec_lo, s6
.LBB246_28:
	s_delay_alu instid0(SALU_CYCLE_1) | instskip(SKIP_2) | instid1(VALU_DEP_1)
	s_or_b32 exec_lo, exec_lo, s1
	v_mul_u64_e32 v[0:1], s[30:31], v[12:13]
	s_mov_b32 s0, exec_lo
	v_lshl_add_u64 v[0:1], v[0:1], 3, s[8:9]
	s_delay_alu instid0(VALU_DEP_1)
	v_lshl_add_u64 v[0:1], v[8:9], 3, v[0:1]
	global_load_b64 v[0:1], v[0:1], off
	s_wait_loadcnt 0x0
	v_cmpx_lt_i64_e32 -1, v[0:1]
	s_xor_b32 s0, exec_lo, s0
	s_cbranch_execz .LBB246_36
; %bb.29:
	v_cmp_ne_u64_e32 vcc_lo, 0, v[0:1]
	s_bitcmp1_b32 s11, 0
	v_mov_b32_e32 v2, 0x7fc0
	s_cselect_b32 s1, -1, 0
	s_delay_alu instid0(SALU_CYCLE_1) | instskip(SKIP_2) | instid1(SALU_CYCLE_1)
	s_or_b32 s1, s1, vcc_lo
	s_cmp_lg_u32 s10, 1
	s_cselect_b32 s2, -1, 0
	s_or_b32 s3, s2, s1
	s_delay_alu instid0(SALU_CYCLE_1)
	s_and_saveexec_b32 s1, s3
	s_cbranch_execz .LBB246_35
; %bb.30:
	v_cmp_ne_u64_e32 vcc_lo, 0, v[0:1]
	s_xor_b32 s2, s2, -1
	s_delay_alu instid0(SALU_CYCLE_1) | instskip(NEXT) | instid1(SALU_CYCLE_1)
	s_and_b32 s3, s2, vcc_lo
	s_and_saveexec_b32 s2, s3
	s_cbranch_execz .LBB246_34
; %bb.31:
	v_lshlrev_b32_e32 v2, 16, v16
	s_mov_b32 s3, exec_lo
	s_delay_alu instid0(VALU_DEP_1)
	v_cmpx_o_f32_e32 v2, v2
	s_cbranch_execz .LBB246_33
; %bb.32:
	v_clz_i32_u32_e32 v3, v1
	s_delay_alu instid0(VALU_DEP_1) | instskip(NEXT) | instid1(VALU_DEP_1)
	v_min_u32_e32 v3, 32, v3
	v_lshlrev_b64_e32 v[0:1], v3, v[0:1]
	s_delay_alu instid0(VALU_DEP_1) | instskip(NEXT) | instid1(VALU_DEP_1)
	v_min_u32_e32 v0, 1, v0
	v_dual_sub_nc_u32 v1, 32, v3 :: v_dual_bitop2_b32 v0, v1, v0 bitop3:0x54
	s_delay_alu instid0(VALU_DEP_1) | instskip(NEXT) | instid1(VALU_DEP_1)
	v_cvt_f32_u32_e32 v0, v0
	v_ldexp_f32 v0, v0, v1
	s_delay_alu instid0(VALU_DEP_1) | instskip(NEXT) | instid1(VALU_DEP_1)
	v_bfe_u32 v1, v0, 16, 1
	v_add3_u32 v0, v0, v1, 0x7fff
	s_delay_alu instid0(VALU_DEP_1) | instskip(NEXT) | instid1(VALU_DEP_1)
	v_and_b32_e32 v0, 0xffff0000, v0
	v_div_scale_f32 v1, null, v0, v0, v2
	s_delay_alu instid0(VALU_DEP_1) | instskip(SKIP_1) | instid1(TRANS32_DEP_1)
	v_rcp_f32_e32 v3, v1
	v_nop
	v_fma_f32 v12, -v1, v3, 1.0
	s_delay_alu instid0(VALU_DEP_1) | instskip(SKIP_1) | instid1(VALU_DEP_1)
	v_fmac_f32_e32 v3, v12, v3
	v_div_scale_f32 v12, vcc_lo, v2, v0, v2
	v_mul_f32_e32 v13, v12, v3
	s_delay_alu instid0(VALU_DEP_1) | instskip(NEXT) | instid1(VALU_DEP_1)
	v_fma_f32 v14, -v1, v13, v12
	v_fmac_f32_e32 v13, v14, v3
	s_delay_alu instid0(VALU_DEP_1) | instskip(NEXT) | instid1(VALU_DEP_1)
	v_fma_f32 v1, -v1, v13, v12
	v_div_fmas_f32 v1, v1, v3, v13
	s_delay_alu instid0(VALU_DEP_1) | instskip(NEXT) | instid1(VALU_DEP_1)
	v_div_fixup_f32 v0, v1, v0, v2
	v_bfe_u32 v1, v0, 16, 1
	v_cmp_o_f32_e32 vcc_lo, v0, v0
	s_delay_alu instid0(VALU_DEP_2) | instskip(NEXT) | instid1(VALU_DEP_1)
	v_add3_u32 v1, v0, v1, 0x7fff
	v_lshrrev_b32_e32 v1, 16, v1
	s_delay_alu instid0(VALU_DEP_1)
	v_cndmask_b32_e32 v16, 0x7fc0, v1, vcc_lo
.LBB246_33:
	s_or_b32 exec_lo, exec_lo, s3
.LBB246_34:
	s_delay_alu instid0(SALU_CYCLE_1) | instskip(NEXT) | instid1(VALU_DEP_1)
	s_or_b32 exec_lo, exec_lo, s2
	v_mov_b32_e32 v2, v16
.LBB246_35:
	s_or_b32 exec_lo, exec_lo, s1
	s_mul_u64 s[2:3], s[14:15], s[12:13]
	v_sub_nc_u64_e32 v[4:5], v[4:5], v[10:11]
	v_mul_u64_e32 v[0:1], s[2:3], v[6:7]
	v_mul_u64_e32 v[6:7], s[12:13], v[8:9]
	s_delay_alu instid0(VALU_DEP_2) | instskip(NEXT) | instid1(VALU_DEP_1)
	v_lshl_add_u64 v[0:1], v[0:1], 1, s[4:5]
	v_lshl_add_u64 v[0:1], v[6:7], 1, v[0:1]
	s_delay_alu instid0(VALU_DEP_1)
	v_lshl_add_u64 v[0:1], v[4:5], 1, v[0:1]
	global_store_b16 v[0:1], v2, off
.LBB246_36:
	s_wait_xcnt 0x0
	s_and_not1_saveexec_b32 s0, s0
	s_cbranch_execnz .LBB246_38
.LBB246_37:
	s_endpgm
.LBB246_38:
	s_trap 2
	; divergent unreachable
	s_endpgm
	.section	.rodata,"a",@progbits
	.p2align	6, 0x0
	.amdhsa_kernel _ZN2at6native12_GLOBAL__N_129segment_reduce_forward_kernelIN3c108BFloat16ElEEvNS0_13ReductionTypeEPT_PKS6_PKT0_SC_llbS6_lllllll
		.amdhsa_group_segment_fixed_size 0
		.amdhsa_private_segment_fixed_size 0
		.amdhsa_kernarg_size 376
		.amdhsa_user_sgpr_count 2
		.amdhsa_user_sgpr_dispatch_ptr 0
		.amdhsa_user_sgpr_queue_ptr 0
		.amdhsa_user_sgpr_kernarg_segment_ptr 1
		.amdhsa_user_sgpr_dispatch_id 0
		.amdhsa_user_sgpr_kernarg_preload_length 0
		.amdhsa_user_sgpr_kernarg_preload_offset 0
		.amdhsa_user_sgpr_private_segment_size 0
		.amdhsa_wavefront_size32 1
		.amdhsa_uses_dynamic_stack 0
		.amdhsa_enable_private_segment 0
		.amdhsa_system_sgpr_workgroup_id_x 1
		.amdhsa_system_sgpr_workgroup_id_y 0
		.amdhsa_system_sgpr_workgroup_id_z 0
		.amdhsa_system_sgpr_workgroup_info 0
		.amdhsa_system_vgpr_workitem_id 0
		.amdhsa_next_free_vgpr 21
		.amdhsa_next_free_sgpr 44
		.amdhsa_named_barrier_count 0
		.amdhsa_reserve_vcc 1
		.amdhsa_float_round_mode_32 0
		.amdhsa_float_round_mode_16_64 0
		.amdhsa_float_denorm_mode_32 3
		.amdhsa_float_denorm_mode_16_64 3
		.amdhsa_fp16_overflow 0
		.amdhsa_memory_ordered 1
		.amdhsa_forward_progress 1
		.amdhsa_inst_pref_size 22
		.amdhsa_round_robin_scheduling 0
		.amdhsa_exception_fp_ieee_invalid_op 0
		.amdhsa_exception_fp_denorm_src 0
		.amdhsa_exception_fp_ieee_div_zero 0
		.amdhsa_exception_fp_ieee_overflow 0
		.amdhsa_exception_fp_ieee_underflow 0
		.amdhsa_exception_fp_ieee_inexact 0
		.amdhsa_exception_int_div_zero 0
	.end_amdhsa_kernel
	.section	.text._ZN2at6native12_GLOBAL__N_129segment_reduce_forward_kernelIN3c108BFloat16ElEEvNS0_13ReductionTypeEPT_PKS6_PKT0_SC_llbS6_lllllll,"axG",@progbits,_ZN2at6native12_GLOBAL__N_129segment_reduce_forward_kernelIN3c108BFloat16ElEEvNS0_13ReductionTypeEPT_PKS6_PKT0_SC_llbS6_lllllll,comdat
.Lfunc_end246:
	.size	_ZN2at6native12_GLOBAL__N_129segment_reduce_forward_kernelIN3c108BFloat16ElEEvNS0_13ReductionTypeEPT_PKS6_PKT0_SC_llbS6_lllllll, .Lfunc_end246-_ZN2at6native12_GLOBAL__N_129segment_reduce_forward_kernelIN3c108BFloat16ElEEvNS0_13ReductionTypeEPT_PKS6_PKT0_SC_llbS6_lllllll
                                        ; -- End function
	.set _ZN2at6native12_GLOBAL__N_129segment_reduce_forward_kernelIN3c108BFloat16ElEEvNS0_13ReductionTypeEPT_PKS6_PKT0_SC_llbS6_lllllll.num_vgpr, 21
	.set _ZN2at6native12_GLOBAL__N_129segment_reduce_forward_kernelIN3c108BFloat16ElEEvNS0_13ReductionTypeEPT_PKS6_PKT0_SC_llbS6_lllllll.num_agpr, 0
	.set _ZN2at6native12_GLOBAL__N_129segment_reduce_forward_kernelIN3c108BFloat16ElEEvNS0_13ReductionTypeEPT_PKS6_PKT0_SC_llbS6_lllllll.numbered_sgpr, 44
	.set _ZN2at6native12_GLOBAL__N_129segment_reduce_forward_kernelIN3c108BFloat16ElEEvNS0_13ReductionTypeEPT_PKS6_PKT0_SC_llbS6_lllllll.num_named_barrier, 0
	.set _ZN2at6native12_GLOBAL__N_129segment_reduce_forward_kernelIN3c108BFloat16ElEEvNS0_13ReductionTypeEPT_PKS6_PKT0_SC_llbS6_lllllll.private_seg_size, 0
	.set _ZN2at6native12_GLOBAL__N_129segment_reduce_forward_kernelIN3c108BFloat16ElEEvNS0_13ReductionTypeEPT_PKS6_PKT0_SC_llbS6_lllllll.uses_vcc, 1
	.set _ZN2at6native12_GLOBAL__N_129segment_reduce_forward_kernelIN3c108BFloat16ElEEvNS0_13ReductionTypeEPT_PKS6_PKT0_SC_llbS6_lllllll.uses_flat_scratch, 0
	.set _ZN2at6native12_GLOBAL__N_129segment_reduce_forward_kernelIN3c108BFloat16ElEEvNS0_13ReductionTypeEPT_PKS6_PKT0_SC_llbS6_lllllll.has_dyn_sized_stack, 0
	.set _ZN2at6native12_GLOBAL__N_129segment_reduce_forward_kernelIN3c108BFloat16ElEEvNS0_13ReductionTypeEPT_PKS6_PKT0_SC_llbS6_lllllll.has_recursion, 0
	.set _ZN2at6native12_GLOBAL__N_129segment_reduce_forward_kernelIN3c108BFloat16ElEEvNS0_13ReductionTypeEPT_PKS6_PKT0_SC_llbS6_lllllll.has_indirect_call, 0
	.section	.AMDGPU.csdata,"",@progbits
; Kernel info:
; codeLenInByte = 2784
; TotalNumSgprs: 46
; NumVgprs: 21
; ScratchSize: 0
; MemoryBound: 0
; FloatMode: 240
; IeeeMode: 1
; LDSByteSize: 0 bytes/workgroup (compile time only)
; SGPRBlocks: 0
; VGPRBlocks: 1
; NumSGPRsForWavesPerEU: 46
; NumVGPRsForWavesPerEU: 21
; NamedBarCnt: 0
; Occupancy: 16
; WaveLimiterHint : 0
; COMPUTE_PGM_RSRC2:SCRATCH_EN: 0
; COMPUTE_PGM_RSRC2:USER_SGPR: 2
; COMPUTE_PGM_RSRC2:TRAP_HANDLER: 0
; COMPUTE_PGM_RSRC2:TGID_X_EN: 1
; COMPUTE_PGM_RSRC2:TGID_Y_EN: 0
; COMPUTE_PGM_RSRC2:TGID_Z_EN: 0
; COMPUTE_PGM_RSRC2:TIDIG_COMP_CNT: 0
	.section	.text._ZN7rocprim17ROCPRIM_400000_NS6detail17trampoline_kernelINS0_14default_configENS1_32segmented_reduce_config_selectorIN3c108BFloat16EEEZNS1_21segmented_reduce_implIS3_PKS6_PS6_PKlS6_N6hipcub16HIPCUB_304000_NS6detail27convert_result_type_wrapperISA_SB_N2at6native12_GLOBAL__N_19CustomMaxEEEEE10hipError_tPvRmT0_T1_jT2_SS_T4_T3_P12ihipStream_tbEUlT_E_NS1_11comp_targetILNS1_3genE0ELNS1_11target_archE4294967295ELNS1_3gpuE0ELNS1_3repE0EEENS1_30default_config_static_selectorELNS0_4arch9wavefront6targetE0EEEvSR_,"axG",@progbits,_ZN7rocprim17ROCPRIM_400000_NS6detail17trampoline_kernelINS0_14default_configENS1_32segmented_reduce_config_selectorIN3c108BFloat16EEEZNS1_21segmented_reduce_implIS3_PKS6_PS6_PKlS6_N6hipcub16HIPCUB_304000_NS6detail27convert_result_type_wrapperISA_SB_N2at6native12_GLOBAL__N_19CustomMaxEEEEE10hipError_tPvRmT0_T1_jT2_SS_T4_T3_P12ihipStream_tbEUlT_E_NS1_11comp_targetILNS1_3genE0ELNS1_11target_archE4294967295ELNS1_3gpuE0ELNS1_3repE0EEENS1_30default_config_static_selectorELNS0_4arch9wavefront6targetE0EEEvSR_,comdat
	.globl	_ZN7rocprim17ROCPRIM_400000_NS6detail17trampoline_kernelINS0_14default_configENS1_32segmented_reduce_config_selectorIN3c108BFloat16EEEZNS1_21segmented_reduce_implIS3_PKS6_PS6_PKlS6_N6hipcub16HIPCUB_304000_NS6detail27convert_result_type_wrapperISA_SB_N2at6native12_GLOBAL__N_19CustomMaxEEEEE10hipError_tPvRmT0_T1_jT2_SS_T4_T3_P12ihipStream_tbEUlT_E_NS1_11comp_targetILNS1_3genE0ELNS1_11target_archE4294967295ELNS1_3gpuE0ELNS1_3repE0EEENS1_30default_config_static_selectorELNS0_4arch9wavefront6targetE0EEEvSR_ ; -- Begin function _ZN7rocprim17ROCPRIM_400000_NS6detail17trampoline_kernelINS0_14default_configENS1_32segmented_reduce_config_selectorIN3c108BFloat16EEEZNS1_21segmented_reduce_implIS3_PKS6_PS6_PKlS6_N6hipcub16HIPCUB_304000_NS6detail27convert_result_type_wrapperISA_SB_N2at6native12_GLOBAL__N_19CustomMaxEEEEE10hipError_tPvRmT0_T1_jT2_SS_T4_T3_P12ihipStream_tbEUlT_E_NS1_11comp_targetILNS1_3genE0ELNS1_11target_archE4294967295ELNS1_3gpuE0ELNS1_3repE0EEENS1_30default_config_static_selectorELNS0_4arch9wavefront6targetE0EEEvSR_
	.p2align	8
	.type	_ZN7rocprim17ROCPRIM_400000_NS6detail17trampoline_kernelINS0_14default_configENS1_32segmented_reduce_config_selectorIN3c108BFloat16EEEZNS1_21segmented_reduce_implIS3_PKS6_PS6_PKlS6_N6hipcub16HIPCUB_304000_NS6detail27convert_result_type_wrapperISA_SB_N2at6native12_GLOBAL__N_19CustomMaxEEEEE10hipError_tPvRmT0_T1_jT2_SS_T4_T3_P12ihipStream_tbEUlT_E_NS1_11comp_targetILNS1_3genE0ELNS1_11target_archE4294967295ELNS1_3gpuE0ELNS1_3repE0EEENS1_30default_config_static_selectorELNS0_4arch9wavefront6targetE0EEEvSR_,@function
_ZN7rocprim17ROCPRIM_400000_NS6detail17trampoline_kernelINS0_14default_configENS1_32segmented_reduce_config_selectorIN3c108BFloat16EEEZNS1_21segmented_reduce_implIS3_PKS6_PS6_PKlS6_N6hipcub16HIPCUB_304000_NS6detail27convert_result_type_wrapperISA_SB_N2at6native12_GLOBAL__N_19CustomMaxEEEEE10hipError_tPvRmT0_T1_jT2_SS_T4_T3_P12ihipStream_tbEUlT_E_NS1_11comp_targetILNS1_3genE0ELNS1_11target_archE4294967295ELNS1_3gpuE0ELNS1_3repE0EEENS1_30default_config_static_selectorELNS0_4arch9wavefront6targetE0EEEvSR_: ; @_ZN7rocprim17ROCPRIM_400000_NS6detail17trampoline_kernelINS0_14default_configENS1_32segmented_reduce_config_selectorIN3c108BFloat16EEEZNS1_21segmented_reduce_implIS3_PKS6_PS6_PKlS6_N6hipcub16HIPCUB_304000_NS6detail27convert_result_type_wrapperISA_SB_N2at6native12_GLOBAL__N_19CustomMaxEEEEE10hipError_tPvRmT0_T1_jT2_SS_T4_T3_P12ihipStream_tbEUlT_E_NS1_11comp_targetILNS1_3genE0ELNS1_11target_archE4294967295ELNS1_3gpuE0ELNS1_3repE0EEENS1_30default_config_static_selectorELNS0_4arch9wavefront6targetE0EEEvSR_
; %bb.0:
	v_mov_b32_e32 v1, 0
	s_clause 0x1
	s_load_b256 s[16:23], s[0:1], 0x0
	s_load_b64 s[2:3], s[0:1], 0x20
	s_bfe_u32 s4, ttmp6, 0x4000c
	s_and_b32 s5, ttmp6, 15
	s_add_co_i32 s4, s4, 1
	global_load_u16 v6, v1, s[0:1] offset:42
	s_mul_i32 s4, ttmp9, s4
	s_getreg_b32 s6, hwreg(HW_REG_IB_STS2, 6, 4)
	s_add_co_i32 s7, s5, s4
	s_mov_b32 s15, 0
	s_wait_kmcnt 0x0
	s_lshl_b64 s[0:1], s[20:21], 3
	s_cmp_eq_u32 s6, 0
	s_add_nc_u64 s[4:5], s[22:23], s[0:1]
	s_cselect_b32 s22, ttmp9, s7
	s_add_nc_u64 s[0:1], s[2:3], s[0:1]
	s_load_b64 s[26:27], s[4:5], s22 offset:0x0 scale_offset
	s_load_b64 s[24:25], s[0:1], s22 offset:0x0 scale_offset
	s_mov_b32 s23, 0
	s_wait_xcnt 0x0
	s_mov_b32 s1, -1
	s_wait_kmcnt 0x0
	v_cmp_gt_i64_e64 s0, s[24:25], s[26:27]
	s_and_b32 vcc_lo, exec_lo, s0
	v_cmp_eq_u32_e64 s0, 0, v0
	s_cbranch_vccz .LBB247_4
; %bb.1:
	s_and_not1_b32 vcc_lo, exec_lo, s1
	s_cbranch_vccz .LBB247_5
.LBB247_2:
	s_and_saveexec_b32 s0, s15
	s_cbranch_execnz .LBB247_408
.LBB247_3:
	s_endpgm
.LBB247_4:
	s_and_b32 s15, s0, exec_lo
	s_cbranch_execnz .LBB247_2
.LBB247_5:
	s_add_nc_u64 s[0:1], s[26:27], 0x1000
	s_delay_alu instid0(SALU_CYCLE_1)
	v_cmp_le_i64_e64 s2, s[0:1], s[24:25]
	s_and_b32 vcc_lo, exec_lo, s2
	s_cbranch_vccz .LBB247_133
; %bb.6:
	s_lshl_b64 s[2:3], s[26:27], 1
	s_mov_b32 s4, exec_lo
	s_add_nc_u64 s[2:3], s[16:17], s[2:3]
	s_clause 0xf
	global_load_u16 v20, v0, s[2:3] scale_offset
	global_load_u16 v19, v0, s[2:3] offset:512 scale_offset
	global_load_u16 v18, v0, s[2:3] offset:1024 scale_offset
	;; [unrolled: 1-line block ×15, first 2 shown]
	s_wait_loadcnt 0xf
	v_dual_lshlrev_b32 v2, 16, v20 :: v_dual_mov_b32 v12, v20
	s_wait_xcnt 0x0
	s_delay_alu instid0(VALU_DEP_1)
	v_cmpx_o_f32_e32 v2, v2
	s_cbranch_execz .LBB247_10
; %bb.7:
	s_wait_loadcnt 0xe
	v_dual_mov_b32 v12, v19 :: v_dual_lshlrev_b32 v3, 16, v19
	s_mov_b32 s5, exec_lo
	s_delay_alu instid0(VALU_DEP_1)
	v_cmpx_o_f32_e32 v3, v3
; %bb.8:
	v_cmp_lt_f32_e32 vcc_lo, v2, v3
	v_cndmask_b32_e32 v12, v20, v19, vcc_lo
	s_delay_alu instid0(VALU_DEP_1)
	v_lshlrev_b32_e32 v3, 16, v12
; %bb.9:
	s_or_b32 exec_lo, exec_lo, s5
	s_delay_alu instid0(VALU_DEP_1)
	v_mov_b32_e32 v2, v3
.LBB247_10:
	s_or_b32 exec_lo, exec_lo, s4
	s_delay_alu instid0(SALU_CYCLE_1) | instskip(NEXT) | instid1(VALU_DEP_1)
	s_mov_b32 s4, exec_lo
	v_cmpx_o_f32_e32 v2, v2
	s_cbranch_execz .LBB247_14
; %bb.11:
	s_wait_loadcnt 0xd
	v_dual_lshlrev_b32 v3, 16, v18 :: v_dual_mov_b32 v21, v18
	s_mov_b32 s5, exec_lo
	s_delay_alu instid0(VALU_DEP_1)
	v_cmpx_o_f32_e32 v3, v3
; %bb.12:
	v_cmp_lt_f32_e32 vcc_lo, v2, v3
	v_cndmask_b32_e32 v21, v12, v18, vcc_lo
	s_delay_alu instid0(VALU_DEP_1)
	v_lshlrev_b32_e32 v3, 16, v21
; %bb.13:
	s_or_b32 exec_lo, exec_lo, s5
	s_delay_alu instid0(VALU_DEP_1)
	v_dual_mov_b32 v2, v3 :: v_dual_mov_b32 v12, v21
.LBB247_14:
	s_or_b32 exec_lo, exec_lo, s4
	s_delay_alu instid0(SALU_CYCLE_1) | instskip(NEXT) | instid1(VALU_DEP_1)
	s_mov_b32 s4, exec_lo
	v_cmpx_o_f32_e32 v2, v2
	s_cbranch_execz .LBB247_18
; %bb.15:
	s_wait_loadcnt 0xc
	v_dual_lshlrev_b32 v3, 16, v17 :: v_dual_mov_b32 v21, v17
	s_mov_b32 s5, exec_lo
	s_delay_alu instid0(VALU_DEP_1)
	v_cmpx_o_f32_e32 v3, v3
; %bb.16:
	v_cmp_lt_f32_e32 vcc_lo, v2, v3
	v_cndmask_b32_e32 v21, v12, v17, vcc_lo
	s_delay_alu instid0(VALU_DEP_1)
	v_lshlrev_b32_e32 v3, 16, v21
; %bb.17:
	s_or_b32 exec_lo, exec_lo, s5
	s_delay_alu instid0(VALU_DEP_1)
	v_dual_mov_b32 v2, v3 :: v_dual_mov_b32 v12, v21
.LBB247_18:
	;; [unrolled: 21-line block ×13, first 2 shown]
	s_or_b32 exec_lo, exec_lo, s4
	s_delay_alu instid0(SALU_CYCLE_1) | instskip(NEXT) | instid1(VALU_DEP_1)
	s_mov_b32 s4, exec_lo
	v_cmpx_o_f32_e32 v2, v2
	s_cbranch_execz .LBB247_66
; %bb.63:
	s_wait_loadcnt 0x0
	v_dual_lshlrev_b32 v21, 16, v1 :: v_dual_mov_b32 v3, v1
	s_mov_b32 s5, exec_lo
	s_delay_alu instid0(VALU_DEP_1)
	v_cmpx_o_f32_e32 v21, v21
; %bb.64:
	v_cmp_lt_f32_e32 vcc_lo, v2, v21
	v_cndmask_b32_e32 v3, v12, v1, vcc_lo
; %bb.65:
	s_or_b32 exec_lo, exec_lo, s5
	s_delay_alu instid0(VALU_DEP_1)
	v_mov_b32_e32 v12, v3
.LBB247_66:
	s_or_b32 exec_lo, exec_lo, s4
	s_add_nc_u64 s[4:5], s[26:27], 0x2000
	s_delay_alu instid0(SALU_CYCLE_1)
	v_cmp_ge_i64_e64 s4, s[4:5], s[24:25]
	s_and_b32 vcc_lo, exec_lo, s4
	s_cbranch_vccnz .LBB247_134
; %bb.67:
	v_dual_mov_b32 v3, 0 :: v_dual_lshlrev_b32 v2, 1, v0
	s_delay_alu instid0(VALU_DEP_1) | instskip(NEXT) | instid1(VALU_DEP_1)
	v_add_nc_u64_e32 v[2:3], s[2:3], v[2:3]
	v_add_nc_u64_e32 v[2:3], 0x2000, v[2:3]
	s_branch .LBB247_70
.LBB247_68:                             ;   in Loop: Header=BB247_70 Depth=1
	s_or_b32 exec_lo, exec_lo, s3
	s_delay_alu instid0(VALU_DEP_1)
	v_mov_b32_e32 v12, v22
.LBB247_69:                             ;   in Loop: Header=BB247_70 Depth=1
	s_or_b32 exec_lo, exec_lo, s2
	s_add_nc_u64 s[2:3], s[0:1], 0x2000
	v_add_nc_u64_e32 v[2:3], 0x2000, v[2:3]
	v_cmp_lt_i64_e64 s2, s[2:3], s[24:25]
	s_add_nc_u64 s[0:1], s[0:1], 0x1000
	s_and_b32 vcc_lo, exec_lo, s2
	s_cbranch_vccz .LBB247_134
.LBB247_70:                             ; =>This Inner Loop Header: Depth=1
	s_wait_loadcnt 0xf
	global_load_u16 v20, v[2:3], off
	s_wait_loadcnt 0xf
	global_load_u16 v19, v[2:3], off offset:512
	s_wait_loadcnt 0xf
	global_load_u16 v18, v[2:3], off offset:1024
	;; [unrolled: 2-line block ×15, first 2 shown]
	v_lshlrev_b32_e32 v21, 16, v12
	s_mov_b32 s2, exec_lo
	s_wait_xcnt 0x0
	s_delay_alu instid0(VALU_DEP_1)
	v_cmpx_o_f32_e32 v21, v21
	s_cbranch_execz .LBB247_74
; %bb.71:                               ;   in Loop: Header=BB247_70 Depth=1
	s_wait_loadcnt 0xf
	v_dual_mov_b32 v23, v20 :: v_dual_lshlrev_b32 v22, 16, v20
	s_mov_b32 s3, exec_lo
	s_delay_alu instid0(VALU_DEP_1)
	v_cmpx_o_f32_e32 v22, v22
; %bb.72:                               ;   in Loop: Header=BB247_70 Depth=1
	v_cmp_lt_f32_e32 vcc_lo, v21, v22
	v_cndmask_b32_e32 v23, v12, v20, vcc_lo
	s_delay_alu instid0(VALU_DEP_1)
	v_lshlrev_b32_e32 v22, 16, v23
; %bb.73:                               ;   in Loop: Header=BB247_70 Depth=1
	s_or_b32 exec_lo, exec_lo, s3
	s_delay_alu instid0(VALU_DEP_1)
	v_dual_mov_b32 v21, v22 :: v_dual_mov_b32 v12, v23
.LBB247_74:                             ;   in Loop: Header=BB247_70 Depth=1
	s_or_b32 exec_lo, exec_lo, s2
	s_delay_alu instid0(SALU_CYCLE_1) | instskip(NEXT) | instid1(VALU_DEP_1)
	s_mov_b32 s2, exec_lo
	v_cmpx_o_f32_e32 v21, v21
	s_cbranch_execz .LBB247_78
; %bb.75:                               ;   in Loop: Header=BB247_70 Depth=1
	s_wait_loadcnt 0xe
	v_dual_mov_b32 v23, v19 :: v_dual_lshlrev_b32 v22, 16, v19
	s_mov_b32 s3, exec_lo
	s_delay_alu instid0(VALU_DEP_1)
	v_cmpx_o_f32_e32 v22, v22
; %bb.76:                               ;   in Loop: Header=BB247_70 Depth=1
	v_cmp_lt_f32_e32 vcc_lo, v21, v22
	v_cndmask_b32_e32 v23, v12, v19, vcc_lo
	s_delay_alu instid0(VALU_DEP_1)
	v_lshlrev_b32_e32 v22, 16, v23
; %bb.77:                               ;   in Loop: Header=BB247_70 Depth=1
	s_or_b32 exec_lo, exec_lo, s3
	s_delay_alu instid0(VALU_DEP_1)
	v_dual_mov_b32 v21, v22 :: v_dual_mov_b32 v12, v23
.LBB247_78:                             ;   in Loop: Header=BB247_70 Depth=1
	s_or_b32 exec_lo, exec_lo, s2
	s_delay_alu instid0(SALU_CYCLE_1) | instskip(NEXT) | instid1(VALU_DEP_1)
	s_mov_b32 s2, exec_lo
	;; [unrolled: 21-line block ×7, first 2 shown]
	v_cmpx_o_f32_e32 v21, v21
	s_cbranch_execz .LBB247_102
; %bb.99:                               ;   in Loop: Header=BB247_70 Depth=1
	s_wait_loadcnt 0x8
	v_dual_mov_b32 v23, v13 :: v_dual_lshlrev_b32 v22, 16, v13
	s_mov_b32 s3, exec_lo
	s_delay_alu instid0(VALU_DEP_1)
	v_cmpx_o_f32_e32 v22, v22
; %bb.100:                              ;   in Loop: Header=BB247_70 Depth=1
	v_cmp_lt_f32_e32 vcc_lo, v21, v22
	v_cndmask_b32_e32 v23, v12, v13, vcc_lo
	s_delay_alu instid0(VALU_DEP_1)
	v_lshlrev_b32_e32 v22, 16, v23
; %bb.101:                              ;   in Loop: Header=BB247_70 Depth=1
	s_or_b32 exec_lo, exec_lo, s3
	s_delay_alu instid0(VALU_DEP_1)
	v_dual_mov_b32 v21, v22 :: v_dual_mov_b32 v12, v23
.LBB247_102:                            ;   in Loop: Header=BB247_70 Depth=1
	s_or_b32 exec_lo, exec_lo, s2
	s_delay_alu instid0(SALU_CYCLE_1) | instskip(NEXT) | instid1(VALU_DEP_1)
	s_mov_b32 s2, exec_lo
	v_cmpx_o_f32_e32 v21, v21
	s_cbranch_execz .LBB247_106
; %bb.103:                              ;   in Loop: Header=BB247_70 Depth=1
	s_wait_loadcnt 0x7
	v_dual_mov_b32 v23, v11 :: v_dual_lshlrev_b32 v22, 16, v11
	s_mov_b32 s3, exec_lo
	s_delay_alu instid0(VALU_DEP_1)
	v_cmpx_o_f32_e32 v22, v22
; %bb.104:                              ;   in Loop: Header=BB247_70 Depth=1
	v_cmp_lt_f32_e32 vcc_lo, v21, v22
	v_cndmask_b32_e32 v23, v12, v11, vcc_lo
	s_delay_alu instid0(VALU_DEP_1)
	v_lshlrev_b32_e32 v22, 16, v23
; %bb.105:                              ;   in Loop: Header=BB247_70 Depth=1
	s_or_b32 exec_lo, exec_lo, s3
	s_delay_alu instid0(VALU_DEP_1)
	v_dual_mov_b32 v21, v22 :: v_dual_mov_b32 v12, v23
.LBB247_106:                            ;   in Loop: Header=BB247_70 Depth=1
	s_or_b32 exec_lo, exec_lo, s2
	s_delay_alu instid0(SALU_CYCLE_1) | instskip(NEXT) | instid1(VALU_DEP_1)
	s_mov_b32 s2, exec_lo
	v_cmpx_o_f32_e32 v21, v21
	s_cbranch_execz .LBB247_110
; %bb.107:                              ;   in Loop: Header=BB247_70 Depth=1
	s_wait_loadcnt 0x6
	v_dual_mov_b32 v23, v10 :: v_dual_lshlrev_b32 v22, 16, v10
	s_mov_b32 s3, exec_lo
	s_delay_alu instid0(VALU_DEP_1)
	v_cmpx_o_f32_e32 v22, v22
; %bb.108:                              ;   in Loop: Header=BB247_70 Depth=1
	v_cmp_lt_f32_e32 vcc_lo, v21, v22
	v_cndmask_b32_e32 v23, v12, v10, vcc_lo
	s_delay_alu instid0(VALU_DEP_1)
	v_lshlrev_b32_e32 v22, 16, v23
; %bb.109:                              ;   in Loop: Header=BB247_70 Depth=1
	s_or_b32 exec_lo, exec_lo, s3
	s_delay_alu instid0(VALU_DEP_1)
	v_dual_mov_b32 v21, v22 :: v_dual_mov_b32 v12, v23
.LBB247_110:                            ;   in Loop: Header=BB247_70 Depth=1
	;; [unrolled: 21-line block ×7, first 2 shown]
	s_or_b32 exec_lo, exec_lo, s2
	s_delay_alu instid0(SALU_CYCLE_1) | instskip(NEXT) | instid1(VALU_DEP_1)
	s_mov_b32 s2, exec_lo
	v_cmpx_o_f32_e32 v21, v21
	s_cbranch_execz .LBB247_69
; %bb.131:                              ;   in Loop: Header=BB247_70 Depth=1
	s_wait_loadcnt 0x0
	v_dual_mov_b32 v22, v1 :: v_dual_lshlrev_b32 v23, 16, v1
	s_mov_b32 s3, exec_lo
	s_delay_alu instid0(VALU_DEP_1)
	v_cmpx_o_f32_e32 v23, v23
	s_cbranch_execz .LBB247_68
; %bb.132:                              ;   in Loop: Header=BB247_70 Depth=1
	v_cmp_lt_f32_e32 vcc_lo, v21, v23
	v_cndmask_b32_e32 v22, v12, v1, vcc_lo
	s_branch .LBB247_68
.LBB247_133:
                                        ; implicit-def: $vgpr2
	s_cbranch_execnz .LBB247_299
	s_branch .LBB247_401
.LBB247_134:
	s_sub_co_i32 s30, s24, s0
	s_lshl_b64 s[0:1], s[0:1], 1
	v_cmp_gt_u32_e64 s14, s30, v0
	s_add_nc_u64 s[28:29], s[16:17], s[0:1]
	s_and_saveexec_b32 s0, s14
	s_cbranch_execz .LBB247_136
; %bb.135:
	s_wait_loadcnt 0xf
	global_load_u16 v20, v0, s[28:29] scale_offset
.LBB247_136:
	s_wait_xcnt 0x0
	s_or_b32 exec_lo, exec_lo, s0
	v_or_b32_e32 v2, 0x100, v0
	s_delay_alu instid0(VALU_DEP_1)
	v_cmp_gt_u32_e64 s13, s30, v2
	s_and_saveexec_b32 s0, s13
	s_cbranch_execz .LBB247_138
; %bb.137:
	s_wait_loadcnt 0xe
	global_load_u16 v19, v0, s[28:29] offset:512 scale_offset
.LBB247_138:
	s_wait_xcnt 0x0
	s_or_b32 exec_lo, exec_lo, s0
	v_or_b32_e32 v2, 0x200, v0
	s_delay_alu instid0(VALU_DEP_1)
	v_cmp_gt_u32_e64 s12, s30, v2
	s_and_saveexec_b32 s0, s12
	s_cbranch_execz .LBB247_140
; %bb.139:
	s_wait_loadcnt 0xd
	global_load_u16 v18, v0, s[28:29] offset:1024 scale_offset
.LBB247_140:
	;; [unrolled: 11-line block ×14, first 2 shown]
	s_wait_xcnt 0x0
	s_or_b32 exec_lo, exec_lo, s31
	v_or_b32_e32 v2, 0xf00, v0
	s_delay_alu instid0(VALU_DEP_1)
	v_cmp_gt_u32_e32 vcc_lo, s30, v2
	s_and_saveexec_b32 s30, vcc_lo
	s_cbranch_execnz .LBB247_181
; %bb.165:
	s_or_b32 exec_lo, exec_lo, s30
	s_and_saveexec_b32 s28, s14
	s_cbranch_execnz .LBB247_182
.LBB247_166:
	s_or_b32 exec_lo, exec_lo, s28
	s_and_saveexec_b32 s14, s13
	s_cbranch_execnz .LBB247_187
.LBB247_167:
	s_or_b32 exec_lo, exec_lo, s14
	s_and_saveexec_b32 s13, s12
	s_cbranch_execnz .LBB247_192
.LBB247_168:
	s_or_b32 exec_lo, exec_lo, s13
	s_and_saveexec_b32 s12, s11
	s_cbranch_execnz .LBB247_197
.LBB247_169:
	s_or_b32 exec_lo, exec_lo, s12
	s_and_saveexec_b32 s11, s10
	s_cbranch_execnz .LBB247_202
.LBB247_170:
	s_or_b32 exec_lo, exec_lo, s11
	s_and_saveexec_b32 s10, s9
	s_cbranch_execnz .LBB247_207
.LBB247_171:
	s_or_b32 exec_lo, exec_lo, s10
	s_and_saveexec_b32 s9, s8
	s_cbranch_execnz .LBB247_212
.LBB247_172:
	s_or_b32 exec_lo, exec_lo, s9
	s_and_saveexec_b32 s8, s7
	s_cbranch_execnz .LBB247_217
.LBB247_173:
	s_or_b32 exec_lo, exec_lo, s8
	s_and_saveexec_b32 s7, s6
	s_cbranch_execnz .LBB247_222
.LBB247_174:
	s_or_b32 exec_lo, exec_lo, s7
	s_and_saveexec_b32 s6, s5
	s_cbranch_execnz .LBB247_227
.LBB247_175:
	s_or_b32 exec_lo, exec_lo, s6
	s_and_saveexec_b32 s5, s4
	s_cbranch_execnz .LBB247_232
.LBB247_176:
	s_or_b32 exec_lo, exec_lo, s5
	s_and_saveexec_b32 s4, s3
	s_cbranch_execnz .LBB247_237
.LBB247_177:
	s_or_b32 exec_lo, exec_lo, s4
	s_and_saveexec_b32 s3, s2
	s_cbranch_execnz .LBB247_242
.LBB247_178:
	s_or_b32 exec_lo, exec_lo, s3
	s_and_saveexec_b32 s2, s1
	s_cbranch_execnz .LBB247_247
.LBB247_179:
	s_or_b32 exec_lo, exec_lo, s2
	s_and_saveexec_b32 s1, s0
	s_cbranch_execnz .LBB247_252
.LBB247_180:
	s_or_b32 exec_lo, exec_lo, s1
	s_and_saveexec_b32 s0, vcc_lo
	s_cbranch_execnz .LBB247_257
	s_branch .LBB247_262
.LBB247_181:
	s_wait_loadcnt 0x0
	global_load_u16 v1, v0, s[28:29] offset:7680 scale_offset
	s_wait_xcnt 0x0
	s_or_b32 exec_lo, exec_lo, s30
	s_and_saveexec_b32 s28, s14
	s_cbranch_execz .LBB247_166
.LBB247_182:
	v_lshlrev_b32_e32 v2, 16, v12
	s_mov_b32 s29, exec_lo
	s_delay_alu instid0(VALU_DEP_1)
	v_cmpx_o_f32_e32 v2, v2
	s_cbranch_execz .LBB247_186
; %bb.183:
	s_wait_loadcnt 0x0
	v_lshlrev_b32_e32 v3, 16, v20
	s_mov_b32 s30, exec_lo
	s_delay_alu instid0(VALU_DEP_1)
	v_cmpx_o_f32_e32 v3, v3
; %bb.184:
	v_cmp_lt_f32_e64 s14, v2, v3
	s_delay_alu instid0(VALU_DEP_1)
	v_cndmask_b32_e64 v20, v12, v20, s14
; %bb.185:
	s_or_b32 exec_lo, exec_lo, s30
	s_delay_alu instid0(VALU_DEP_1)
	v_mov_b32_e32 v12, v20
.LBB247_186:
	s_or_b32 exec_lo, exec_lo, s29
	s_delay_alu instid0(SALU_CYCLE_1)
	s_or_b32 exec_lo, exec_lo, s28
	s_and_saveexec_b32 s14, s13
	s_cbranch_execz .LBB247_167
.LBB247_187:
	v_lshlrev_b32_e32 v2, 16, v12
	s_mov_b32 s28, exec_lo
	s_delay_alu instid0(VALU_DEP_1)
	v_cmpx_o_f32_e32 v2, v2
	s_cbranch_execz .LBB247_191
; %bb.188:
	s_wait_loadcnt 0x0
	v_lshlrev_b32_e32 v3, 16, v19
	s_mov_b32 s29, exec_lo
	s_delay_alu instid0(VALU_DEP_1)
	v_cmpx_o_f32_e32 v3, v3
; %bb.189:
	v_cmp_lt_f32_e64 s13, v2, v3
	s_delay_alu instid0(VALU_DEP_1)
	v_cndmask_b32_e64 v19, v12, v19, s13
; %bb.190:
	s_or_b32 exec_lo, exec_lo, s29
	s_delay_alu instid0(VALU_DEP_1)
	v_mov_b32_e32 v12, v19
.LBB247_191:
	s_or_b32 exec_lo, exec_lo, s28
	s_delay_alu instid0(SALU_CYCLE_1)
	s_or_b32 exec_lo, exec_lo, s14
	s_and_saveexec_b32 s13, s12
	s_cbranch_execz .LBB247_168
.LBB247_192:
	v_lshlrev_b32_e32 v2, 16, v12
	s_mov_b32 s14, exec_lo
	s_delay_alu instid0(VALU_DEP_1)
	v_cmpx_o_f32_e32 v2, v2
	s_cbranch_execz .LBB247_196
; %bb.193:
	s_wait_loadcnt 0x0
	v_lshlrev_b32_e32 v3, 16, v18
	s_mov_b32 s28, exec_lo
	s_delay_alu instid0(VALU_DEP_1)
	v_cmpx_o_f32_e32 v3, v3
; %bb.194:
	v_cmp_lt_f32_e64 s12, v2, v3
	s_delay_alu instid0(VALU_DEP_1)
	v_cndmask_b32_e64 v18, v12, v18, s12
; %bb.195:
	s_or_b32 exec_lo, exec_lo, s28
	s_delay_alu instid0(VALU_DEP_1)
	v_mov_b32_e32 v12, v18
.LBB247_196:
	s_or_b32 exec_lo, exec_lo, s14
	s_delay_alu instid0(SALU_CYCLE_1)
	s_or_b32 exec_lo, exec_lo, s13
	s_and_saveexec_b32 s12, s11
	s_cbranch_execz .LBB247_169
.LBB247_197:
	v_lshlrev_b32_e32 v2, 16, v12
	s_mov_b32 s13, exec_lo
	s_delay_alu instid0(VALU_DEP_1)
	v_cmpx_o_f32_e32 v2, v2
	s_cbranch_execz .LBB247_201
; %bb.198:
	s_wait_loadcnt 0x0
	v_lshlrev_b32_e32 v3, 16, v17
	s_mov_b32 s14, exec_lo
	s_delay_alu instid0(VALU_DEP_1)
	v_cmpx_o_f32_e32 v3, v3
; %bb.199:
	v_cmp_lt_f32_e64 s11, v2, v3
	s_delay_alu instid0(VALU_DEP_1)
	v_cndmask_b32_e64 v17, v12, v17, s11
; %bb.200:
	s_or_b32 exec_lo, exec_lo, s14
	s_delay_alu instid0(VALU_DEP_1)
	v_mov_b32_e32 v12, v17
.LBB247_201:
	s_or_b32 exec_lo, exec_lo, s13
	s_delay_alu instid0(SALU_CYCLE_1)
	s_or_b32 exec_lo, exec_lo, s12
	s_and_saveexec_b32 s11, s10
	s_cbranch_execz .LBB247_170
.LBB247_202:
	v_lshlrev_b32_e32 v2, 16, v12
	s_mov_b32 s12, exec_lo
	s_delay_alu instid0(VALU_DEP_1)
	v_cmpx_o_f32_e32 v2, v2
	s_cbranch_execz .LBB247_206
; %bb.203:
	s_wait_loadcnt 0x0
	v_lshlrev_b32_e32 v3, 16, v16
	s_mov_b32 s13, exec_lo
	s_delay_alu instid0(VALU_DEP_1)
	v_cmpx_o_f32_e32 v3, v3
; %bb.204:
	v_cmp_lt_f32_e64 s10, v2, v3
	s_delay_alu instid0(VALU_DEP_1)
	v_cndmask_b32_e64 v16, v12, v16, s10
; %bb.205:
	s_or_b32 exec_lo, exec_lo, s13
	s_delay_alu instid0(VALU_DEP_1)
	v_mov_b32_e32 v12, v16
.LBB247_206:
	s_or_b32 exec_lo, exec_lo, s12
	s_delay_alu instid0(SALU_CYCLE_1)
	s_or_b32 exec_lo, exec_lo, s11
	s_and_saveexec_b32 s10, s9
	s_cbranch_execz .LBB247_171
.LBB247_207:
	v_lshlrev_b32_e32 v2, 16, v12
	s_mov_b32 s11, exec_lo
	s_delay_alu instid0(VALU_DEP_1)
	v_cmpx_o_f32_e32 v2, v2
	s_cbranch_execz .LBB247_211
; %bb.208:
	s_wait_loadcnt 0x0
	v_lshlrev_b32_e32 v3, 16, v15
	s_mov_b32 s12, exec_lo
	s_delay_alu instid0(VALU_DEP_1)
	v_cmpx_o_f32_e32 v3, v3
; %bb.209:
	v_cmp_lt_f32_e64 s9, v2, v3
	s_delay_alu instid0(VALU_DEP_1)
	v_cndmask_b32_e64 v15, v12, v15, s9
; %bb.210:
	s_or_b32 exec_lo, exec_lo, s12
	s_delay_alu instid0(VALU_DEP_1)
	v_mov_b32_e32 v12, v15
.LBB247_211:
	s_or_b32 exec_lo, exec_lo, s11
	s_delay_alu instid0(SALU_CYCLE_1)
	s_or_b32 exec_lo, exec_lo, s10
	s_and_saveexec_b32 s9, s8
	s_cbranch_execz .LBB247_172
.LBB247_212:
	v_lshlrev_b32_e32 v2, 16, v12
	s_mov_b32 s10, exec_lo
	s_delay_alu instid0(VALU_DEP_1)
	v_cmpx_o_f32_e32 v2, v2
	s_cbranch_execz .LBB247_216
; %bb.213:
	s_wait_loadcnt 0x0
	v_lshlrev_b32_e32 v3, 16, v14
	s_mov_b32 s11, exec_lo
	s_delay_alu instid0(VALU_DEP_1)
	v_cmpx_o_f32_e32 v3, v3
; %bb.214:
	v_cmp_lt_f32_e64 s8, v2, v3
	s_delay_alu instid0(VALU_DEP_1)
	v_cndmask_b32_e64 v14, v12, v14, s8
; %bb.215:
	s_or_b32 exec_lo, exec_lo, s11
	s_delay_alu instid0(VALU_DEP_1)
	v_mov_b32_e32 v12, v14
.LBB247_216:
	s_or_b32 exec_lo, exec_lo, s10
	s_delay_alu instid0(SALU_CYCLE_1)
	s_or_b32 exec_lo, exec_lo, s9
	s_and_saveexec_b32 s8, s7
	s_cbranch_execz .LBB247_173
.LBB247_217:
	v_lshlrev_b32_e32 v2, 16, v12
	s_mov_b32 s9, exec_lo
	s_delay_alu instid0(VALU_DEP_1)
	v_cmpx_o_f32_e32 v2, v2
	s_cbranch_execz .LBB247_221
; %bb.218:
	s_wait_loadcnt 0x0
	v_lshlrev_b32_e32 v3, 16, v13
	s_mov_b32 s10, exec_lo
	s_delay_alu instid0(VALU_DEP_1)
	v_cmpx_o_f32_e32 v3, v3
; %bb.219:
	v_cmp_lt_f32_e64 s7, v2, v3
	s_delay_alu instid0(VALU_DEP_1)
	v_cndmask_b32_e64 v13, v12, v13, s7
; %bb.220:
	s_or_b32 exec_lo, exec_lo, s10
	s_delay_alu instid0(VALU_DEP_1)
	v_mov_b32_e32 v12, v13
.LBB247_221:
	s_or_b32 exec_lo, exec_lo, s9
	s_delay_alu instid0(SALU_CYCLE_1)
	s_or_b32 exec_lo, exec_lo, s8
	s_and_saveexec_b32 s7, s6
	s_cbranch_execz .LBB247_174
.LBB247_222:
	v_lshlrev_b32_e32 v2, 16, v12
	s_mov_b32 s8, exec_lo
	s_delay_alu instid0(VALU_DEP_1)
	v_cmpx_o_f32_e32 v2, v2
	s_cbranch_execz .LBB247_226
; %bb.223:
	s_wait_loadcnt 0x0
	v_lshlrev_b32_e32 v3, 16, v11
	s_mov_b32 s9, exec_lo
	s_delay_alu instid0(VALU_DEP_1)
	v_cmpx_o_f32_e32 v3, v3
; %bb.224:
	v_cmp_lt_f32_e64 s6, v2, v3
	s_delay_alu instid0(VALU_DEP_1)
	v_cndmask_b32_e64 v11, v12, v11, s6
; %bb.225:
	s_or_b32 exec_lo, exec_lo, s9
	s_delay_alu instid0(VALU_DEP_1)
	v_mov_b32_e32 v12, v11
.LBB247_226:
	s_or_b32 exec_lo, exec_lo, s8
	s_delay_alu instid0(SALU_CYCLE_1)
	s_or_b32 exec_lo, exec_lo, s7
	s_and_saveexec_b32 s6, s5
	s_cbranch_execz .LBB247_175
.LBB247_227:
	v_lshlrev_b32_e32 v2, 16, v12
	s_mov_b32 s7, exec_lo
	s_delay_alu instid0(VALU_DEP_1)
	v_cmpx_o_f32_e32 v2, v2
	s_cbranch_execz .LBB247_231
; %bb.228:
	s_wait_loadcnt 0x0
	v_lshlrev_b32_e32 v3, 16, v10
	s_mov_b32 s8, exec_lo
	s_delay_alu instid0(VALU_DEP_1)
	v_cmpx_o_f32_e32 v3, v3
; %bb.229:
	v_cmp_lt_f32_e64 s5, v2, v3
	s_delay_alu instid0(VALU_DEP_1)
	v_cndmask_b32_e64 v10, v12, v10, s5
; %bb.230:
	s_or_b32 exec_lo, exec_lo, s8
	s_delay_alu instid0(VALU_DEP_1)
	v_mov_b32_e32 v12, v10
.LBB247_231:
	s_or_b32 exec_lo, exec_lo, s7
	s_delay_alu instid0(SALU_CYCLE_1)
	s_or_b32 exec_lo, exec_lo, s6
	s_and_saveexec_b32 s5, s4
	s_cbranch_execz .LBB247_176
.LBB247_232:
	v_lshlrev_b32_e32 v2, 16, v12
	s_mov_b32 s6, exec_lo
	s_delay_alu instid0(VALU_DEP_1)
	v_cmpx_o_f32_e32 v2, v2
	s_cbranch_execz .LBB247_236
; %bb.233:
	s_wait_loadcnt 0x0
	v_lshlrev_b32_e32 v3, 16, v9
	s_mov_b32 s7, exec_lo
	s_delay_alu instid0(VALU_DEP_1)
	v_cmpx_o_f32_e32 v3, v3
; %bb.234:
	v_cmp_lt_f32_e64 s4, v2, v3
	s_delay_alu instid0(VALU_DEP_1)
	v_cndmask_b32_e64 v9, v12, v9, s4
; %bb.235:
	s_or_b32 exec_lo, exec_lo, s7
	s_delay_alu instid0(VALU_DEP_1)
	v_mov_b32_e32 v12, v9
.LBB247_236:
	s_or_b32 exec_lo, exec_lo, s6
	s_delay_alu instid0(SALU_CYCLE_1)
	s_or_b32 exec_lo, exec_lo, s5
	s_and_saveexec_b32 s4, s3
	s_cbranch_execz .LBB247_177
.LBB247_237:
	v_lshlrev_b32_e32 v2, 16, v12
	s_mov_b32 s5, exec_lo
	s_delay_alu instid0(VALU_DEP_1)
	v_cmpx_o_f32_e32 v2, v2
	s_cbranch_execz .LBB247_241
; %bb.238:
	s_wait_loadcnt 0x0
	v_lshlrev_b32_e32 v3, 16, v8
	s_mov_b32 s6, exec_lo
	s_delay_alu instid0(VALU_DEP_1)
	v_cmpx_o_f32_e32 v3, v3
; %bb.239:
	v_cmp_lt_f32_e64 s3, v2, v3
	s_delay_alu instid0(VALU_DEP_1)
	v_cndmask_b32_e64 v8, v12, v8, s3
; %bb.240:
	s_or_b32 exec_lo, exec_lo, s6
	s_delay_alu instid0(VALU_DEP_1)
	v_mov_b32_e32 v12, v8
.LBB247_241:
	s_or_b32 exec_lo, exec_lo, s5
	s_delay_alu instid0(SALU_CYCLE_1)
	s_or_b32 exec_lo, exec_lo, s4
	s_and_saveexec_b32 s3, s2
	s_cbranch_execz .LBB247_178
.LBB247_242:
	v_lshlrev_b32_e32 v2, 16, v12
	s_mov_b32 s4, exec_lo
	s_delay_alu instid0(VALU_DEP_1)
	v_cmpx_o_f32_e32 v2, v2
	s_cbranch_execz .LBB247_246
; %bb.243:
	s_wait_loadcnt 0x0
	v_lshlrev_b32_e32 v3, 16, v7
	s_mov_b32 s5, exec_lo
	s_delay_alu instid0(VALU_DEP_1)
	v_cmpx_o_f32_e32 v3, v3
; %bb.244:
	v_cmp_lt_f32_e64 s2, v2, v3
	s_delay_alu instid0(VALU_DEP_1)
	v_cndmask_b32_e64 v7, v12, v7, s2
; %bb.245:
	s_or_b32 exec_lo, exec_lo, s5
	s_delay_alu instid0(VALU_DEP_1)
	v_mov_b32_e32 v12, v7
.LBB247_246:
	s_or_b32 exec_lo, exec_lo, s4
	s_delay_alu instid0(SALU_CYCLE_1)
	s_or_b32 exec_lo, exec_lo, s3
	s_and_saveexec_b32 s2, s1
	s_cbranch_execz .LBB247_179
.LBB247_247:
	v_lshlrev_b32_e32 v2, 16, v12
	s_mov_b32 s3, exec_lo
	s_delay_alu instid0(VALU_DEP_1)
	v_cmpx_o_f32_e32 v2, v2
	s_cbranch_execz .LBB247_251
; %bb.248:
	s_wait_loadcnt 0x0
	v_lshlrev_b32_e32 v3, 16, v5
	s_mov_b32 s4, exec_lo
	s_delay_alu instid0(VALU_DEP_1)
	v_cmpx_o_f32_e32 v3, v3
; %bb.249:
	v_cmp_lt_f32_e64 s1, v2, v3
	s_delay_alu instid0(VALU_DEP_1)
	v_cndmask_b32_e64 v5, v12, v5, s1
; %bb.250:
	s_or_b32 exec_lo, exec_lo, s4
	s_delay_alu instid0(VALU_DEP_1)
	v_mov_b32_e32 v12, v5
.LBB247_251:
	s_or_b32 exec_lo, exec_lo, s3
	s_delay_alu instid0(SALU_CYCLE_1)
	s_or_b32 exec_lo, exec_lo, s2
	s_and_saveexec_b32 s1, s0
	s_cbranch_execz .LBB247_180
.LBB247_252:
	v_lshlrev_b32_e32 v2, 16, v12
	s_mov_b32 s2, exec_lo
	s_delay_alu instid0(VALU_DEP_1)
	v_cmpx_o_f32_e32 v2, v2
	s_cbranch_execz .LBB247_256
; %bb.253:
	s_wait_loadcnt 0x0
	v_lshlrev_b32_e32 v3, 16, v4
	s_mov_b32 s3, exec_lo
	s_delay_alu instid0(VALU_DEP_1)
	v_cmpx_o_f32_e32 v3, v3
; %bb.254:
	v_cmp_lt_f32_e64 s0, v2, v3
	s_delay_alu instid0(VALU_DEP_1)
	v_cndmask_b32_e64 v4, v12, v4, s0
; %bb.255:
	s_or_b32 exec_lo, exec_lo, s3
	s_delay_alu instid0(VALU_DEP_1)
	v_mov_b32_e32 v12, v4
.LBB247_256:
	s_or_b32 exec_lo, exec_lo, s2
	s_delay_alu instid0(SALU_CYCLE_1)
	s_or_b32 exec_lo, exec_lo, s1
	s_and_saveexec_b32 s0, vcc_lo
	s_cbranch_execz .LBB247_262
.LBB247_257:
	v_lshlrev_b32_e32 v2, 16, v12
	s_mov_b32 s1, exec_lo
	s_delay_alu instid0(VALU_DEP_1)
	v_cmpx_o_f32_e32 v2, v2
	s_cbranch_execz .LBB247_261
; %bb.258:
	s_wait_loadcnt 0x0
	v_lshlrev_b32_e32 v3, 16, v1
	s_mov_b32 s2, exec_lo
	s_delay_alu instid0(VALU_DEP_1)
	v_cmpx_o_f32_e32 v3, v3
; %bb.259:
	v_cmp_lt_f32_e32 vcc_lo, v2, v3
	v_cndmask_b32_e32 v1, v12, v1, vcc_lo
; %bb.260:
	s_or_b32 exec_lo, exec_lo, s2
	s_delay_alu instid0(VALU_DEP_1)
	v_mov_b32_e32 v12, v1
.LBB247_261:
	s_or_b32 exec_lo, exec_lo, s1
.LBB247_262:
	s_delay_alu instid0(SALU_CYCLE_1) | instskip(NEXT) | instid1(VALU_DEP_1)
	s_or_b32 exec_lo, exec_lo, s0
	v_and_b32_e32 v3, 0xffff, v12
	s_mov_b32 s0, exec_lo
	s_wait_loadcnt 0x0
	s_delay_alu instid0(VALU_DEP_1) | instskip(NEXT) | instid1(VALU_DEP_1)
	v_mov_b32_dpp v1, v3 quad_perm:[1,0,3,2] row_mask:0xf bank_mask:0xf
	v_lshlrev_b32_e32 v2, 16, v1
	s_delay_alu instid0(VALU_DEP_1)
	v_cmpx_o_f32_e32 v2, v2
	s_xor_b32 s0, exec_lo, s0
	s_cbranch_execz .LBB247_266
; %bb.263:
	v_lshlrev_b32_e32 v3, 16, v3
	s_mov_b32 s1, exec_lo
	s_delay_alu instid0(VALU_DEP_1)
	v_cmpx_o_f32_e32 v3, v3
; %bb.264:
	v_cmp_lt_f32_e32 vcc_lo, v2, v3
	v_cndmask_b32_e32 v12, v1, v12, vcc_lo
; %bb.265:
	s_or_b32 exec_lo, exec_lo, s1
	s_delay_alu instid0(VALU_DEP_1)
	v_mov_b32_e32 v1, v12
.LBB247_266:
	s_or_b32 exec_lo, exec_lo, s0
	s_delay_alu instid0(VALU_DEP_1) | instskip(SKIP_1) | instid1(VALU_DEP_1)
	v_and_b32_e32 v4, 0xffff, v1
	s_mov_b32 s0, exec_lo
	v_mov_b32_dpp v2, v4 quad_perm:[2,3,0,1] row_mask:0xf bank_mask:0xf
	s_delay_alu instid0(VALU_DEP_1) | instskip(NEXT) | instid1(VALU_DEP_1)
	v_lshlrev_b32_e32 v3, 16, v2
	v_cmpx_o_f32_e32 v3, v3
	s_cbranch_execz .LBB247_270
; %bb.267:
	v_lshlrev_b32_e32 v4, 16, v4
	s_mov_b32 s1, exec_lo
	s_delay_alu instid0(VALU_DEP_1)
	v_cmpx_o_f32_e32 v4, v4
; %bb.268:
	v_cmp_lt_f32_e32 vcc_lo, v3, v4
	v_cndmask_b32_e32 v1, v2, v1, vcc_lo
; %bb.269:
	s_or_b32 exec_lo, exec_lo, s1
	s_delay_alu instid0(VALU_DEP_1)
	v_mov_b32_e32 v2, v1
.LBB247_270:
	s_or_b32 exec_lo, exec_lo, s0
	s_delay_alu instid0(VALU_DEP_1) | instskip(SKIP_1) | instid1(VALU_DEP_1)
	v_and_b32_e32 v4, 0xffff, v2
	s_mov_b32 s0, exec_lo
	v_mov_b32_dpp v1, v4 row_ror:4 row_mask:0xf bank_mask:0xf
	s_delay_alu instid0(VALU_DEP_1) | instskip(NEXT) | instid1(VALU_DEP_1)
	v_lshlrev_b32_e32 v3, 16, v1
	v_cmpx_o_f32_e32 v3, v3
	s_cbranch_execz .LBB247_274
; %bb.271:
	v_lshlrev_b32_e32 v4, 16, v4
	s_mov_b32 s1, exec_lo
	s_delay_alu instid0(VALU_DEP_1)
	v_cmpx_o_f32_e32 v4, v4
; %bb.272:
	v_cmp_lt_f32_e32 vcc_lo, v3, v4
	v_cndmask_b32_e32 v2, v1, v2, vcc_lo
; %bb.273:
	s_or_b32 exec_lo, exec_lo, s1
	s_delay_alu instid0(VALU_DEP_1)
	v_mov_b32_e32 v1, v2
.LBB247_274:
	s_or_b32 exec_lo, exec_lo, s0
	s_delay_alu instid0(VALU_DEP_1) | instskip(SKIP_1) | instid1(VALU_DEP_1)
	v_and_b32_e32 v4, 0xffff, v1
	s_mov_b32 s0, exec_lo
	v_mov_b32_dpp v2, v4 row_ror:8 row_mask:0xf bank_mask:0xf
	s_delay_alu instid0(VALU_DEP_1) | instskip(NEXT) | instid1(VALU_DEP_1)
	v_lshlrev_b32_e32 v3, 16, v2
	v_cmpx_o_f32_e32 v3, v3
	s_cbranch_execz .LBB247_278
; %bb.275:
	v_lshlrev_b32_e32 v4, 16, v4
	s_mov_b32 s1, exec_lo
	s_delay_alu instid0(VALU_DEP_1)
	v_cmpx_o_f32_e32 v4, v4
; %bb.276:
	v_cmp_lt_f32_e32 vcc_lo, v3, v4
	v_cndmask_b32_e32 v1, v2, v1, vcc_lo
; %bb.277:
	s_or_b32 exec_lo, exec_lo, s1
	s_delay_alu instid0(VALU_DEP_1)
	v_mov_b32_e32 v2, v1
.LBB247_278:
	s_or_b32 exec_lo, exec_lo, s0
	s_delay_alu instid0(VALU_DEP_1) | instskip(SKIP_4) | instid1(VALU_DEP_1)
	v_and_b32_e32 v4, 0xffff, v2
	s_mov_b32 s0, exec_lo
	ds_swizzle_b32 v1, v4 offset:swizzle(BROADCAST,32,15)
	s_wait_dscnt 0x0
	v_lshlrev_b32_e32 v3, 16, v1
	v_cmpx_o_f32_e32 v3, v3
	s_cbranch_execz .LBB247_282
; %bb.279:
	v_lshlrev_b32_e32 v4, 16, v4
	s_mov_b32 s1, exec_lo
	s_delay_alu instid0(VALU_DEP_1)
	v_cmpx_o_f32_e32 v4, v4
; %bb.280:
	v_cmp_lt_f32_e32 vcc_lo, v3, v4
	v_cndmask_b32_e32 v2, v1, v2, vcc_lo
; %bb.281:
	s_or_b32 exec_lo, exec_lo, s1
	s_delay_alu instid0(VALU_DEP_1)
	v_mov_b32_e32 v1, v2
.LBB247_282:
	s_or_b32 exec_lo, exec_lo, s0
	s_delay_alu instid0(VALU_DEP_1) | instskip(SKIP_4) | instid1(VALU_DEP_1)
	v_and_b32_e32 v1, 0xffff, v1
	v_mov_b32_e32 v2, 0
	s_mov_b32 s0, exec_lo
	ds_bpermute_b32 v2, v2, v1 offset:124
	v_mbcnt_lo_u32_b32 v1, -1, 0
	v_cmpx_eq_u32_e32 0, v1
	s_cbranch_execz .LBB247_284
; %bb.283:
	v_lshrrev_b32_e32 v3, 4, v0
	s_delay_alu instid0(VALU_DEP_1)
	v_and_b32_e32 v3, 14, v3
	s_wait_dscnt 0x0
	ds_store_b16 v3, v2
.LBB247_284:
	s_or_b32 exec_lo, exec_lo, s0
	s_delay_alu instid0(SALU_CYCLE_1)
	s_mov_b32 s0, exec_lo
	s_wait_dscnt 0x0
	s_barrier_signal -1
	s_barrier_wait -1
	v_cmpx_gt_u32_e32 32, v0
	s_cbranch_execz .LBB247_298
; %bb.285:
	v_and_b32_e32 v3, 7, v1
	s_mov_b32 s1, exec_lo
	s_delay_alu instid0(VALU_DEP_1) | instskip(SKIP_1) | instid1(VALU_DEP_1)
	v_cmp_ne_u32_e32 vcc_lo, 7, v3
	v_add_co_ci_u32_e64 v4, null, 0, v1, vcc_lo
	v_dual_lshlrev_b32 v4, 2, v4 :: v_dual_lshlrev_b32 v2, 1, v3
	ds_load_u16 v2, v2
	s_wait_dscnt 0x0
	v_and_b32_e32 v5, 0xffff, v2
	ds_bpermute_b32 v4, v4, v5
	v_lshlrev_b32_e32 v5, 16, v2
	s_delay_alu instid0(VALU_DEP_1)
	v_cmpx_o_f32_e32 v5, v5
	s_cbranch_execz .LBB247_289
; %bb.286:
	s_wait_dscnt 0x0
	v_lshlrev_b32_e32 v7, 16, v4
	s_mov_b32 s2, exec_lo
	s_delay_alu instid0(VALU_DEP_1)
	v_cmpx_o_f32_e32 v7, v7
; %bb.287:
	v_cmp_lt_f32_e32 vcc_lo, v5, v7
	v_cndmask_b32_e32 v4, v2, v4, vcc_lo
; %bb.288:
	s_or_b32 exec_lo, exec_lo, s2
	s_delay_alu instid0(VALU_DEP_1)
	v_mov_b32_e32 v2, v4
.LBB247_289:
	s_or_b32 exec_lo, exec_lo, s1
	v_cmp_gt_u32_e32 vcc_lo, 6, v3
	s_wait_dscnt 0x0
	s_delay_alu instid0(VALU_DEP_2) | instskip(SKIP_2) | instid1(VALU_DEP_1)
	v_and_b32_e32 v4, 0xffff, v2
	s_mov_b32 s1, exec_lo
	v_cndmask_b32_e64 v3, 0, 2, vcc_lo
	v_add_lshl_u32 v3, v3, v1, 2
	v_lshlrev_b32_e32 v1, 2, v1
	ds_bpermute_b32 v3, v3, v4
	v_lshlrev_b32_e32 v4, 16, v2
	s_delay_alu instid0(VALU_DEP_1)
	v_cmpx_o_f32_e32 v4, v4
	s_cbranch_execz .LBB247_293
; %bb.290:
	s_wait_dscnt 0x0
	v_lshlrev_b32_e32 v5, 16, v3
	s_mov_b32 s2, exec_lo
	s_delay_alu instid0(VALU_DEP_1)
	v_cmpx_o_f32_e32 v5, v5
; %bb.291:
	v_cmp_lt_f32_e32 vcc_lo, v4, v5
	v_cndmask_b32_e32 v3, v2, v3, vcc_lo
; %bb.292:
	s_or_b32 exec_lo, exec_lo, s2
	s_delay_alu instid0(VALU_DEP_1)
	v_mov_b32_e32 v2, v3
.LBB247_293:
	s_or_b32 exec_lo, exec_lo, s1
	v_or_b32_e32 v1, 16, v1
	s_wait_dscnt 0x0
	s_delay_alu instid0(VALU_DEP_2) | instskip(SKIP_3) | instid1(VALU_DEP_1)
	v_and_b32_e32 v3, 0xffff, v2
	s_mov_b32 s1, exec_lo
	ds_bpermute_b32 v1, v1, v3
	v_lshlrev_b32_e32 v3, 16, v2
	v_cmpx_o_f32_e32 v3, v3
	s_cbranch_execz .LBB247_297
; %bb.294:
	s_wait_dscnt 0x0
	v_lshlrev_b32_e32 v4, 16, v1
	s_mov_b32 s2, exec_lo
	s_delay_alu instid0(VALU_DEP_1)
	v_cmpx_o_f32_e32 v4, v4
; %bb.295:
	v_cmp_lt_f32_e32 vcc_lo, v3, v4
	v_cndmask_b32_e32 v1, v2, v1, vcc_lo
; %bb.296:
	s_or_b32 exec_lo, exec_lo, s2
	s_delay_alu instid0(VALU_DEP_1)
	v_mov_b32_e32 v2, v1
.LBB247_297:
	s_or_b32 exec_lo, exec_lo, s1
.LBB247_298:
	s_delay_alu instid0(SALU_CYCLE_1)
	s_or_b32 exec_lo, exec_lo, s0
	s_branch .LBB247_401
.LBB247_299:
	s_sub_co_i32 s0, s24, s26
	s_mov_b32 s1, exec_lo
                                        ; implicit-def: $vgpr7
	v_cmpx_gt_u32_e64 s0, v0
	s_cbranch_execz .LBB247_309
; %bb.300:
	s_wait_dscnt 0x0
	v_mov_b32_e32 v1, 0
	s_mov_b32 s2, exec_lo
	s_delay_alu instid0(VALU_DEP_1) | instskip(NEXT) | instid1(VALU_DEP_1)
	v_add_nc_u64_e32 v[2:3], s[26:27], v[0:1]
	v_lshl_add_u64 v[4:5], v[2:3], 1, s[16:17]
	v_add_nc_u64_e32 v[2:3], 0x100, v[2:3]
	global_load_u16 v7, v[4:5], off
	s_wait_xcnt 0x0
	v_cmpx_gt_i64_e64 s[24:25], v[2:3]
	s_cbranch_execz .LBB247_308
; %bb.301:
	v_add_nc_u64_e32 v[4:5], 0x200, v[4:5]
	s_mov_b32 s3, 0
	s_branch .LBB247_304
.LBB247_302:                            ;   in Loop: Header=BB247_304 Depth=1
	s_or_b32 exec_lo, exec_lo, s5
	s_delay_alu instid0(VALU_DEP_1)
	v_mov_b32_e32 v7, v8
.LBB247_303:                            ;   in Loop: Header=BB247_304 Depth=1
	s_or_b32 exec_lo, exec_lo, s4
	v_add_nc_u64_e32 v[2:3], 0x100, v[2:3]
	v_add_nc_u64_e32 v[4:5], 0x200, v[4:5]
	s_delay_alu instid0(VALU_DEP_2) | instskip(SKIP_1) | instid1(SALU_CYCLE_1)
	v_cmp_le_i64_e32 vcc_lo, s[24:25], v[2:3]
	s_or_b32 s3, vcc_lo, s3
	s_and_not1_b32 exec_lo, exec_lo, s3
	s_cbranch_execz .LBB247_307
.LBB247_304:                            ; =>This Inner Loop Header: Depth=1
	s_wait_loadcnt 0x0
	v_lshlrev_b32_e32 v1, 16, v7
	s_mov_b32 s4, exec_lo
	s_delay_alu instid0(VALU_DEP_1)
	v_cmpx_o_f32_e32 v1, v1
	s_cbranch_execz .LBB247_303
; %bb.305:                              ;   in Loop: Header=BB247_304 Depth=1
	global_load_u16 v8, v[4:5], off
	s_mov_b32 s5, exec_lo
	s_wait_loadcnt 0x0
	v_lshlrev_b32_e32 v9, 16, v8
	s_delay_alu instid0(VALU_DEP_1)
	v_cmpx_o_f32_e32 v9, v9
	s_cbranch_execz .LBB247_302
; %bb.306:                              ;   in Loop: Header=BB247_304 Depth=1
	v_cmp_lt_f32_e32 vcc_lo, v1, v9
	v_cndmask_b32_e32 v8, v7, v8, vcc_lo
	s_branch .LBB247_302
.LBB247_307:
	s_or_b32 exec_lo, exec_lo, s3
.LBB247_308:
	s_delay_alu instid0(SALU_CYCLE_1)
	s_or_b32 exec_lo, exec_lo, s2
.LBB247_309:
	s_delay_alu instid0(SALU_CYCLE_1)
	s_or_b32 exec_lo, exec_lo, s1
	v_lshrrev_b32_e32 v3, 5, v0
	s_wait_dscnt 0x0
	v_mbcnt_lo_u32_b32 v1, -1, 0
	s_wait_loadcnt 0x0
	v_and_b32_e32 v4, 0xffff, v7
	s_cmp_lt_u32 s0, 0x100
	s_mov_b32 s1, -1
                                        ; implicit-def: $vgpr2
	s_cbranch_scc0 .LBB247_363
; %bb.310:
	v_cmp_ne_u32_e32 vcc_lo, 31, v1
	v_mov_b32_e32 v9, v4
	v_add_co_ci_u32_e64 v2, null, 0, v1, vcc_lo
	s_delay_alu instid0(VALU_DEP_1) | instskip(SKIP_2) | instid1(VALU_DEP_1)
	v_lshlrev_b32_e32 v2, 2, v2
	ds_bpermute_b32 v8, v2, v4
	v_and_b32_e32 v2, 0xe0, v0
	v_sub_nc_u32_e64 v5, s0, v2 clamp
	v_add_nc_u32_e32 v2, 1, v1
	s_delay_alu instid0(VALU_DEP_1)
	v_cmp_lt_u32_e32 vcc_lo, v2, v5
	v_mov_b32_e32 v2, v7
	s_and_saveexec_b32 s1, vcc_lo
	s_cbranch_execz .LBB247_316
; %bb.311:
	v_dual_mov_b32 v2, v7 :: v_dual_lshlrev_b32 v9, 16, v4
	s_mov_b32 s2, exec_lo
	s_delay_alu instid0(VALU_DEP_1)
	v_cmpx_o_f32_e32 v9, v9
	s_cbranch_execz .LBB247_315
; %bb.312:
	s_wait_dscnt 0x0
	v_lshlrev_b32_e32 v2, 16, v8
	s_mov_b32 s3, exec_lo
	s_delay_alu instid0(VALU_DEP_1)
	v_cmpx_o_f32_e32 v2, v2
; %bb.313:
	v_cmp_lt_f32_e32 vcc_lo, v9, v2
	v_cndmask_b32_e32 v8, v7, v8, vcc_lo
; %bb.314:
	s_or_b32 exec_lo, exec_lo, s3
	s_delay_alu instid0(VALU_DEP_1)
	v_mov_b32_e32 v2, v8
.LBB247_315:
	s_or_b32 exec_lo, exec_lo, s2
	s_delay_alu instid0(VALU_DEP_1)
	v_and_b32_e32 v9, 0xffff, v2
.LBB247_316:
	s_or_b32 exec_lo, exec_lo, s1
	v_cmp_gt_u32_e32 vcc_lo, 30, v1
	v_add_nc_u32_e32 v10, 2, v1
	s_mov_b32 s1, exec_lo
	s_wait_dscnt 0x0
	v_cndmask_b32_e64 v8, 0, 2, vcc_lo
	s_delay_alu instid0(VALU_DEP_1)
	v_add_lshl_u32 v8, v8, v1, 2
	ds_bpermute_b32 v8, v8, v9
	v_cmpx_lt_u32_e64 v10, v5
	s_cbranch_execz .LBB247_322
; %bb.317:
	v_lshlrev_b32_e32 v9, 16, v9
	s_mov_b32 s2, exec_lo
	s_delay_alu instid0(VALU_DEP_1)
	v_cmpx_o_f32_e32 v9, v9
	s_cbranch_execz .LBB247_321
; %bb.318:
	s_wait_dscnt 0x0
	v_lshlrev_b32_e32 v10, 16, v8
	s_mov_b32 s3, exec_lo
	s_delay_alu instid0(VALU_DEP_1)
	v_cmpx_o_f32_e32 v10, v10
; %bb.319:
	v_cmp_lt_f32_e32 vcc_lo, v9, v10
	v_cndmask_b32_e32 v8, v2, v8, vcc_lo
; %bb.320:
	s_or_b32 exec_lo, exec_lo, s3
	s_delay_alu instid0(VALU_DEP_1)
	v_mov_b32_e32 v2, v8
.LBB247_321:
	s_or_b32 exec_lo, exec_lo, s2
	s_delay_alu instid0(VALU_DEP_1)
	v_and_b32_e32 v9, 0xffff, v2
.LBB247_322:
	s_or_b32 exec_lo, exec_lo, s1
	v_cmp_gt_u32_e32 vcc_lo, 28, v1
	v_add_nc_u32_e32 v10, 4, v1
	s_mov_b32 s1, exec_lo
	s_wait_dscnt 0x0
	v_cndmask_b32_e64 v8, 0, 4, vcc_lo
	s_delay_alu instid0(VALU_DEP_1)
	v_add_lshl_u32 v8, v8, v1, 2
	ds_bpermute_b32 v8, v8, v9
	v_cmpx_lt_u32_e64 v10, v5
	s_cbranch_execz .LBB247_328
; %bb.323:
	v_lshlrev_b32_e32 v9, 16, v9
	s_mov_b32 s2, exec_lo
	s_delay_alu instid0(VALU_DEP_1)
	v_cmpx_o_f32_e32 v9, v9
	s_cbranch_execz .LBB247_327
; %bb.324:
	s_wait_dscnt 0x0
	v_lshlrev_b32_e32 v10, 16, v8
	s_mov_b32 s3, exec_lo
	s_delay_alu instid0(VALU_DEP_1)
	v_cmpx_o_f32_e32 v10, v10
; %bb.325:
	v_cmp_lt_f32_e32 vcc_lo, v9, v10
	v_cndmask_b32_e32 v8, v2, v8, vcc_lo
; %bb.326:
	s_or_b32 exec_lo, exec_lo, s3
	s_delay_alu instid0(VALU_DEP_1)
	v_mov_b32_e32 v2, v8
.LBB247_327:
	s_or_b32 exec_lo, exec_lo, s2
	s_delay_alu instid0(VALU_DEP_1)
	v_and_b32_e32 v9, 0xffff, v2
.LBB247_328:
	;; [unrolled: 35-line block ×3, first 2 shown]
	s_or_b32 exec_lo, exec_lo, s1
	s_wait_dscnt 0x0
	v_dual_lshlrev_b32 v8, 2, v1 :: v_dual_add_nc_u32 v11, 16, v1
	s_mov_b32 s1, exec_lo
	s_delay_alu instid0(VALU_DEP_1)
	v_or_b32_e32 v10, 64, v8
	ds_bpermute_b32 v10, v10, v9
	v_cmpx_lt_u32_e64 v11, v5
	s_cbranch_execz .LBB247_340
; %bb.335:
	v_lshlrev_b32_e32 v5, 16, v9
	s_mov_b32 s2, exec_lo
	s_delay_alu instid0(VALU_DEP_1)
	v_cmpx_o_f32_e32 v5, v5
	s_cbranch_execz .LBB247_339
; %bb.336:
	s_wait_dscnt 0x0
	v_lshlrev_b32_e32 v9, 16, v10
	s_mov_b32 s3, exec_lo
	s_delay_alu instid0(VALU_DEP_1)
	v_cmpx_o_f32_e32 v9, v9
; %bb.337:
	v_cmp_lt_f32_e32 vcc_lo, v5, v9
	v_cndmask_b32_e32 v10, v2, v10, vcc_lo
; %bb.338:
	s_or_b32 exec_lo, exec_lo, s3
	s_delay_alu instid0(VALU_DEP_1)
	v_mov_b32_e32 v2, v10
.LBB247_339:
	s_or_b32 exec_lo, exec_lo, s2
.LBB247_340:
	s_delay_alu instid0(SALU_CYCLE_1) | instskip(NEXT) | instid1(SALU_CYCLE_1)
	s_or_b32 exec_lo, exec_lo, s1
	s_mov_b32 s1, exec_lo
	v_cmpx_eq_u32_e32 0, v1
; %bb.341:
	v_lshlrev_b32_e32 v5, 1, v3
	ds_store_b16 v5, v2
; %bb.342:
	s_or_b32 exec_lo, exec_lo, s1
	s_delay_alu instid0(SALU_CYCLE_1)
	s_mov_b32 s1, exec_lo
	s_wait_dscnt 0x0
	s_barrier_signal -1
	s_barrier_wait -1
	v_cmpx_gt_u32_e32 8, v0
	s_cbranch_execz .LBB247_362
; %bb.343:
	v_dual_lshlrev_b32 v2, 1, v1 :: v_dual_bitop2_b32 v5, 7, v1 bitop3:0x40
	s_add_co_i32 s0, s0, 31
	s_mov_b32 s2, exec_lo
	s_lshr_b32 s0, s0, 5
	ds_load_u16 v2, v2
	v_cmp_ne_u32_e32 vcc_lo, 7, v5
	v_add_nc_u32_e32 v11, 1, v5
	v_add_co_ci_u32_e64 v9, null, 0, v1, vcc_lo
	s_delay_alu instid0(VALU_DEP_1)
	v_lshlrev_b32_e32 v10, 2, v9
	s_wait_dscnt 0x0
	v_and_b32_e32 v9, 0xffff, v2
	ds_bpermute_b32 v10, v10, v9
	v_cmpx_gt_u32_e64 s0, v11
	s_cbranch_execz .LBB247_349
; %bb.344:
	v_lshlrev_b32_e32 v9, 16, v9
	s_mov_b32 s3, exec_lo
	s_delay_alu instid0(VALU_DEP_1)
	v_cmpx_o_f32_e32 v9, v9
	s_cbranch_execz .LBB247_348
; %bb.345:
	s_wait_dscnt 0x0
	v_lshlrev_b32_e32 v11, 16, v10
	s_mov_b32 s4, exec_lo
	s_delay_alu instid0(VALU_DEP_1)
	v_cmpx_o_f32_e32 v11, v11
; %bb.346:
	v_cmp_lt_f32_e32 vcc_lo, v9, v11
	v_cndmask_b32_e32 v10, v2, v10, vcc_lo
; %bb.347:
	s_or_b32 exec_lo, exec_lo, s4
	s_delay_alu instid0(VALU_DEP_1)
	v_mov_b32_e32 v2, v10
.LBB247_348:
	s_or_b32 exec_lo, exec_lo, s3
	s_delay_alu instid0(VALU_DEP_1)
	v_and_b32_e32 v9, 0xffff, v2
.LBB247_349:
	s_or_b32 exec_lo, exec_lo, s2
	v_cmp_gt_u32_e32 vcc_lo, 6, v5
	v_add_nc_u32_e32 v11, 2, v5
	s_mov_b32 s2, exec_lo
	s_wait_dscnt 0x0
	v_cndmask_b32_e64 v10, 0, 2, vcc_lo
	s_delay_alu instid0(VALU_DEP_1)
	v_add_lshl_u32 v10, v10, v1, 2
	ds_bpermute_b32 v10, v10, v9
	v_cmpx_gt_u32_e64 s0, v11
	s_cbranch_execz .LBB247_355
; %bb.350:
	v_lshlrev_b32_e32 v9, 16, v9
	s_mov_b32 s3, exec_lo
	s_delay_alu instid0(VALU_DEP_1)
	v_cmpx_o_f32_e32 v9, v9
	s_cbranch_execz .LBB247_354
; %bb.351:
	s_wait_dscnt 0x0
	v_lshlrev_b32_e32 v11, 16, v10
	s_mov_b32 s4, exec_lo
	s_delay_alu instid0(VALU_DEP_1)
	v_cmpx_o_f32_e32 v11, v11
; %bb.352:
	v_cmp_lt_f32_e32 vcc_lo, v9, v11
	v_cndmask_b32_e32 v10, v2, v10, vcc_lo
; %bb.353:
	s_or_b32 exec_lo, exec_lo, s4
	s_delay_alu instid0(VALU_DEP_1)
	v_mov_b32_e32 v2, v10
.LBB247_354:
	s_or_b32 exec_lo, exec_lo, s3
	s_delay_alu instid0(VALU_DEP_1)
	v_and_b32_e32 v9, 0xffff, v2
.LBB247_355:
	s_or_b32 exec_lo, exec_lo, s2
	v_dual_add_nc_u32 v5, 4, v5 :: v_dual_bitop2_b32 v8, 16, v8 bitop3:0x54
	ds_bpermute_b32 v8, v8, v9
	v_cmp_gt_u32_e32 vcc_lo, s0, v5
	s_and_saveexec_b32 s0, vcc_lo
	s_cbranch_execz .LBB247_361
; %bb.356:
	v_lshlrev_b32_e32 v5, 16, v9
	s_mov_b32 s2, exec_lo
	s_delay_alu instid0(VALU_DEP_1)
	v_cmpx_o_f32_e32 v5, v5
	s_cbranch_execz .LBB247_360
; %bb.357:
	s_wait_dscnt 0x0
	v_lshlrev_b32_e32 v9, 16, v8
	s_mov_b32 s3, exec_lo
	s_delay_alu instid0(VALU_DEP_1)
	v_cmpx_o_f32_e32 v9, v9
; %bb.358:
	v_cmp_lt_f32_e32 vcc_lo, v5, v9
	v_cndmask_b32_e32 v8, v2, v8, vcc_lo
; %bb.359:
	s_or_b32 exec_lo, exec_lo, s3
	s_delay_alu instid0(VALU_DEP_1)
	v_mov_b32_e32 v2, v8
.LBB247_360:
	s_or_b32 exec_lo, exec_lo, s2
.LBB247_361:
	s_delay_alu instid0(SALU_CYCLE_1)
	s_or_b32 exec_lo, exec_lo, s0
.LBB247_362:
	s_delay_alu instid0(SALU_CYCLE_1)
	s_or_b32 exec_lo, exec_lo, s1
	s_mov_b32 s1, 0
.LBB247_363:
	s_delay_alu instid0(SALU_CYCLE_1)
	s_and_b32 vcc_lo, exec_lo, s1
	s_cbranch_vccz .LBB247_401
; %bb.364:
	v_mov_b32_dpp v2, v4 quad_perm:[1,0,3,2] row_mask:0xf bank_mask:0xf
	s_mov_b32 s0, exec_lo
	s_delay_alu instid0(VALU_DEP_1) | instskip(NEXT) | instid1(VALU_DEP_1)
	v_lshlrev_b32_e32 v5, 16, v2
	v_cmpx_o_f32_e32 v5, v5
	s_cbranch_execz .LBB247_368
; %bb.365:
	v_lshlrev_b32_e32 v4, 16, v4
	s_mov_b32 s1, exec_lo
	s_delay_alu instid0(VALU_DEP_1)
	v_cmpx_o_f32_e32 v4, v4
; %bb.366:
	v_cmp_lt_f32_e32 vcc_lo, v5, v4
	v_cndmask_b32_e32 v7, v2, v7, vcc_lo
; %bb.367:
	s_or_b32 exec_lo, exec_lo, s1
	s_delay_alu instid0(VALU_DEP_1)
	v_mov_b32_e32 v2, v7
.LBB247_368:
	s_or_b32 exec_lo, exec_lo, s0
	s_delay_alu instid0(VALU_DEP_1) | instskip(SKIP_1) | instid1(VALU_DEP_1)
	v_and_b32_e32 v7, 0xffff, v2
	s_mov_b32 s0, exec_lo
	v_mov_b32_dpp v4, v7 quad_perm:[2,3,0,1] row_mask:0xf bank_mask:0xf
	s_delay_alu instid0(VALU_DEP_1) | instskip(NEXT) | instid1(VALU_DEP_1)
	v_lshlrev_b32_e32 v5, 16, v4
	v_cmpx_o_f32_e32 v5, v5
	s_cbranch_execz .LBB247_372
; %bb.369:
	v_lshlrev_b32_e32 v7, 16, v7
	s_mov_b32 s1, exec_lo
	s_delay_alu instid0(VALU_DEP_1)
	v_cmpx_o_f32_e32 v7, v7
; %bb.370:
	v_cmp_lt_f32_e32 vcc_lo, v5, v7
	v_cndmask_b32_e32 v2, v4, v2, vcc_lo
; %bb.371:
	s_or_b32 exec_lo, exec_lo, s1
	s_delay_alu instid0(VALU_DEP_1)
	v_mov_b32_e32 v4, v2
.LBB247_372:
	s_or_b32 exec_lo, exec_lo, s0
	s_delay_alu instid0(VALU_DEP_1) | instskip(SKIP_1) | instid1(VALU_DEP_1)
	v_and_b32_e32 v7, 0xffff, v4
	s_mov_b32 s0, exec_lo
	v_mov_b32_dpp v2, v7 row_ror:4 row_mask:0xf bank_mask:0xf
	s_delay_alu instid0(VALU_DEP_1) | instskip(NEXT) | instid1(VALU_DEP_1)
	v_lshlrev_b32_e32 v5, 16, v2
	v_cmpx_o_f32_e32 v5, v5
	s_cbranch_execz .LBB247_376
; %bb.373:
	v_lshlrev_b32_e32 v7, 16, v7
	s_mov_b32 s1, exec_lo
	s_delay_alu instid0(VALU_DEP_1)
	v_cmpx_o_f32_e32 v7, v7
; %bb.374:
	v_cmp_lt_f32_e32 vcc_lo, v5, v7
	v_cndmask_b32_e32 v4, v2, v4, vcc_lo
; %bb.375:
	s_or_b32 exec_lo, exec_lo, s1
	s_delay_alu instid0(VALU_DEP_1)
	v_mov_b32_e32 v2, v4
.LBB247_376:
	s_or_b32 exec_lo, exec_lo, s0
	s_delay_alu instid0(VALU_DEP_1) | instskip(SKIP_1) | instid1(VALU_DEP_1)
	v_and_b32_e32 v7, 0xffff, v2
	s_mov_b32 s0, exec_lo
	v_mov_b32_dpp v4, v7 row_ror:8 row_mask:0xf bank_mask:0xf
	s_delay_alu instid0(VALU_DEP_1) | instskip(NEXT) | instid1(VALU_DEP_1)
	v_lshlrev_b32_e32 v5, 16, v4
	v_cmpx_o_f32_e32 v5, v5
	s_cbranch_execz .LBB247_380
; %bb.377:
	v_lshlrev_b32_e32 v7, 16, v7
	s_mov_b32 s1, exec_lo
	s_delay_alu instid0(VALU_DEP_1)
	v_cmpx_o_f32_e32 v7, v7
; %bb.378:
	v_cmp_lt_f32_e32 vcc_lo, v5, v7
	v_cndmask_b32_e32 v2, v4, v2, vcc_lo
; %bb.379:
	s_or_b32 exec_lo, exec_lo, s1
	s_delay_alu instid0(VALU_DEP_1)
	v_mov_b32_e32 v4, v2
.LBB247_380:
	s_or_b32 exec_lo, exec_lo, s0
	s_delay_alu instid0(VALU_DEP_1) | instskip(SKIP_4) | instid1(VALU_DEP_1)
	v_and_b32_e32 v7, 0xffff, v4
	s_mov_b32 s0, exec_lo
	ds_swizzle_b32 v2, v7 offset:swizzle(BROADCAST,32,15)
	s_wait_dscnt 0x0
	v_lshlrev_b32_e32 v5, 16, v2
	v_cmpx_o_f32_e32 v5, v5
	s_cbranch_execz .LBB247_384
; %bb.381:
	v_lshlrev_b32_e32 v7, 16, v7
	s_mov_b32 s1, exec_lo
	s_delay_alu instid0(VALU_DEP_1)
	v_cmpx_o_f32_e32 v7, v7
; %bb.382:
	v_cmp_lt_f32_e32 vcc_lo, v5, v7
	v_cndmask_b32_e32 v4, v2, v4, vcc_lo
; %bb.383:
	s_or_b32 exec_lo, exec_lo, s1
	s_delay_alu instid0(VALU_DEP_1)
	v_mov_b32_e32 v2, v4
.LBB247_384:
	s_or_b32 exec_lo, exec_lo, s0
	s_delay_alu instid0(VALU_DEP_1)
	v_and_b32_e32 v2, 0xffff, v2
	v_mov_b32_e32 v4, 0
	s_mov_b32 s0, exec_lo
	ds_bpermute_b32 v2, v4, v2 offset:124
	v_cmpx_eq_u32_e32 0, v1
	s_cbranch_execz .LBB247_386
; %bb.385:
	v_lshlrev_b32_e32 v3, 1, v3
	s_wait_dscnt 0x0
	ds_store_b16 v3, v2
.LBB247_386:
	s_or_b32 exec_lo, exec_lo, s0
	s_delay_alu instid0(SALU_CYCLE_1)
	s_mov_b32 s0, exec_lo
	s_wait_dscnt 0x0
	s_barrier_signal -1
	s_barrier_wait -1
	v_cmpx_gt_u32_e32 32, v0
	s_cbranch_execz .LBB247_400
; %bb.387:
	v_and_b32_e32 v3, 7, v1
	s_mov_b32 s1, exec_lo
	s_delay_alu instid0(VALU_DEP_1) | instskip(SKIP_1) | instid1(VALU_DEP_1)
	v_cmp_ne_u32_e32 vcc_lo, 7, v3
	v_add_co_ci_u32_e64 v4, null, 0, v1, vcc_lo
	v_dual_lshlrev_b32 v4, 2, v4 :: v_dual_lshlrev_b32 v2, 1, v3
	ds_load_u16 v2, v2
	s_wait_dscnt 0x0
	v_and_b32_e32 v5, 0xffff, v2
	ds_bpermute_b32 v4, v4, v5
	v_lshlrev_b32_e32 v5, 16, v2
	s_delay_alu instid0(VALU_DEP_1)
	v_cmpx_o_f32_e32 v5, v5
	s_cbranch_execz .LBB247_391
; %bb.388:
	s_wait_dscnt 0x0
	v_lshlrev_b32_e32 v7, 16, v4
	s_mov_b32 s2, exec_lo
	s_delay_alu instid0(VALU_DEP_1)
	v_cmpx_o_f32_e32 v7, v7
; %bb.389:
	v_cmp_lt_f32_e32 vcc_lo, v5, v7
	v_cndmask_b32_e32 v4, v2, v4, vcc_lo
; %bb.390:
	s_or_b32 exec_lo, exec_lo, s2
	s_delay_alu instid0(VALU_DEP_1)
	v_mov_b32_e32 v2, v4
.LBB247_391:
	s_or_b32 exec_lo, exec_lo, s1
	v_cmp_gt_u32_e32 vcc_lo, 6, v3
	s_wait_dscnt 0x0
	s_delay_alu instid0(VALU_DEP_2) | instskip(SKIP_2) | instid1(VALU_DEP_1)
	v_and_b32_e32 v4, 0xffff, v2
	s_mov_b32 s1, exec_lo
	v_cndmask_b32_e64 v3, 0, 2, vcc_lo
	v_add_lshl_u32 v3, v3, v1, 2
	v_lshlrev_b32_e32 v1, 2, v1
	ds_bpermute_b32 v3, v3, v4
	v_lshlrev_b32_e32 v4, 16, v2
	s_delay_alu instid0(VALU_DEP_1)
	v_cmpx_o_f32_e32 v4, v4
	s_cbranch_execz .LBB247_395
; %bb.392:
	s_wait_dscnt 0x0
	v_lshlrev_b32_e32 v5, 16, v3
	s_mov_b32 s2, exec_lo
	s_delay_alu instid0(VALU_DEP_1)
	v_cmpx_o_f32_e32 v5, v5
; %bb.393:
	v_cmp_lt_f32_e32 vcc_lo, v4, v5
	v_cndmask_b32_e32 v3, v2, v3, vcc_lo
; %bb.394:
	s_or_b32 exec_lo, exec_lo, s2
	s_delay_alu instid0(VALU_DEP_1)
	v_mov_b32_e32 v2, v3
.LBB247_395:
	s_or_b32 exec_lo, exec_lo, s1
	v_or_b32_e32 v1, 16, v1
	s_wait_dscnt 0x0
	s_delay_alu instid0(VALU_DEP_2) | instskip(SKIP_3) | instid1(VALU_DEP_1)
	v_and_b32_e32 v3, 0xffff, v2
	s_mov_b32 s1, exec_lo
	ds_bpermute_b32 v1, v1, v3
	v_lshlrev_b32_e32 v3, 16, v2
	v_cmpx_o_f32_e32 v3, v3
	s_cbranch_execz .LBB247_399
; %bb.396:
	s_wait_dscnt 0x0
	v_lshlrev_b32_e32 v4, 16, v1
	s_mov_b32 s2, exec_lo
	s_delay_alu instid0(VALU_DEP_1)
	v_cmpx_o_f32_e32 v4, v4
; %bb.397:
	v_cmp_lt_f32_e32 vcc_lo, v3, v4
	v_cndmask_b32_e32 v1, v2, v1, vcc_lo
; %bb.398:
	s_or_b32 exec_lo, exec_lo, s2
	s_delay_alu instid0(VALU_DEP_1)
	v_mov_b32_e32 v2, v1
.LBB247_399:
	s_or_b32 exec_lo, exec_lo, s1
.LBB247_400:
	s_delay_alu instid0(SALU_CYCLE_1)
	s_or_b32 exec_lo, exec_lo, s0
.LBB247_401:
	s_delay_alu instid0(SALU_CYCLE_1)
	s_mov_b32 s0, exec_lo
	v_cmpx_eq_u32_e32 0, v0
	s_cbranch_execz .LBB247_407
; %bb.402:
	s_wait_loadcnt 0x0
	v_lshlrev_b32_e32 v0, 16, v6
	s_delay_alu instid0(VALU_DEP_1)
	v_cmp_u_f32_e32 vcc_lo, v0, v0
	s_cbranch_vccnz .LBB247_406
; %bb.403:
	s_wait_dscnt 0x0
	v_lshlrev_b32_e32 v1, 16, v2
	s_mov_b32 s1, exec_lo
	s_delay_alu instid0(VALU_DEP_1)
	v_cmpx_o_f32_e32 v1, v1
; %bb.404:
	v_cmp_lt_f32_e32 vcc_lo, v0, v1
	v_cndmask_b32_e32 v2, v6, v2, vcc_lo
; %bb.405:
	s_or_b32 exec_lo, exec_lo, s1
	s_delay_alu instid0(VALU_DEP_1)
	v_mov_b32_e32 v6, v2
.LBB247_406:
	s_or_b32 s15, s15, exec_lo
.LBB247_407:
	s_or_b32 exec_lo, exec_lo, s0
	s_and_saveexec_b32 s0, s15
	s_cbranch_execz .LBB247_3
.LBB247_408:
	s_lshl_b64 s[0:1], s[20:21], 1
	v_mov_b32_e32 v0, 0
	s_add_nc_u64 s[0:1], s[18:19], s[0:1]
	s_lshl_b64 s[2:3], s[22:23], 1
	s_delay_alu instid0(SALU_CYCLE_1)
	s_add_nc_u64 s[0:1], s[0:1], s[2:3]
	s_wait_loadcnt 0x0
	global_store_b16 v0, v6, s[0:1]
	s_endpgm
	.section	.rodata,"a",@progbits
	.p2align	6, 0x0
	.amdhsa_kernel _ZN7rocprim17ROCPRIM_400000_NS6detail17trampoline_kernelINS0_14default_configENS1_32segmented_reduce_config_selectorIN3c108BFloat16EEEZNS1_21segmented_reduce_implIS3_PKS6_PS6_PKlS6_N6hipcub16HIPCUB_304000_NS6detail27convert_result_type_wrapperISA_SB_N2at6native12_GLOBAL__N_19CustomMaxEEEEE10hipError_tPvRmT0_T1_jT2_SS_T4_T3_P12ihipStream_tbEUlT_E_NS1_11comp_targetILNS1_3genE0ELNS1_11target_archE4294967295ELNS1_3gpuE0ELNS1_3repE0EEENS1_30default_config_static_selectorELNS0_4arch9wavefront6targetE0EEEvSR_
		.amdhsa_group_segment_fixed_size 16
		.amdhsa_private_segment_fixed_size 0
		.amdhsa_kernarg_size 48
		.amdhsa_user_sgpr_count 2
		.amdhsa_user_sgpr_dispatch_ptr 0
		.amdhsa_user_sgpr_queue_ptr 0
		.amdhsa_user_sgpr_kernarg_segment_ptr 1
		.amdhsa_user_sgpr_dispatch_id 0
		.amdhsa_user_sgpr_kernarg_preload_length 0
		.amdhsa_user_sgpr_kernarg_preload_offset 0
		.amdhsa_user_sgpr_private_segment_size 0
		.amdhsa_wavefront_size32 1
		.amdhsa_uses_dynamic_stack 0
		.amdhsa_enable_private_segment 0
		.amdhsa_system_sgpr_workgroup_id_x 1
		.amdhsa_system_sgpr_workgroup_id_y 0
		.amdhsa_system_sgpr_workgroup_id_z 0
		.amdhsa_system_sgpr_workgroup_info 0
		.amdhsa_system_vgpr_workitem_id 0
		.amdhsa_next_free_vgpr 24
		.amdhsa_next_free_sgpr 32
		.amdhsa_named_barrier_count 0
		.amdhsa_reserve_vcc 1
		.amdhsa_float_round_mode_32 0
		.amdhsa_float_round_mode_16_64 0
		.amdhsa_float_denorm_mode_32 3
		.amdhsa_float_denorm_mode_16_64 3
		.amdhsa_fp16_overflow 0
		.amdhsa_memory_ordered 1
		.amdhsa_forward_progress 1
		.amdhsa_inst_pref_size 71
		.amdhsa_round_robin_scheduling 0
		.amdhsa_exception_fp_ieee_invalid_op 0
		.amdhsa_exception_fp_denorm_src 0
		.amdhsa_exception_fp_ieee_div_zero 0
		.amdhsa_exception_fp_ieee_overflow 0
		.amdhsa_exception_fp_ieee_underflow 0
		.amdhsa_exception_fp_ieee_inexact 0
		.amdhsa_exception_int_div_zero 0
	.end_amdhsa_kernel
	.section	.text._ZN7rocprim17ROCPRIM_400000_NS6detail17trampoline_kernelINS0_14default_configENS1_32segmented_reduce_config_selectorIN3c108BFloat16EEEZNS1_21segmented_reduce_implIS3_PKS6_PS6_PKlS6_N6hipcub16HIPCUB_304000_NS6detail27convert_result_type_wrapperISA_SB_N2at6native12_GLOBAL__N_19CustomMaxEEEEE10hipError_tPvRmT0_T1_jT2_SS_T4_T3_P12ihipStream_tbEUlT_E_NS1_11comp_targetILNS1_3genE0ELNS1_11target_archE4294967295ELNS1_3gpuE0ELNS1_3repE0EEENS1_30default_config_static_selectorELNS0_4arch9wavefront6targetE0EEEvSR_,"axG",@progbits,_ZN7rocprim17ROCPRIM_400000_NS6detail17trampoline_kernelINS0_14default_configENS1_32segmented_reduce_config_selectorIN3c108BFloat16EEEZNS1_21segmented_reduce_implIS3_PKS6_PS6_PKlS6_N6hipcub16HIPCUB_304000_NS6detail27convert_result_type_wrapperISA_SB_N2at6native12_GLOBAL__N_19CustomMaxEEEEE10hipError_tPvRmT0_T1_jT2_SS_T4_T3_P12ihipStream_tbEUlT_E_NS1_11comp_targetILNS1_3genE0ELNS1_11target_archE4294967295ELNS1_3gpuE0ELNS1_3repE0EEENS1_30default_config_static_selectorELNS0_4arch9wavefront6targetE0EEEvSR_,comdat
.Lfunc_end247:
	.size	_ZN7rocprim17ROCPRIM_400000_NS6detail17trampoline_kernelINS0_14default_configENS1_32segmented_reduce_config_selectorIN3c108BFloat16EEEZNS1_21segmented_reduce_implIS3_PKS6_PS6_PKlS6_N6hipcub16HIPCUB_304000_NS6detail27convert_result_type_wrapperISA_SB_N2at6native12_GLOBAL__N_19CustomMaxEEEEE10hipError_tPvRmT0_T1_jT2_SS_T4_T3_P12ihipStream_tbEUlT_E_NS1_11comp_targetILNS1_3genE0ELNS1_11target_archE4294967295ELNS1_3gpuE0ELNS1_3repE0EEENS1_30default_config_static_selectorELNS0_4arch9wavefront6targetE0EEEvSR_, .Lfunc_end247-_ZN7rocprim17ROCPRIM_400000_NS6detail17trampoline_kernelINS0_14default_configENS1_32segmented_reduce_config_selectorIN3c108BFloat16EEEZNS1_21segmented_reduce_implIS3_PKS6_PS6_PKlS6_N6hipcub16HIPCUB_304000_NS6detail27convert_result_type_wrapperISA_SB_N2at6native12_GLOBAL__N_19CustomMaxEEEEE10hipError_tPvRmT0_T1_jT2_SS_T4_T3_P12ihipStream_tbEUlT_E_NS1_11comp_targetILNS1_3genE0ELNS1_11target_archE4294967295ELNS1_3gpuE0ELNS1_3repE0EEENS1_30default_config_static_selectorELNS0_4arch9wavefront6targetE0EEEvSR_
                                        ; -- End function
	.set _ZN7rocprim17ROCPRIM_400000_NS6detail17trampoline_kernelINS0_14default_configENS1_32segmented_reduce_config_selectorIN3c108BFloat16EEEZNS1_21segmented_reduce_implIS3_PKS6_PS6_PKlS6_N6hipcub16HIPCUB_304000_NS6detail27convert_result_type_wrapperISA_SB_N2at6native12_GLOBAL__N_19CustomMaxEEEEE10hipError_tPvRmT0_T1_jT2_SS_T4_T3_P12ihipStream_tbEUlT_E_NS1_11comp_targetILNS1_3genE0ELNS1_11target_archE4294967295ELNS1_3gpuE0ELNS1_3repE0EEENS1_30default_config_static_selectorELNS0_4arch9wavefront6targetE0EEEvSR_.num_vgpr, 24
	.set _ZN7rocprim17ROCPRIM_400000_NS6detail17trampoline_kernelINS0_14default_configENS1_32segmented_reduce_config_selectorIN3c108BFloat16EEEZNS1_21segmented_reduce_implIS3_PKS6_PS6_PKlS6_N6hipcub16HIPCUB_304000_NS6detail27convert_result_type_wrapperISA_SB_N2at6native12_GLOBAL__N_19CustomMaxEEEEE10hipError_tPvRmT0_T1_jT2_SS_T4_T3_P12ihipStream_tbEUlT_E_NS1_11comp_targetILNS1_3genE0ELNS1_11target_archE4294967295ELNS1_3gpuE0ELNS1_3repE0EEENS1_30default_config_static_selectorELNS0_4arch9wavefront6targetE0EEEvSR_.num_agpr, 0
	.set _ZN7rocprim17ROCPRIM_400000_NS6detail17trampoline_kernelINS0_14default_configENS1_32segmented_reduce_config_selectorIN3c108BFloat16EEEZNS1_21segmented_reduce_implIS3_PKS6_PS6_PKlS6_N6hipcub16HIPCUB_304000_NS6detail27convert_result_type_wrapperISA_SB_N2at6native12_GLOBAL__N_19CustomMaxEEEEE10hipError_tPvRmT0_T1_jT2_SS_T4_T3_P12ihipStream_tbEUlT_E_NS1_11comp_targetILNS1_3genE0ELNS1_11target_archE4294967295ELNS1_3gpuE0ELNS1_3repE0EEENS1_30default_config_static_selectorELNS0_4arch9wavefront6targetE0EEEvSR_.numbered_sgpr, 32
	.set _ZN7rocprim17ROCPRIM_400000_NS6detail17trampoline_kernelINS0_14default_configENS1_32segmented_reduce_config_selectorIN3c108BFloat16EEEZNS1_21segmented_reduce_implIS3_PKS6_PS6_PKlS6_N6hipcub16HIPCUB_304000_NS6detail27convert_result_type_wrapperISA_SB_N2at6native12_GLOBAL__N_19CustomMaxEEEEE10hipError_tPvRmT0_T1_jT2_SS_T4_T3_P12ihipStream_tbEUlT_E_NS1_11comp_targetILNS1_3genE0ELNS1_11target_archE4294967295ELNS1_3gpuE0ELNS1_3repE0EEENS1_30default_config_static_selectorELNS0_4arch9wavefront6targetE0EEEvSR_.num_named_barrier, 0
	.set _ZN7rocprim17ROCPRIM_400000_NS6detail17trampoline_kernelINS0_14default_configENS1_32segmented_reduce_config_selectorIN3c108BFloat16EEEZNS1_21segmented_reduce_implIS3_PKS6_PS6_PKlS6_N6hipcub16HIPCUB_304000_NS6detail27convert_result_type_wrapperISA_SB_N2at6native12_GLOBAL__N_19CustomMaxEEEEE10hipError_tPvRmT0_T1_jT2_SS_T4_T3_P12ihipStream_tbEUlT_E_NS1_11comp_targetILNS1_3genE0ELNS1_11target_archE4294967295ELNS1_3gpuE0ELNS1_3repE0EEENS1_30default_config_static_selectorELNS0_4arch9wavefront6targetE0EEEvSR_.private_seg_size, 0
	.set _ZN7rocprim17ROCPRIM_400000_NS6detail17trampoline_kernelINS0_14default_configENS1_32segmented_reduce_config_selectorIN3c108BFloat16EEEZNS1_21segmented_reduce_implIS3_PKS6_PS6_PKlS6_N6hipcub16HIPCUB_304000_NS6detail27convert_result_type_wrapperISA_SB_N2at6native12_GLOBAL__N_19CustomMaxEEEEE10hipError_tPvRmT0_T1_jT2_SS_T4_T3_P12ihipStream_tbEUlT_E_NS1_11comp_targetILNS1_3genE0ELNS1_11target_archE4294967295ELNS1_3gpuE0ELNS1_3repE0EEENS1_30default_config_static_selectorELNS0_4arch9wavefront6targetE0EEEvSR_.uses_vcc, 1
	.set _ZN7rocprim17ROCPRIM_400000_NS6detail17trampoline_kernelINS0_14default_configENS1_32segmented_reduce_config_selectorIN3c108BFloat16EEEZNS1_21segmented_reduce_implIS3_PKS6_PS6_PKlS6_N6hipcub16HIPCUB_304000_NS6detail27convert_result_type_wrapperISA_SB_N2at6native12_GLOBAL__N_19CustomMaxEEEEE10hipError_tPvRmT0_T1_jT2_SS_T4_T3_P12ihipStream_tbEUlT_E_NS1_11comp_targetILNS1_3genE0ELNS1_11target_archE4294967295ELNS1_3gpuE0ELNS1_3repE0EEENS1_30default_config_static_selectorELNS0_4arch9wavefront6targetE0EEEvSR_.uses_flat_scratch, 0
	.set _ZN7rocprim17ROCPRIM_400000_NS6detail17trampoline_kernelINS0_14default_configENS1_32segmented_reduce_config_selectorIN3c108BFloat16EEEZNS1_21segmented_reduce_implIS3_PKS6_PS6_PKlS6_N6hipcub16HIPCUB_304000_NS6detail27convert_result_type_wrapperISA_SB_N2at6native12_GLOBAL__N_19CustomMaxEEEEE10hipError_tPvRmT0_T1_jT2_SS_T4_T3_P12ihipStream_tbEUlT_E_NS1_11comp_targetILNS1_3genE0ELNS1_11target_archE4294967295ELNS1_3gpuE0ELNS1_3repE0EEENS1_30default_config_static_selectorELNS0_4arch9wavefront6targetE0EEEvSR_.has_dyn_sized_stack, 0
	.set _ZN7rocprim17ROCPRIM_400000_NS6detail17trampoline_kernelINS0_14default_configENS1_32segmented_reduce_config_selectorIN3c108BFloat16EEEZNS1_21segmented_reduce_implIS3_PKS6_PS6_PKlS6_N6hipcub16HIPCUB_304000_NS6detail27convert_result_type_wrapperISA_SB_N2at6native12_GLOBAL__N_19CustomMaxEEEEE10hipError_tPvRmT0_T1_jT2_SS_T4_T3_P12ihipStream_tbEUlT_E_NS1_11comp_targetILNS1_3genE0ELNS1_11target_archE4294967295ELNS1_3gpuE0ELNS1_3repE0EEENS1_30default_config_static_selectorELNS0_4arch9wavefront6targetE0EEEvSR_.has_recursion, 0
	.set _ZN7rocprim17ROCPRIM_400000_NS6detail17trampoline_kernelINS0_14default_configENS1_32segmented_reduce_config_selectorIN3c108BFloat16EEEZNS1_21segmented_reduce_implIS3_PKS6_PS6_PKlS6_N6hipcub16HIPCUB_304000_NS6detail27convert_result_type_wrapperISA_SB_N2at6native12_GLOBAL__N_19CustomMaxEEEEE10hipError_tPvRmT0_T1_jT2_SS_T4_T3_P12ihipStream_tbEUlT_E_NS1_11comp_targetILNS1_3genE0ELNS1_11target_archE4294967295ELNS1_3gpuE0ELNS1_3repE0EEENS1_30default_config_static_selectorELNS0_4arch9wavefront6targetE0EEEvSR_.has_indirect_call, 0
	.section	.AMDGPU.csdata,"",@progbits
; Kernel info:
; codeLenInByte = 8964
; TotalNumSgprs: 34
; NumVgprs: 24
; ScratchSize: 0
; MemoryBound: 0
; FloatMode: 240
; IeeeMode: 1
; LDSByteSize: 16 bytes/workgroup (compile time only)
; SGPRBlocks: 0
; VGPRBlocks: 1
; NumSGPRsForWavesPerEU: 34
; NumVGPRsForWavesPerEU: 24
; NamedBarCnt: 0
; Occupancy: 16
; WaveLimiterHint : 1
; COMPUTE_PGM_RSRC2:SCRATCH_EN: 0
; COMPUTE_PGM_RSRC2:USER_SGPR: 2
; COMPUTE_PGM_RSRC2:TRAP_HANDLER: 0
; COMPUTE_PGM_RSRC2:TGID_X_EN: 1
; COMPUTE_PGM_RSRC2:TGID_Y_EN: 0
; COMPUTE_PGM_RSRC2:TGID_Z_EN: 0
; COMPUTE_PGM_RSRC2:TIDIG_COMP_CNT: 0
	.section	.text._ZN7rocprim17ROCPRIM_400000_NS6detail17trampoline_kernelINS0_14default_configENS1_32segmented_reduce_config_selectorIN3c108BFloat16EEEZNS1_21segmented_reduce_implIS3_PKS6_PS6_PKlS6_N6hipcub16HIPCUB_304000_NS6detail27convert_result_type_wrapperISA_SB_N2at6native12_GLOBAL__N_19CustomMaxEEEEE10hipError_tPvRmT0_T1_jT2_SS_T4_T3_P12ihipStream_tbEUlT_E_NS1_11comp_targetILNS1_3genE5ELNS1_11target_archE942ELNS1_3gpuE9ELNS1_3repE0EEENS1_30default_config_static_selectorELNS0_4arch9wavefront6targetE0EEEvSR_,"axG",@progbits,_ZN7rocprim17ROCPRIM_400000_NS6detail17trampoline_kernelINS0_14default_configENS1_32segmented_reduce_config_selectorIN3c108BFloat16EEEZNS1_21segmented_reduce_implIS3_PKS6_PS6_PKlS6_N6hipcub16HIPCUB_304000_NS6detail27convert_result_type_wrapperISA_SB_N2at6native12_GLOBAL__N_19CustomMaxEEEEE10hipError_tPvRmT0_T1_jT2_SS_T4_T3_P12ihipStream_tbEUlT_E_NS1_11comp_targetILNS1_3genE5ELNS1_11target_archE942ELNS1_3gpuE9ELNS1_3repE0EEENS1_30default_config_static_selectorELNS0_4arch9wavefront6targetE0EEEvSR_,comdat
	.globl	_ZN7rocprim17ROCPRIM_400000_NS6detail17trampoline_kernelINS0_14default_configENS1_32segmented_reduce_config_selectorIN3c108BFloat16EEEZNS1_21segmented_reduce_implIS3_PKS6_PS6_PKlS6_N6hipcub16HIPCUB_304000_NS6detail27convert_result_type_wrapperISA_SB_N2at6native12_GLOBAL__N_19CustomMaxEEEEE10hipError_tPvRmT0_T1_jT2_SS_T4_T3_P12ihipStream_tbEUlT_E_NS1_11comp_targetILNS1_3genE5ELNS1_11target_archE942ELNS1_3gpuE9ELNS1_3repE0EEENS1_30default_config_static_selectorELNS0_4arch9wavefront6targetE0EEEvSR_ ; -- Begin function _ZN7rocprim17ROCPRIM_400000_NS6detail17trampoline_kernelINS0_14default_configENS1_32segmented_reduce_config_selectorIN3c108BFloat16EEEZNS1_21segmented_reduce_implIS3_PKS6_PS6_PKlS6_N6hipcub16HIPCUB_304000_NS6detail27convert_result_type_wrapperISA_SB_N2at6native12_GLOBAL__N_19CustomMaxEEEEE10hipError_tPvRmT0_T1_jT2_SS_T4_T3_P12ihipStream_tbEUlT_E_NS1_11comp_targetILNS1_3genE5ELNS1_11target_archE942ELNS1_3gpuE9ELNS1_3repE0EEENS1_30default_config_static_selectorELNS0_4arch9wavefront6targetE0EEEvSR_
	.p2align	8
	.type	_ZN7rocprim17ROCPRIM_400000_NS6detail17trampoline_kernelINS0_14default_configENS1_32segmented_reduce_config_selectorIN3c108BFloat16EEEZNS1_21segmented_reduce_implIS3_PKS6_PS6_PKlS6_N6hipcub16HIPCUB_304000_NS6detail27convert_result_type_wrapperISA_SB_N2at6native12_GLOBAL__N_19CustomMaxEEEEE10hipError_tPvRmT0_T1_jT2_SS_T4_T3_P12ihipStream_tbEUlT_E_NS1_11comp_targetILNS1_3genE5ELNS1_11target_archE942ELNS1_3gpuE9ELNS1_3repE0EEENS1_30default_config_static_selectorELNS0_4arch9wavefront6targetE0EEEvSR_,@function
_ZN7rocprim17ROCPRIM_400000_NS6detail17trampoline_kernelINS0_14default_configENS1_32segmented_reduce_config_selectorIN3c108BFloat16EEEZNS1_21segmented_reduce_implIS3_PKS6_PS6_PKlS6_N6hipcub16HIPCUB_304000_NS6detail27convert_result_type_wrapperISA_SB_N2at6native12_GLOBAL__N_19CustomMaxEEEEE10hipError_tPvRmT0_T1_jT2_SS_T4_T3_P12ihipStream_tbEUlT_E_NS1_11comp_targetILNS1_3genE5ELNS1_11target_archE942ELNS1_3gpuE9ELNS1_3repE0EEENS1_30default_config_static_selectorELNS0_4arch9wavefront6targetE0EEEvSR_: ; @_ZN7rocprim17ROCPRIM_400000_NS6detail17trampoline_kernelINS0_14default_configENS1_32segmented_reduce_config_selectorIN3c108BFloat16EEEZNS1_21segmented_reduce_implIS3_PKS6_PS6_PKlS6_N6hipcub16HIPCUB_304000_NS6detail27convert_result_type_wrapperISA_SB_N2at6native12_GLOBAL__N_19CustomMaxEEEEE10hipError_tPvRmT0_T1_jT2_SS_T4_T3_P12ihipStream_tbEUlT_E_NS1_11comp_targetILNS1_3genE5ELNS1_11target_archE942ELNS1_3gpuE9ELNS1_3repE0EEENS1_30default_config_static_selectorELNS0_4arch9wavefront6targetE0EEEvSR_
; %bb.0:
	.section	.rodata,"a",@progbits
	.p2align	6, 0x0
	.amdhsa_kernel _ZN7rocprim17ROCPRIM_400000_NS6detail17trampoline_kernelINS0_14default_configENS1_32segmented_reduce_config_selectorIN3c108BFloat16EEEZNS1_21segmented_reduce_implIS3_PKS6_PS6_PKlS6_N6hipcub16HIPCUB_304000_NS6detail27convert_result_type_wrapperISA_SB_N2at6native12_GLOBAL__N_19CustomMaxEEEEE10hipError_tPvRmT0_T1_jT2_SS_T4_T3_P12ihipStream_tbEUlT_E_NS1_11comp_targetILNS1_3genE5ELNS1_11target_archE942ELNS1_3gpuE9ELNS1_3repE0EEENS1_30default_config_static_selectorELNS0_4arch9wavefront6targetE0EEEvSR_
		.amdhsa_group_segment_fixed_size 0
		.amdhsa_private_segment_fixed_size 0
		.amdhsa_kernarg_size 48
		.amdhsa_user_sgpr_count 2
		.amdhsa_user_sgpr_dispatch_ptr 0
		.amdhsa_user_sgpr_queue_ptr 0
		.amdhsa_user_sgpr_kernarg_segment_ptr 1
		.amdhsa_user_sgpr_dispatch_id 0
		.amdhsa_user_sgpr_kernarg_preload_length 0
		.amdhsa_user_sgpr_kernarg_preload_offset 0
		.amdhsa_user_sgpr_private_segment_size 0
		.amdhsa_wavefront_size32 1
		.amdhsa_uses_dynamic_stack 0
		.amdhsa_enable_private_segment 0
		.amdhsa_system_sgpr_workgroup_id_x 1
		.amdhsa_system_sgpr_workgroup_id_y 0
		.amdhsa_system_sgpr_workgroup_id_z 0
		.amdhsa_system_sgpr_workgroup_info 0
		.amdhsa_system_vgpr_workitem_id 0
		.amdhsa_next_free_vgpr 1
		.amdhsa_next_free_sgpr 1
		.amdhsa_named_barrier_count 0
		.amdhsa_reserve_vcc 0
		.amdhsa_float_round_mode_32 0
		.amdhsa_float_round_mode_16_64 0
		.amdhsa_float_denorm_mode_32 3
		.amdhsa_float_denorm_mode_16_64 3
		.amdhsa_fp16_overflow 0
		.amdhsa_memory_ordered 1
		.amdhsa_forward_progress 1
		.amdhsa_inst_pref_size 0
		.amdhsa_round_robin_scheduling 0
		.amdhsa_exception_fp_ieee_invalid_op 0
		.amdhsa_exception_fp_denorm_src 0
		.amdhsa_exception_fp_ieee_div_zero 0
		.amdhsa_exception_fp_ieee_overflow 0
		.amdhsa_exception_fp_ieee_underflow 0
		.amdhsa_exception_fp_ieee_inexact 0
		.amdhsa_exception_int_div_zero 0
	.end_amdhsa_kernel
	.section	.text._ZN7rocprim17ROCPRIM_400000_NS6detail17trampoline_kernelINS0_14default_configENS1_32segmented_reduce_config_selectorIN3c108BFloat16EEEZNS1_21segmented_reduce_implIS3_PKS6_PS6_PKlS6_N6hipcub16HIPCUB_304000_NS6detail27convert_result_type_wrapperISA_SB_N2at6native12_GLOBAL__N_19CustomMaxEEEEE10hipError_tPvRmT0_T1_jT2_SS_T4_T3_P12ihipStream_tbEUlT_E_NS1_11comp_targetILNS1_3genE5ELNS1_11target_archE942ELNS1_3gpuE9ELNS1_3repE0EEENS1_30default_config_static_selectorELNS0_4arch9wavefront6targetE0EEEvSR_,"axG",@progbits,_ZN7rocprim17ROCPRIM_400000_NS6detail17trampoline_kernelINS0_14default_configENS1_32segmented_reduce_config_selectorIN3c108BFloat16EEEZNS1_21segmented_reduce_implIS3_PKS6_PS6_PKlS6_N6hipcub16HIPCUB_304000_NS6detail27convert_result_type_wrapperISA_SB_N2at6native12_GLOBAL__N_19CustomMaxEEEEE10hipError_tPvRmT0_T1_jT2_SS_T4_T3_P12ihipStream_tbEUlT_E_NS1_11comp_targetILNS1_3genE5ELNS1_11target_archE942ELNS1_3gpuE9ELNS1_3repE0EEENS1_30default_config_static_selectorELNS0_4arch9wavefront6targetE0EEEvSR_,comdat
.Lfunc_end248:
	.size	_ZN7rocprim17ROCPRIM_400000_NS6detail17trampoline_kernelINS0_14default_configENS1_32segmented_reduce_config_selectorIN3c108BFloat16EEEZNS1_21segmented_reduce_implIS3_PKS6_PS6_PKlS6_N6hipcub16HIPCUB_304000_NS6detail27convert_result_type_wrapperISA_SB_N2at6native12_GLOBAL__N_19CustomMaxEEEEE10hipError_tPvRmT0_T1_jT2_SS_T4_T3_P12ihipStream_tbEUlT_E_NS1_11comp_targetILNS1_3genE5ELNS1_11target_archE942ELNS1_3gpuE9ELNS1_3repE0EEENS1_30default_config_static_selectorELNS0_4arch9wavefront6targetE0EEEvSR_, .Lfunc_end248-_ZN7rocprim17ROCPRIM_400000_NS6detail17trampoline_kernelINS0_14default_configENS1_32segmented_reduce_config_selectorIN3c108BFloat16EEEZNS1_21segmented_reduce_implIS3_PKS6_PS6_PKlS6_N6hipcub16HIPCUB_304000_NS6detail27convert_result_type_wrapperISA_SB_N2at6native12_GLOBAL__N_19CustomMaxEEEEE10hipError_tPvRmT0_T1_jT2_SS_T4_T3_P12ihipStream_tbEUlT_E_NS1_11comp_targetILNS1_3genE5ELNS1_11target_archE942ELNS1_3gpuE9ELNS1_3repE0EEENS1_30default_config_static_selectorELNS0_4arch9wavefront6targetE0EEEvSR_
                                        ; -- End function
	.set _ZN7rocprim17ROCPRIM_400000_NS6detail17trampoline_kernelINS0_14default_configENS1_32segmented_reduce_config_selectorIN3c108BFloat16EEEZNS1_21segmented_reduce_implIS3_PKS6_PS6_PKlS6_N6hipcub16HIPCUB_304000_NS6detail27convert_result_type_wrapperISA_SB_N2at6native12_GLOBAL__N_19CustomMaxEEEEE10hipError_tPvRmT0_T1_jT2_SS_T4_T3_P12ihipStream_tbEUlT_E_NS1_11comp_targetILNS1_3genE5ELNS1_11target_archE942ELNS1_3gpuE9ELNS1_3repE0EEENS1_30default_config_static_selectorELNS0_4arch9wavefront6targetE0EEEvSR_.num_vgpr, 0
	.set _ZN7rocprim17ROCPRIM_400000_NS6detail17trampoline_kernelINS0_14default_configENS1_32segmented_reduce_config_selectorIN3c108BFloat16EEEZNS1_21segmented_reduce_implIS3_PKS6_PS6_PKlS6_N6hipcub16HIPCUB_304000_NS6detail27convert_result_type_wrapperISA_SB_N2at6native12_GLOBAL__N_19CustomMaxEEEEE10hipError_tPvRmT0_T1_jT2_SS_T4_T3_P12ihipStream_tbEUlT_E_NS1_11comp_targetILNS1_3genE5ELNS1_11target_archE942ELNS1_3gpuE9ELNS1_3repE0EEENS1_30default_config_static_selectorELNS0_4arch9wavefront6targetE0EEEvSR_.num_agpr, 0
	.set _ZN7rocprim17ROCPRIM_400000_NS6detail17trampoline_kernelINS0_14default_configENS1_32segmented_reduce_config_selectorIN3c108BFloat16EEEZNS1_21segmented_reduce_implIS3_PKS6_PS6_PKlS6_N6hipcub16HIPCUB_304000_NS6detail27convert_result_type_wrapperISA_SB_N2at6native12_GLOBAL__N_19CustomMaxEEEEE10hipError_tPvRmT0_T1_jT2_SS_T4_T3_P12ihipStream_tbEUlT_E_NS1_11comp_targetILNS1_3genE5ELNS1_11target_archE942ELNS1_3gpuE9ELNS1_3repE0EEENS1_30default_config_static_selectorELNS0_4arch9wavefront6targetE0EEEvSR_.numbered_sgpr, 0
	.set _ZN7rocprim17ROCPRIM_400000_NS6detail17trampoline_kernelINS0_14default_configENS1_32segmented_reduce_config_selectorIN3c108BFloat16EEEZNS1_21segmented_reduce_implIS3_PKS6_PS6_PKlS6_N6hipcub16HIPCUB_304000_NS6detail27convert_result_type_wrapperISA_SB_N2at6native12_GLOBAL__N_19CustomMaxEEEEE10hipError_tPvRmT0_T1_jT2_SS_T4_T3_P12ihipStream_tbEUlT_E_NS1_11comp_targetILNS1_3genE5ELNS1_11target_archE942ELNS1_3gpuE9ELNS1_3repE0EEENS1_30default_config_static_selectorELNS0_4arch9wavefront6targetE0EEEvSR_.num_named_barrier, 0
	.set _ZN7rocprim17ROCPRIM_400000_NS6detail17trampoline_kernelINS0_14default_configENS1_32segmented_reduce_config_selectorIN3c108BFloat16EEEZNS1_21segmented_reduce_implIS3_PKS6_PS6_PKlS6_N6hipcub16HIPCUB_304000_NS6detail27convert_result_type_wrapperISA_SB_N2at6native12_GLOBAL__N_19CustomMaxEEEEE10hipError_tPvRmT0_T1_jT2_SS_T4_T3_P12ihipStream_tbEUlT_E_NS1_11comp_targetILNS1_3genE5ELNS1_11target_archE942ELNS1_3gpuE9ELNS1_3repE0EEENS1_30default_config_static_selectorELNS0_4arch9wavefront6targetE0EEEvSR_.private_seg_size, 0
	.set _ZN7rocprim17ROCPRIM_400000_NS6detail17trampoline_kernelINS0_14default_configENS1_32segmented_reduce_config_selectorIN3c108BFloat16EEEZNS1_21segmented_reduce_implIS3_PKS6_PS6_PKlS6_N6hipcub16HIPCUB_304000_NS6detail27convert_result_type_wrapperISA_SB_N2at6native12_GLOBAL__N_19CustomMaxEEEEE10hipError_tPvRmT0_T1_jT2_SS_T4_T3_P12ihipStream_tbEUlT_E_NS1_11comp_targetILNS1_3genE5ELNS1_11target_archE942ELNS1_3gpuE9ELNS1_3repE0EEENS1_30default_config_static_selectorELNS0_4arch9wavefront6targetE0EEEvSR_.uses_vcc, 0
	.set _ZN7rocprim17ROCPRIM_400000_NS6detail17trampoline_kernelINS0_14default_configENS1_32segmented_reduce_config_selectorIN3c108BFloat16EEEZNS1_21segmented_reduce_implIS3_PKS6_PS6_PKlS6_N6hipcub16HIPCUB_304000_NS6detail27convert_result_type_wrapperISA_SB_N2at6native12_GLOBAL__N_19CustomMaxEEEEE10hipError_tPvRmT0_T1_jT2_SS_T4_T3_P12ihipStream_tbEUlT_E_NS1_11comp_targetILNS1_3genE5ELNS1_11target_archE942ELNS1_3gpuE9ELNS1_3repE0EEENS1_30default_config_static_selectorELNS0_4arch9wavefront6targetE0EEEvSR_.uses_flat_scratch, 0
	.set _ZN7rocprim17ROCPRIM_400000_NS6detail17trampoline_kernelINS0_14default_configENS1_32segmented_reduce_config_selectorIN3c108BFloat16EEEZNS1_21segmented_reduce_implIS3_PKS6_PS6_PKlS6_N6hipcub16HIPCUB_304000_NS6detail27convert_result_type_wrapperISA_SB_N2at6native12_GLOBAL__N_19CustomMaxEEEEE10hipError_tPvRmT0_T1_jT2_SS_T4_T3_P12ihipStream_tbEUlT_E_NS1_11comp_targetILNS1_3genE5ELNS1_11target_archE942ELNS1_3gpuE9ELNS1_3repE0EEENS1_30default_config_static_selectorELNS0_4arch9wavefront6targetE0EEEvSR_.has_dyn_sized_stack, 0
	.set _ZN7rocprim17ROCPRIM_400000_NS6detail17trampoline_kernelINS0_14default_configENS1_32segmented_reduce_config_selectorIN3c108BFloat16EEEZNS1_21segmented_reduce_implIS3_PKS6_PS6_PKlS6_N6hipcub16HIPCUB_304000_NS6detail27convert_result_type_wrapperISA_SB_N2at6native12_GLOBAL__N_19CustomMaxEEEEE10hipError_tPvRmT0_T1_jT2_SS_T4_T3_P12ihipStream_tbEUlT_E_NS1_11comp_targetILNS1_3genE5ELNS1_11target_archE942ELNS1_3gpuE9ELNS1_3repE0EEENS1_30default_config_static_selectorELNS0_4arch9wavefront6targetE0EEEvSR_.has_recursion, 0
	.set _ZN7rocprim17ROCPRIM_400000_NS6detail17trampoline_kernelINS0_14default_configENS1_32segmented_reduce_config_selectorIN3c108BFloat16EEEZNS1_21segmented_reduce_implIS3_PKS6_PS6_PKlS6_N6hipcub16HIPCUB_304000_NS6detail27convert_result_type_wrapperISA_SB_N2at6native12_GLOBAL__N_19CustomMaxEEEEE10hipError_tPvRmT0_T1_jT2_SS_T4_T3_P12ihipStream_tbEUlT_E_NS1_11comp_targetILNS1_3genE5ELNS1_11target_archE942ELNS1_3gpuE9ELNS1_3repE0EEENS1_30default_config_static_selectorELNS0_4arch9wavefront6targetE0EEEvSR_.has_indirect_call, 0
	.section	.AMDGPU.csdata,"",@progbits
; Kernel info:
; codeLenInByte = 0
; TotalNumSgprs: 0
; NumVgprs: 0
; ScratchSize: 0
; MemoryBound: 0
; FloatMode: 240
; IeeeMode: 1
; LDSByteSize: 0 bytes/workgroup (compile time only)
; SGPRBlocks: 0
; VGPRBlocks: 0
; NumSGPRsForWavesPerEU: 1
; NumVGPRsForWavesPerEU: 1
; NamedBarCnt: 0
; Occupancy: 16
; WaveLimiterHint : 0
; COMPUTE_PGM_RSRC2:SCRATCH_EN: 0
; COMPUTE_PGM_RSRC2:USER_SGPR: 2
; COMPUTE_PGM_RSRC2:TRAP_HANDLER: 0
; COMPUTE_PGM_RSRC2:TGID_X_EN: 1
; COMPUTE_PGM_RSRC2:TGID_Y_EN: 0
; COMPUTE_PGM_RSRC2:TGID_Z_EN: 0
; COMPUTE_PGM_RSRC2:TIDIG_COMP_CNT: 0
	.section	.text._ZN7rocprim17ROCPRIM_400000_NS6detail17trampoline_kernelINS0_14default_configENS1_32segmented_reduce_config_selectorIN3c108BFloat16EEEZNS1_21segmented_reduce_implIS3_PKS6_PS6_PKlS6_N6hipcub16HIPCUB_304000_NS6detail27convert_result_type_wrapperISA_SB_N2at6native12_GLOBAL__N_19CustomMaxEEEEE10hipError_tPvRmT0_T1_jT2_SS_T4_T3_P12ihipStream_tbEUlT_E_NS1_11comp_targetILNS1_3genE10ELNS1_11target_archE1201ELNS1_3gpuE5ELNS1_3repE0EEENS1_30default_config_static_selectorELNS0_4arch9wavefront6targetE0EEEvSR_,"axG",@progbits,_ZN7rocprim17ROCPRIM_400000_NS6detail17trampoline_kernelINS0_14default_configENS1_32segmented_reduce_config_selectorIN3c108BFloat16EEEZNS1_21segmented_reduce_implIS3_PKS6_PS6_PKlS6_N6hipcub16HIPCUB_304000_NS6detail27convert_result_type_wrapperISA_SB_N2at6native12_GLOBAL__N_19CustomMaxEEEEE10hipError_tPvRmT0_T1_jT2_SS_T4_T3_P12ihipStream_tbEUlT_E_NS1_11comp_targetILNS1_3genE10ELNS1_11target_archE1201ELNS1_3gpuE5ELNS1_3repE0EEENS1_30default_config_static_selectorELNS0_4arch9wavefront6targetE0EEEvSR_,comdat
	.globl	_ZN7rocprim17ROCPRIM_400000_NS6detail17trampoline_kernelINS0_14default_configENS1_32segmented_reduce_config_selectorIN3c108BFloat16EEEZNS1_21segmented_reduce_implIS3_PKS6_PS6_PKlS6_N6hipcub16HIPCUB_304000_NS6detail27convert_result_type_wrapperISA_SB_N2at6native12_GLOBAL__N_19CustomMaxEEEEE10hipError_tPvRmT0_T1_jT2_SS_T4_T3_P12ihipStream_tbEUlT_E_NS1_11comp_targetILNS1_3genE10ELNS1_11target_archE1201ELNS1_3gpuE5ELNS1_3repE0EEENS1_30default_config_static_selectorELNS0_4arch9wavefront6targetE0EEEvSR_ ; -- Begin function _ZN7rocprim17ROCPRIM_400000_NS6detail17trampoline_kernelINS0_14default_configENS1_32segmented_reduce_config_selectorIN3c108BFloat16EEEZNS1_21segmented_reduce_implIS3_PKS6_PS6_PKlS6_N6hipcub16HIPCUB_304000_NS6detail27convert_result_type_wrapperISA_SB_N2at6native12_GLOBAL__N_19CustomMaxEEEEE10hipError_tPvRmT0_T1_jT2_SS_T4_T3_P12ihipStream_tbEUlT_E_NS1_11comp_targetILNS1_3genE10ELNS1_11target_archE1201ELNS1_3gpuE5ELNS1_3repE0EEENS1_30default_config_static_selectorELNS0_4arch9wavefront6targetE0EEEvSR_
	.p2align	8
	.type	_ZN7rocprim17ROCPRIM_400000_NS6detail17trampoline_kernelINS0_14default_configENS1_32segmented_reduce_config_selectorIN3c108BFloat16EEEZNS1_21segmented_reduce_implIS3_PKS6_PS6_PKlS6_N6hipcub16HIPCUB_304000_NS6detail27convert_result_type_wrapperISA_SB_N2at6native12_GLOBAL__N_19CustomMaxEEEEE10hipError_tPvRmT0_T1_jT2_SS_T4_T3_P12ihipStream_tbEUlT_E_NS1_11comp_targetILNS1_3genE10ELNS1_11target_archE1201ELNS1_3gpuE5ELNS1_3repE0EEENS1_30default_config_static_selectorELNS0_4arch9wavefront6targetE0EEEvSR_,@function
_ZN7rocprim17ROCPRIM_400000_NS6detail17trampoline_kernelINS0_14default_configENS1_32segmented_reduce_config_selectorIN3c108BFloat16EEEZNS1_21segmented_reduce_implIS3_PKS6_PS6_PKlS6_N6hipcub16HIPCUB_304000_NS6detail27convert_result_type_wrapperISA_SB_N2at6native12_GLOBAL__N_19CustomMaxEEEEE10hipError_tPvRmT0_T1_jT2_SS_T4_T3_P12ihipStream_tbEUlT_E_NS1_11comp_targetILNS1_3genE10ELNS1_11target_archE1201ELNS1_3gpuE5ELNS1_3repE0EEENS1_30default_config_static_selectorELNS0_4arch9wavefront6targetE0EEEvSR_: ; @_ZN7rocprim17ROCPRIM_400000_NS6detail17trampoline_kernelINS0_14default_configENS1_32segmented_reduce_config_selectorIN3c108BFloat16EEEZNS1_21segmented_reduce_implIS3_PKS6_PS6_PKlS6_N6hipcub16HIPCUB_304000_NS6detail27convert_result_type_wrapperISA_SB_N2at6native12_GLOBAL__N_19CustomMaxEEEEE10hipError_tPvRmT0_T1_jT2_SS_T4_T3_P12ihipStream_tbEUlT_E_NS1_11comp_targetILNS1_3genE10ELNS1_11target_archE1201ELNS1_3gpuE5ELNS1_3repE0EEENS1_30default_config_static_selectorELNS0_4arch9wavefront6targetE0EEEvSR_
; %bb.0:
	.section	.rodata,"a",@progbits
	.p2align	6, 0x0
	.amdhsa_kernel _ZN7rocprim17ROCPRIM_400000_NS6detail17trampoline_kernelINS0_14default_configENS1_32segmented_reduce_config_selectorIN3c108BFloat16EEEZNS1_21segmented_reduce_implIS3_PKS6_PS6_PKlS6_N6hipcub16HIPCUB_304000_NS6detail27convert_result_type_wrapperISA_SB_N2at6native12_GLOBAL__N_19CustomMaxEEEEE10hipError_tPvRmT0_T1_jT2_SS_T4_T3_P12ihipStream_tbEUlT_E_NS1_11comp_targetILNS1_3genE10ELNS1_11target_archE1201ELNS1_3gpuE5ELNS1_3repE0EEENS1_30default_config_static_selectorELNS0_4arch9wavefront6targetE0EEEvSR_
		.amdhsa_group_segment_fixed_size 0
		.amdhsa_private_segment_fixed_size 0
		.amdhsa_kernarg_size 48
		.amdhsa_user_sgpr_count 2
		.amdhsa_user_sgpr_dispatch_ptr 0
		.amdhsa_user_sgpr_queue_ptr 0
		.amdhsa_user_sgpr_kernarg_segment_ptr 1
		.amdhsa_user_sgpr_dispatch_id 0
		.amdhsa_user_sgpr_kernarg_preload_length 0
		.amdhsa_user_sgpr_kernarg_preload_offset 0
		.amdhsa_user_sgpr_private_segment_size 0
		.amdhsa_wavefront_size32 1
		.amdhsa_uses_dynamic_stack 0
		.amdhsa_enable_private_segment 0
		.amdhsa_system_sgpr_workgroup_id_x 1
		.amdhsa_system_sgpr_workgroup_id_y 0
		.amdhsa_system_sgpr_workgroup_id_z 0
		.amdhsa_system_sgpr_workgroup_info 0
		.amdhsa_system_vgpr_workitem_id 0
		.amdhsa_next_free_vgpr 1
		.amdhsa_next_free_sgpr 1
		.amdhsa_named_barrier_count 0
		.amdhsa_reserve_vcc 0
		.amdhsa_float_round_mode_32 0
		.amdhsa_float_round_mode_16_64 0
		.amdhsa_float_denorm_mode_32 3
		.amdhsa_float_denorm_mode_16_64 3
		.amdhsa_fp16_overflow 0
		.amdhsa_memory_ordered 1
		.amdhsa_forward_progress 1
		.amdhsa_inst_pref_size 0
		.amdhsa_round_robin_scheduling 0
		.amdhsa_exception_fp_ieee_invalid_op 0
		.amdhsa_exception_fp_denorm_src 0
		.amdhsa_exception_fp_ieee_div_zero 0
		.amdhsa_exception_fp_ieee_overflow 0
		.amdhsa_exception_fp_ieee_underflow 0
		.amdhsa_exception_fp_ieee_inexact 0
		.amdhsa_exception_int_div_zero 0
	.end_amdhsa_kernel
	.section	.text._ZN7rocprim17ROCPRIM_400000_NS6detail17trampoline_kernelINS0_14default_configENS1_32segmented_reduce_config_selectorIN3c108BFloat16EEEZNS1_21segmented_reduce_implIS3_PKS6_PS6_PKlS6_N6hipcub16HIPCUB_304000_NS6detail27convert_result_type_wrapperISA_SB_N2at6native12_GLOBAL__N_19CustomMaxEEEEE10hipError_tPvRmT0_T1_jT2_SS_T4_T3_P12ihipStream_tbEUlT_E_NS1_11comp_targetILNS1_3genE10ELNS1_11target_archE1201ELNS1_3gpuE5ELNS1_3repE0EEENS1_30default_config_static_selectorELNS0_4arch9wavefront6targetE0EEEvSR_,"axG",@progbits,_ZN7rocprim17ROCPRIM_400000_NS6detail17trampoline_kernelINS0_14default_configENS1_32segmented_reduce_config_selectorIN3c108BFloat16EEEZNS1_21segmented_reduce_implIS3_PKS6_PS6_PKlS6_N6hipcub16HIPCUB_304000_NS6detail27convert_result_type_wrapperISA_SB_N2at6native12_GLOBAL__N_19CustomMaxEEEEE10hipError_tPvRmT0_T1_jT2_SS_T4_T3_P12ihipStream_tbEUlT_E_NS1_11comp_targetILNS1_3genE10ELNS1_11target_archE1201ELNS1_3gpuE5ELNS1_3repE0EEENS1_30default_config_static_selectorELNS0_4arch9wavefront6targetE0EEEvSR_,comdat
.Lfunc_end249:
	.size	_ZN7rocprim17ROCPRIM_400000_NS6detail17trampoline_kernelINS0_14default_configENS1_32segmented_reduce_config_selectorIN3c108BFloat16EEEZNS1_21segmented_reduce_implIS3_PKS6_PS6_PKlS6_N6hipcub16HIPCUB_304000_NS6detail27convert_result_type_wrapperISA_SB_N2at6native12_GLOBAL__N_19CustomMaxEEEEE10hipError_tPvRmT0_T1_jT2_SS_T4_T3_P12ihipStream_tbEUlT_E_NS1_11comp_targetILNS1_3genE10ELNS1_11target_archE1201ELNS1_3gpuE5ELNS1_3repE0EEENS1_30default_config_static_selectorELNS0_4arch9wavefront6targetE0EEEvSR_, .Lfunc_end249-_ZN7rocprim17ROCPRIM_400000_NS6detail17trampoline_kernelINS0_14default_configENS1_32segmented_reduce_config_selectorIN3c108BFloat16EEEZNS1_21segmented_reduce_implIS3_PKS6_PS6_PKlS6_N6hipcub16HIPCUB_304000_NS6detail27convert_result_type_wrapperISA_SB_N2at6native12_GLOBAL__N_19CustomMaxEEEEE10hipError_tPvRmT0_T1_jT2_SS_T4_T3_P12ihipStream_tbEUlT_E_NS1_11comp_targetILNS1_3genE10ELNS1_11target_archE1201ELNS1_3gpuE5ELNS1_3repE0EEENS1_30default_config_static_selectorELNS0_4arch9wavefront6targetE0EEEvSR_
                                        ; -- End function
	.set _ZN7rocprim17ROCPRIM_400000_NS6detail17trampoline_kernelINS0_14default_configENS1_32segmented_reduce_config_selectorIN3c108BFloat16EEEZNS1_21segmented_reduce_implIS3_PKS6_PS6_PKlS6_N6hipcub16HIPCUB_304000_NS6detail27convert_result_type_wrapperISA_SB_N2at6native12_GLOBAL__N_19CustomMaxEEEEE10hipError_tPvRmT0_T1_jT2_SS_T4_T3_P12ihipStream_tbEUlT_E_NS1_11comp_targetILNS1_3genE10ELNS1_11target_archE1201ELNS1_3gpuE5ELNS1_3repE0EEENS1_30default_config_static_selectorELNS0_4arch9wavefront6targetE0EEEvSR_.num_vgpr, 0
	.set _ZN7rocprim17ROCPRIM_400000_NS6detail17trampoline_kernelINS0_14default_configENS1_32segmented_reduce_config_selectorIN3c108BFloat16EEEZNS1_21segmented_reduce_implIS3_PKS6_PS6_PKlS6_N6hipcub16HIPCUB_304000_NS6detail27convert_result_type_wrapperISA_SB_N2at6native12_GLOBAL__N_19CustomMaxEEEEE10hipError_tPvRmT0_T1_jT2_SS_T4_T3_P12ihipStream_tbEUlT_E_NS1_11comp_targetILNS1_3genE10ELNS1_11target_archE1201ELNS1_3gpuE5ELNS1_3repE0EEENS1_30default_config_static_selectorELNS0_4arch9wavefront6targetE0EEEvSR_.num_agpr, 0
	.set _ZN7rocprim17ROCPRIM_400000_NS6detail17trampoline_kernelINS0_14default_configENS1_32segmented_reduce_config_selectorIN3c108BFloat16EEEZNS1_21segmented_reduce_implIS3_PKS6_PS6_PKlS6_N6hipcub16HIPCUB_304000_NS6detail27convert_result_type_wrapperISA_SB_N2at6native12_GLOBAL__N_19CustomMaxEEEEE10hipError_tPvRmT0_T1_jT2_SS_T4_T3_P12ihipStream_tbEUlT_E_NS1_11comp_targetILNS1_3genE10ELNS1_11target_archE1201ELNS1_3gpuE5ELNS1_3repE0EEENS1_30default_config_static_selectorELNS0_4arch9wavefront6targetE0EEEvSR_.numbered_sgpr, 0
	.set _ZN7rocprim17ROCPRIM_400000_NS6detail17trampoline_kernelINS0_14default_configENS1_32segmented_reduce_config_selectorIN3c108BFloat16EEEZNS1_21segmented_reduce_implIS3_PKS6_PS6_PKlS6_N6hipcub16HIPCUB_304000_NS6detail27convert_result_type_wrapperISA_SB_N2at6native12_GLOBAL__N_19CustomMaxEEEEE10hipError_tPvRmT0_T1_jT2_SS_T4_T3_P12ihipStream_tbEUlT_E_NS1_11comp_targetILNS1_3genE10ELNS1_11target_archE1201ELNS1_3gpuE5ELNS1_3repE0EEENS1_30default_config_static_selectorELNS0_4arch9wavefront6targetE0EEEvSR_.num_named_barrier, 0
	.set _ZN7rocprim17ROCPRIM_400000_NS6detail17trampoline_kernelINS0_14default_configENS1_32segmented_reduce_config_selectorIN3c108BFloat16EEEZNS1_21segmented_reduce_implIS3_PKS6_PS6_PKlS6_N6hipcub16HIPCUB_304000_NS6detail27convert_result_type_wrapperISA_SB_N2at6native12_GLOBAL__N_19CustomMaxEEEEE10hipError_tPvRmT0_T1_jT2_SS_T4_T3_P12ihipStream_tbEUlT_E_NS1_11comp_targetILNS1_3genE10ELNS1_11target_archE1201ELNS1_3gpuE5ELNS1_3repE0EEENS1_30default_config_static_selectorELNS0_4arch9wavefront6targetE0EEEvSR_.private_seg_size, 0
	.set _ZN7rocprim17ROCPRIM_400000_NS6detail17trampoline_kernelINS0_14default_configENS1_32segmented_reduce_config_selectorIN3c108BFloat16EEEZNS1_21segmented_reduce_implIS3_PKS6_PS6_PKlS6_N6hipcub16HIPCUB_304000_NS6detail27convert_result_type_wrapperISA_SB_N2at6native12_GLOBAL__N_19CustomMaxEEEEE10hipError_tPvRmT0_T1_jT2_SS_T4_T3_P12ihipStream_tbEUlT_E_NS1_11comp_targetILNS1_3genE10ELNS1_11target_archE1201ELNS1_3gpuE5ELNS1_3repE0EEENS1_30default_config_static_selectorELNS0_4arch9wavefront6targetE0EEEvSR_.uses_vcc, 0
	.set _ZN7rocprim17ROCPRIM_400000_NS6detail17trampoline_kernelINS0_14default_configENS1_32segmented_reduce_config_selectorIN3c108BFloat16EEEZNS1_21segmented_reduce_implIS3_PKS6_PS6_PKlS6_N6hipcub16HIPCUB_304000_NS6detail27convert_result_type_wrapperISA_SB_N2at6native12_GLOBAL__N_19CustomMaxEEEEE10hipError_tPvRmT0_T1_jT2_SS_T4_T3_P12ihipStream_tbEUlT_E_NS1_11comp_targetILNS1_3genE10ELNS1_11target_archE1201ELNS1_3gpuE5ELNS1_3repE0EEENS1_30default_config_static_selectorELNS0_4arch9wavefront6targetE0EEEvSR_.uses_flat_scratch, 0
	.set _ZN7rocprim17ROCPRIM_400000_NS6detail17trampoline_kernelINS0_14default_configENS1_32segmented_reduce_config_selectorIN3c108BFloat16EEEZNS1_21segmented_reduce_implIS3_PKS6_PS6_PKlS6_N6hipcub16HIPCUB_304000_NS6detail27convert_result_type_wrapperISA_SB_N2at6native12_GLOBAL__N_19CustomMaxEEEEE10hipError_tPvRmT0_T1_jT2_SS_T4_T3_P12ihipStream_tbEUlT_E_NS1_11comp_targetILNS1_3genE10ELNS1_11target_archE1201ELNS1_3gpuE5ELNS1_3repE0EEENS1_30default_config_static_selectorELNS0_4arch9wavefront6targetE0EEEvSR_.has_dyn_sized_stack, 0
	.set _ZN7rocprim17ROCPRIM_400000_NS6detail17trampoline_kernelINS0_14default_configENS1_32segmented_reduce_config_selectorIN3c108BFloat16EEEZNS1_21segmented_reduce_implIS3_PKS6_PS6_PKlS6_N6hipcub16HIPCUB_304000_NS6detail27convert_result_type_wrapperISA_SB_N2at6native12_GLOBAL__N_19CustomMaxEEEEE10hipError_tPvRmT0_T1_jT2_SS_T4_T3_P12ihipStream_tbEUlT_E_NS1_11comp_targetILNS1_3genE10ELNS1_11target_archE1201ELNS1_3gpuE5ELNS1_3repE0EEENS1_30default_config_static_selectorELNS0_4arch9wavefront6targetE0EEEvSR_.has_recursion, 0
	.set _ZN7rocprim17ROCPRIM_400000_NS6detail17trampoline_kernelINS0_14default_configENS1_32segmented_reduce_config_selectorIN3c108BFloat16EEEZNS1_21segmented_reduce_implIS3_PKS6_PS6_PKlS6_N6hipcub16HIPCUB_304000_NS6detail27convert_result_type_wrapperISA_SB_N2at6native12_GLOBAL__N_19CustomMaxEEEEE10hipError_tPvRmT0_T1_jT2_SS_T4_T3_P12ihipStream_tbEUlT_E_NS1_11comp_targetILNS1_3genE10ELNS1_11target_archE1201ELNS1_3gpuE5ELNS1_3repE0EEENS1_30default_config_static_selectorELNS0_4arch9wavefront6targetE0EEEvSR_.has_indirect_call, 0
	.section	.AMDGPU.csdata,"",@progbits
; Kernel info:
; codeLenInByte = 0
; TotalNumSgprs: 0
; NumVgprs: 0
; ScratchSize: 0
; MemoryBound: 0
; FloatMode: 240
; IeeeMode: 1
; LDSByteSize: 0 bytes/workgroup (compile time only)
; SGPRBlocks: 0
; VGPRBlocks: 0
; NumSGPRsForWavesPerEU: 1
; NumVGPRsForWavesPerEU: 1
; NamedBarCnt: 0
; Occupancy: 16
; WaveLimiterHint : 0
; COMPUTE_PGM_RSRC2:SCRATCH_EN: 0
; COMPUTE_PGM_RSRC2:USER_SGPR: 2
; COMPUTE_PGM_RSRC2:TRAP_HANDLER: 0
; COMPUTE_PGM_RSRC2:TGID_X_EN: 1
; COMPUTE_PGM_RSRC2:TGID_Y_EN: 0
; COMPUTE_PGM_RSRC2:TGID_Z_EN: 0
; COMPUTE_PGM_RSRC2:TIDIG_COMP_CNT: 0
	.section	.text._ZN7rocprim17ROCPRIM_400000_NS6detail17trampoline_kernelINS0_14default_configENS1_32segmented_reduce_config_selectorIN3c108BFloat16EEEZNS1_21segmented_reduce_implIS3_PKS6_PS6_PKlS6_N6hipcub16HIPCUB_304000_NS6detail27convert_result_type_wrapperISA_SB_N2at6native12_GLOBAL__N_19CustomMaxEEEEE10hipError_tPvRmT0_T1_jT2_SS_T4_T3_P12ihipStream_tbEUlT_E_NS1_11comp_targetILNS1_3genE4ELNS1_11target_archE910ELNS1_3gpuE8ELNS1_3repE0EEENS1_30default_config_static_selectorELNS0_4arch9wavefront6targetE0EEEvSR_,"axG",@progbits,_ZN7rocprim17ROCPRIM_400000_NS6detail17trampoline_kernelINS0_14default_configENS1_32segmented_reduce_config_selectorIN3c108BFloat16EEEZNS1_21segmented_reduce_implIS3_PKS6_PS6_PKlS6_N6hipcub16HIPCUB_304000_NS6detail27convert_result_type_wrapperISA_SB_N2at6native12_GLOBAL__N_19CustomMaxEEEEE10hipError_tPvRmT0_T1_jT2_SS_T4_T3_P12ihipStream_tbEUlT_E_NS1_11comp_targetILNS1_3genE4ELNS1_11target_archE910ELNS1_3gpuE8ELNS1_3repE0EEENS1_30default_config_static_selectorELNS0_4arch9wavefront6targetE0EEEvSR_,comdat
	.globl	_ZN7rocprim17ROCPRIM_400000_NS6detail17trampoline_kernelINS0_14default_configENS1_32segmented_reduce_config_selectorIN3c108BFloat16EEEZNS1_21segmented_reduce_implIS3_PKS6_PS6_PKlS6_N6hipcub16HIPCUB_304000_NS6detail27convert_result_type_wrapperISA_SB_N2at6native12_GLOBAL__N_19CustomMaxEEEEE10hipError_tPvRmT0_T1_jT2_SS_T4_T3_P12ihipStream_tbEUlT_E_NS1_11comp_targetILNS1_3genE4ELNS1_11target_archE910ELNS1_3gpuE8ELNS1_3repE0EEENS1_30default_config_static_selectorELNS0_4arch9wavefront6targetE0EEEvSR_ ; -- Begin function _ZN7rocprim17ROCPRIM_400000_NS6detail17trampoline_kernelINS0_14default_configENS1_32segmented_reduce_config_selectorIN3c108BFloat16EEEZNS1_21segmented_reduce_implIS3_PKS6_PS6_PKlS6_N6hipcub16HIPCUB_304000_NS6detail27convert_result_type_wrapperISA_SB_N2at6native12_GLOBAL__N_19CustomMaxEEEEE10hipError_tPvRmT0_T1_jT2_SS_T4_T3_P12ihipStream_tbEUlT_E_NS1_11comp_targetILNS1_3genE4ELNS1_11target_archE910ELNS1_3gpuE8ELNS1_3repE0EEENS1_30default_config_static_selectorELNS0_4arch9wavefront6targetE0EEEvSR_
	.p2align	8
	.type	_ZN7rocprim17ROCPRIM_400000_NS6detail17trampoline_kernelINS0_14default_configENS1_32segmented_reduce_config_selectorIN3c108BFloat16EEEZNS1_21segmented_reduce_implIS3_PKS6_PS6_PKlS6_N6hipcub16HIPCUB_304000_NS6detail27convert_result_type_wrapperISA_SB_N2at6native12_GLOBAL__N_19CustomMaxEEEEE10hipError_tPvRmT0_T1_jT2_SS_T4_T3_P12ihipStream_tbEUlT_E_NS1_11comp_targetILNS1_3genE4ELNS1_11target_archE910ELNS1_3gpuE8ELNS1_3repE0EEENS1_30default_config_static_selectorELNS0_4arch9wavefront6targetE0EEEvSR_,@function
_ZN7rocprim17ROCPRIM_400000_NS6detail17trampoline_kernelINS0_14default_configENS1_32segmented_reduce_config_selectorIN3c108BFloat16EEEZNS1_21segmented_reduce_implIS3_PKS6_PS6_PKlS6_N6hipcub16HIPCUB_304000_NS6detail27convert_result_type_wrapperISA_SB_N2at6native12_GLOBAL__N_19CustomMaxEEEEE10hipError_tPvRmT0_T1_jT2_SS_T4_T3_P12ihipStream_tbEUlT_E_NS1_11comp_targetILNS1_3genE4ELNS1_11target_archE910ELNS1_3gpuE8ELNS1_3repE0EEENS1_30default_config_static_selectorELNS0_4arch9wavefront6targetE0EEEvSR_: ; @_ZN7rocprim17ROCPRIM_400000_NS6detail17trampoline_kernelINS0_14default_configENS1_32segmented_reduce_config_selectorIN3c108BFloat16EEEZNS1_21segmented_reduce_implIS3_PKS6_PS6_PKlS6_N6hipcub16HIPCUB_304000_NS6detail27convert_result_type_wrapperISA_SB_N2at6native12_GLOBAL__N_19CustomMaxEEEEE10hipError_tPvRmT0_T1_jT2_SS_T4_T3_P12ihipStream_tbEUlT_E_NS1_11comp_targetILNS1_3genE4ELNS1_11target_archE910ELNS1_3gpuE8ELNS1_3repE0EEENS1_30default_config_static_selectorELNS0_4arch9wavefront6targetE0EEEvSR_
; %bb.0:
	.section	.rodata,"a",@progbits
	.p2align	6, 0x0
	.amdhsa_kernel _ZN7rocprim17ROCPRIM_400000_NS6detail17trampoline_kernelINS0_14default_configENS1_32segmented_reduce_config_selectorIN3c108BFloat16EEEZNS1_21segmented_reduce_implIS3_PKS6_PS6_PKlS6_N6hipcub16HIPCUB_304000_NS6detail27convert_result_type_wrapperISA_SB_N2at6native12_GLOBAL__N_19CustomMaxEEEEE10hipError_tPvRmT0_T1_jT2_SS_T4_T3_P12ihipStream_tbEUlT_E_NS1_11comp_targetILNS1_3genE4ELNS1_11target_archE910ELNS1_3gpuE8ELNS1_3repE0EEENS1_30default_config_static_selectorELNS0_4arch9wavefront6targetE0EEEvSR_
		.amdhsa_group_segment_fixed_size 0
		.amdhsa_private_segment_fixed_size 0
		.amdhsa_kernarg_size 48
		.amdhsa_user_sgpr_count 2
		.amdhsa_user_sgpr_dispatch_ptr 0
		.amdhsa_user_sgpr_queue_ptr 0
		.amdhsa_user_sgpr_kernarg_segment_ptr 1
		.amdhsa_user_sgpr_dispatch_id 0
		.amdhsa_user_sgpr_kernarg_preload_length 0
		.amdhsa_user_sgpr_kernarg_preload_offset 0
		.amdhsa_user_sgpr_private_segment_size 0
		.amdhsa_wavefront_size32 1
		.amdhsa_uses_dynamic_stack 0
		.amdhsa_enable_private_segment 0
		.amdhsa_system_sgpr_workgroup_id_x 1
		.amdhsa_system_sgpr_workgroup_id_y 0
		.amdhsa_system_sgpr_workgroup_id_z 0
		.amdhsa_system_sgpr_workgroup_info 0
		.amdhsa_system_vgpr_workitem_id 0
		.amdhsa_next_free_vgpr 1
		.amdhsa_next_free_sgpr 1
		.amdhsa_named_barrier_count 0
		.amdhsa_reserve_vcc 0
		.amdhsa_float_round_mode_32 0
		.amdhsa_float_round_mode_16_64 0
		.amdhsa_float_denorm_mode_32 3
		.amdhsa_float_denorm_mode_16_64 3
		.amdhsa_fp16_overflow 0
		.amdhsa_memory_ordered 1
		.amdhsa_forward_progress 1
		.amdhsa_inst_pref_size 0
		.amdhsa_round_robin_scheduling 0
		.amdhsa_exception_fp_ieee_invalid_op 0
		.amdhsa_exception_fp_denorm_src 0
		.amdhsa_exception_fp_ieee_div_zero 0
		.amdhsa_exception_fp_ieee_overflow 0
		.amdhsa_exception_fp_ieee_underflow 0
		.amdhsa_exception_fp_ieee_inexact 0
		.amdhsa_exception_int_div_zero 0
	.end_amdhsa_kernel
	.section	.text._ZN7rocprim17ROCPRIM_400000_NS6detail17trampoline_kernelINS0_14default_configENS1_32segmented_reduce_config_selectorIN3c108BFloat16EEEZNS1_21segmented_reduce_implIS3_PKS6_PS6_PKlS6_N6hipcub16HIPCUB_304000_NS6detail27convert_result_type_wrapperISA_SB_N2at6native12_GLOBAL__N_19CustomMaxEEEEE10hipError_tPvRmT0_T1_jT2_SS_T4_T3_P12ihipStream_tbEUlT_E_NS1_11comp_targetILNS1_3genE4ELNS1_11target_archE910ELNS1_3gpuE8ELNS1_3repE0EEENS1_30default_config_static_selectorELNS0_4arch9wavefront6targetE0EEEvSR_,"axG",@progbits,_ZN7rocprim17ROCPRIM_400000_NS6detail17trampoline_kernelINS0_14default_configENS1_32segmented_reduce_config_selectorIN3c108BFloat16EEEZNS1_21segmented_reduce_implIS3_PKS6_PS6_PKlS6_N6hipcub16HIPCUB_304000_NS6detail27convert_result_type_wrapperISA_SB_N2at6native12_GLOBAL__N_19CustomMaxEEEEE10hipError_tPvRmT0_T1_jT2_SS_T4_T3_P12ihipStream_tbEUlT_E_NS1_11comp_targetILNS1_3genE4ELNS1_11target_archE910ELNS1_3gpuE8ELNS1_3repE0EEENS1_30default_config_static_selectorELNS0_4arch9wavefront6targetE0EEEvSR_,comdat
.Lfunc_end250:
	.size	_ZN7rocprim17ROCPRIM_400000_NS6detail17trampoline_kernelINS0_14default_configENS1_32segmented_reduce_config_selectorIN3c108BFloat16EEEZNS1_21segmented_reduce_implIS3_PKS6_PS6_PKlS6_N6hipcub16HIPCUB_304000_NS6detail27convert_result_type_wrapperISA_SB_N2at6native12_GLOBAL__N_19CustomMaxEEEEE10hipError_tPvRmT0_T1_jT2_SS_T4_T3_P12ihipStream_tbEUlT_E_NS1_11comp_targetILNS1_3genE4ELNS1_11target_archE910ELNS1_3gpuE8ELNS1_3repE0EEENS1_30default_config_static_selectorELNS0_4arch9wavefront6targetE0EEEvSR_, .Lfunc_end250-_ZN7rocprim17ROCPRIM_400000_NS6detail17trampoline_kernelINS0_14default_configENS1_32segmented_reduce_config_selectorIN3c108BFloat16EEEZNS1_21segmented_reduce_implIS3_PKS6_PS6_PKlS6_N6hipcub16HIPCUB_304000_NS6detail27convert_result_type_wrapperISA_SB_N2at6native12_GLOBAL__N_19CustomMaxEEEEE10hipError_tPvRmT0_T1_jT2_SS_T4_T3_P12ihipStream_tbEUlT_E_NS1_11comp_targetILNS1_3genE4ELNS1_11target_archE910ELNS1_3gpuE8ELNS1_3repE0EEENS1_30default_config_static_selectorELNS0_4arch9wavefront6targetE0EEEvSR_
                                        ; -- End function
	.set _ZN7rocprim17ROCPRIM_400000_NS6detail17trampoline_kernelINS0_14default_configENS1_32segmented_reduce_config_selectorIN3c108BFloat16EEEZNS1_21segmented_reduce_implIS3_PKS6_PS6_PKlS6_N6hipcub16HIPCUB_304000_NS6detail27convert_result_type_wrapperISA_SB_N2at6native12_GLOBAL__N_19CustomMaxEEEEE10hipError_tPvRmT0_T1_jT2_SS_T4_T3_P12ihipStream_tbEUlT_E_NS1_11comp_targetILNS1_3genE4ELNS1_11target_archE910ELNS1_3gpuE8ELNS1_3repE0EEENS1_30default_config_static_selectorELNS0_4arch9wavefront6targetE0EEEvSR_.num_vgpr, 0
	.set _ZN7rocprim17ROCPRIM_400000_NS6detail17trampoline_kernelINS0_14default_configENS1_32segmented_reduce_config_selectorIN3c108BFloat16EEEZNS1_21segmented_reduce_implIS3_PKS6_PS6_PKlS6_N6hipcub16HIPCUB_304000_NS6detail27convert_result_type_wrapperISA_SB_N2at6native12_GLOBAL__N_19CustomMaxEEEEE10hipError_tPvRmT0_T1_jT2_SS_T4_T3_P12ihipStream_tbEUlT_E_NS1_11comp_targetILNS1_3genE4ELNS1_11target_archE910ELNS1_3gpuE8ELNS1_3repE0EEENS1_30default_config_static_selectorELNS0_4arch9wavefront6targetE0EEEvSR_.num_agpr, 0
	.set _ZN7rocprim17ROCPRIM_400000_NS6detail17trampoline_kernelINS0_14default_configENS1_32segmented_reduce_config_selectorIN3c108BFloat16EEEZNS1_21segmented_reduce_implIS3_PKS6_PS6_PKlS6_N6hipcub16HIPCUB_304000_NS6detail27convert_result_type_wrapperISA_SB_N2at6native12_GLOBAL__N_19CustomMaxEEEEE10hipError_tPvRmT0_T1_jT2_SS_T4_T3_P12ihipStream_tbEUlT_E_NS1_11comp_targetILNS1_3genE4ELNS1_11target_archE910ELNS1_3gpuE8ELNS1_3repE0EEENS1_30default_config_static_selectorELNS0_4arch9wavefront6targetE0EEEvSR_.numbered_sgpr, 0
	.set _ZN7rocprim17ROCPRIM_400000_NS6detail17trampoline_kernelINS0_14default_configENS1_32segmented_reduce_config_selectorIN3c108BFloat16EEEZNS1_21segmented_reduce_implIS3_PKS6_PS6_PKlS6_N6hipcub16HIPCUB_304000_NS6detail27convert_result_type_wrapperISA_SB_N2at6native12_GLOBAL__N_19CustomMaxEEEEE10hipError_tPvRmT0_T1_jT2_SS_T4_T3_P12ihipStream_tbEUlT_E_NS1_11comp_targetILNS1_3genE4ELNS1_11target_archE910ELNS1_3gpuE8ELNS1_3repE0EEENS1_30default_config_static_selectorELNS0_4arch9wavefront6targetE0EEEvSR_.num_named_barrier, 0
	.set _ZN7rocprim17ROCPRIM_400000_NS6detail17trampoline_kernelINS0_14default_configENS1_32segmented_reduce_config_selectorIN3c108BFloat16EEEZNS1_21segmented_reduce_implIS3_PKS6_PS6_PKlS6_N6hipcub16HIPCUB_304000_NS6detail27convert_result_type_wrapperISA_SB_N2at6native12_GLOBAL__N_19CustomMaxEEEEE10hipError_tPvRmT0_T1_jT2_SS_T4_T3_P12ihipStream_tbEUlT_E_NS1_11comp_targetILNS1_3genE4ELNS1_11target_archE910ELNS1_3gpuE8ELNS1_3repE0EEENS1_30default_config_static_selectorELNS0_4arch9wavefront6targetE0EEEvSR_.private_seg_size, 0
	.set _ZN7rocprim17ROCPRIM_400000_NS6detail17trampoline_kernelINS0_14default_configENS1_32segmented_reduce_config_selectorIN3c108BFloat16EEEZNS1_21segmented_reduce_implIS3_PKS6_PS6_PKlS6_N6hipcub16HIPCUB_304000_NS6detail27convert_result_type_wrapperISA_SB_N2at6native12_GLOBAL__N_19CustomMaxEEEEE10hipError_tPvRmT0_T1_jT2_SS_T4_T3_P12ihipStream_tbEUlT_E_NS1_11comp_targetILNS1_3genE4ELNS1_11target_archE910ELNS1_3gpuE8ELNS1_3repE0EEENS1_30default_config_static_selectorELNS0_4arch9wavefront6targetE0EEEvSR_.uses_vcc, 0
	.set _ZN7rocprim17ROCPRIM_400000_NS6detail17trampoline_kernelINS0_14default_configENS1_32segmented_reduce_config_selectorIN3c108BFloat16EEEZNS1_21segmented_reduce_implIS3_PKS6_PS6_PKlS6_N6hipcub16HIPCUB_304000_NS6detail27convert_result_type_wrapperISA_SB_N2at6native12_GLOBAL__N_19CustomMaxEEEEE10hipError_tPvRmT0_T1_jT2_SS_T4_T3_P12ihipStream_tbEUlT_E_NS1_11comp_targetILNS1_3genE4ELNS1_11target_archE910ELNS1_3gpuE8ELNS1_3repE0EEENS1_30default_config_static_selectorELNS0_4arch9wavefront6targetE0EEEvSR_.uses_flat_scratch, 0
	.set _ZN7rocprim17ROCPRIM_400000_NS6detail17trampoline_kernelINS0_14default_configENS1_32segmented_reduce_config_selectorIN3c108BFloat16EEEZNS1_21segmented_reduce_implIS3_PKS6_PS6_PKlS6_N6hipcub16HIPCUB_304000_NS6detail27convert_result_type_wrapperISA_SB_N2at6native12_GLOBAL__N_19CustomMaxEEEEE10hipError_tPvRmT0_T1_jT2_SS_T4_T3_P12ihipStream_tbEUlT_E_NS1_11comp_targetILNS1_3genE4ELNS1_11target_archE910ELNS1_3gpuE8ELNS1_3repE0EEENS1_30default_config_static_selectorELNS0_4arch9wavefront6targetE0EEEvSR_.has_dyn_sized_stack, 0
	.set _ZN7rocprim17ROCPRIM_400000_NS6detail17trampoline_kernelINS0_14default_configENS1_32segmented_reduce_config_selectorIN3c108BFloat16EEEZNS1_21segmented_reduce_implIS3_PKS6_PS6_PKlS6_N6hipcub16HIPCUB_304000_NS6detail27convert_result_type_wrapperISA_SB_N2at6native12_GLOBAL__N_19CustomMaxEEEEE10hipError_tPvRmT0_T1_jT2_SS_T4_T3_P12ihipStream_tbEUlT_E_NS1_11comp_targetILNS1_3genE4ELNS1_11target_archE910ELNS1_3gpuE8ELNS1_3repE0EEENS1_30default_config_static_selectorELNS0_4arch9wavefront6targetE0EEEvSR_.has_recursion, 0
	.set _ZN7rocprim17ROCPRIM_400000_NS6detail17trampoline_kernelINS0_14default_configENS1_32segmented_reduce_config_selectorIN3c108BFloat16EEEZNS1_21segmented_reduce_implIS3_PKS6_PS6_PKlS6_N6hipcub16HIPCUB_304000_NS6detail27convert_result_type_wrapperISA_SB_N2at6native12_GLOBAL__N_19CustomMaxEEEEE10hipError_tPvRmT0_T1_jT2_SS_T4_T3_P12ihipStream_tbEUlT_E_NS1_11comp_targetILNS1_3genE4ELNS1_11target_archE910ELNS1_3gpuE8ELNS1_3repE0EEENS1_30default_config_static_selectorELNS0_4arch9wavefront6targetE0EEEvSR_.has_indirect_call, 0
	.section	.AMDGPU.csdata,"",@progbits
; Kernel info:
; codeLenInByte = 0
; TotalNumSgprs: 0
; NumVgprs: 0
; ScratchSize: 0
; MemoryBound: 0
; FloatMode: 240
; IeeeMode: 1
; LDSByteSize: 0 bytes/workgroup (compile time only)
; SGPRBlocks: 0
; VGPRBlocks: 0
; NumSGPRsForWavesPerEU: 1
; NumVGPRsForWavesPerEU: 1
; NamedBarCnt: 0
; Occupancy: 16
; WaveLimiterHint : 0
; COMPUTE_PGM_RSRC2:SCRATCH_EN: 0
; COMPUTE_PGM_RSRC2:USER_SGPR: 2
; COMPUTE_PGM_RSRC2:TRAP_HANDLER: 0
; COMPUTE_PGM_RSRC2:TGID_X_EN: 1
; COMPUTE_PGM_RSRC2:TGID_Y_EN: 0
; COMPUTE_PGM_RSRC2:TGID_Z_EN: 0
; COMPUTE_PGM_RSRC2:TIDIG_COMP_CNT: 0
	.section	.text._ZN7rocprim17ROCPRIM_400000_NS6detail17trampoline_kernelINS0_14default_configENS1_32segmented_reduce_config_selectorIN3c108BFloat16EEEZNS1_21segmented_reduce_implIS3_PKS6_PS6_PKlS6_N6hipcub16HIPCUB_304000_NS6detail27convert_result_type_wrapperISA_SB_N2at6native12_GLOBAL__N_19CustomMaxEEEEE10hipError_tPvRmT0_T1_jT2_SS_T4_T3_P12ihipStream_tbEUlT_E_NS1_11comp_targetILNS1_3genE3ELNS1_11target_archE908ELNS1_3gpuE7ELNS1_3repE0EEENS1_30default_config_static_selectorELNS0_4arch9wavefront6targetE0EEEvSR_,"axG",@progbits,_ZN7rocprim17ROCPRIM_400000_NS6detail17trampoline_kernelINS0_14default_configENS1_32segmented_reduce_config_selectorIN3c108BFloat16EEEZNS1_21segmented_reduce_implIS3_PKS6_PS6_PKlS6_N6hipcub16HIPCUB_304000_NS6detail27convert_result_type_wrapperISA_SB_N2at6native12_GLOBAL__N_19CustomMaxEEEEE10hipError_tPvRmT0_T1_jT2_SS_T4_T3_P12ihipStream_tbEUlT_E_NS1_11comp_targetILNS1_3genE3ELNS1_11target_archE908ELNS1_3gpuE7ELNS1_3repE0EEENS1_30default_config_static_selectorELNS0_4arch9wavefront6targetE0EEEvSR_,comdat
	.globl	_ZN7rocprim17ROCPRIM_400000_NS6detail17trampoline_kernelINS0_14default_configENS1_32segmented_reduce_config_selectorIN3c108BFloat16EEEZNS1_21segmented_reduce_implIS3_PKS6_PS6_PKlS6_N6hipcub16HIPCUB_304000_NS6detail27convert_result_type_wrapperISA_SB_N2at6native12_GLOBAL__N_19CustomMaxEEEEE10hipError_tPvRmT0_T1_jT2_SS_T4_T3_P12ihipStream_tbEUlT_E_NS1_11comp_targetILNS1_3genE3ELNS1_11target_archE908ELNS1_3gpuE7ELNS1_3repE0EEENS1_30default_config_static_selectorELNS0_4arch9wavefront6targetE0EEEvSR_ ; -- Begin function _ZN7rocprim17ROCPRIM_400000_NS6detail17trampoline_kernelINS0_14default_configENS1_32segmented_reduce_config_selectorIN3c108BFloat16EEEZNS1_21segmented_reduce_implIS3_PKS6_PS6_PKlS6_N6hipcub16HIPCUB_304000_NS6detail27convert_result_type_wrapperISA_SB_N2at6native12_GLOBAL__N_19CustomMaxEEEEE10hipError_tPvRmT0_T1_jT2_SS_T4_T3_P12ihipStream_tbEUlT_E_NS1_11comp_targetILNS1_3genE3ELNS1_11target_archE908ELNS1_3gpuE7ELNS1_3repE0EEENS1_30default_config_static_selectorELNS0_4arch9wavefront6targetE0EEEvSR_
	.p2align	8
	.type	_ZN7rocprim17ROCPRIM_400000_NS6detail17trampoline_kernelINS0_14default_configENS1_32segmented_reduce_config_selectorIN3c108BFloat16EEEZNS1_21segmented_reduce_implIS3_PKS6_PS6_PKlS6_N6hipcub16HIPCUB_304000_NS6detail27convert_result_type_wrapperISA_SB_N2at6native12_GLOBAL__N_19CustomMaxEEEEE10hipError_tPvRmT0_T1_jT2_SS_T4_T3_P12ihipStream_tbEUlT_E_NS1_11comp_targetILNS1_3genE3ELNS1_11target_archE908ELNS1_3gpuE7ELNS1_3repE0EEENS1_30default_config_static_selectorELNS0_4arch9wavefront6targetE0EEEvSR_,@function
_ZN7rocprim17ROCPRIM_400000_NS6detail17trampoline_kernelINS0_14default_configENS1_32segmented_reduce_config_selectorIN3c108BFloat16EEEZNS1_21segmented_reduce_implIS3_PKS6_PS6_PKlS6_N6hipcub16HIPCUB_304000_NS6detail27convert_result_type_wrapperISA_SB_N2at6native12_GLOBAL__N_19CustomMaxEEEEE10hipError_tPvRmT0_T1_jT2_SS_T4_T3_P12ihipStream_tbEUlT_E_NS1_11comp_targetILNS1_3genE3ELNS1_11target_archE908ELNS1_3gpuE7ELNS1_3repE0EEENS1_30default_config_static_selectorELNS0_4arch9wavefront6targetE0EEEvSR_: ; @_ZN7rocprim17ROCPRIM_400000_NS6detail17trampoline_kernelINS0_14default_configENS1_32segmented_reduce_config_selectorIN3c108BFloat16EEEZNS1_21segmented_reduce_implIS3_PKS6_PS6_PKlS6_N6hipcub16HIPCUB_304000_NS6detail27convert_result_type_wrapperISA_SB_N2at6native12_GLOBAL__N_19CustomMaxEEEEE10hipError_tPvRmT0_T1_jT2_SS_T4_T3_P12ihipStream_tbEUlT_E_NS1_11comp_targetILNS1_3genE3ELNS1_11target_archE908ELNS1_3gpuE7ELNS1_3repE0EEENS1_30default_config_static_selectorELNS0_4arch9wavefront6targetE0EEEvSR_
; %bb.0:
	.section	.rodata,"a",@progbits
	.p2align	6, 0x0
	.amdhsa_kernel _ZN7rocprim17ROCPRIM_400000_NS6detail17trampoline_kernelINS0_14default_configENS1_32segmented_reduce_config_selectorIN3c108BFloat16EEEZNS1_21segmented_reduce_implIS3_PKS6_PS6_PKlS6_N6hipcub16HIPCUB_304000_NS6detail27convert_result_type_wrapperISA_SB_N2at6native12_GLOBAL__N_19CustomMaxEEEEE10hipError_tPvRmT0_T1_jT2_SS_T4_T3_P12ihipStream_tbEUlT_E_NS1_11comp_targetILNS1_3genE3ELNS1_11target_archE908ELNS1_3gpuE7ELNS1_3repE0EEENS1_30default_config_static_selectorELNS0_4arch9wavefront6targetE0EEEvSR_
		.amdhsa_group_segment_fixed_size 0
		.amdhsa_private_segment_fixed_size 0
		.amdhsa_kernarg_size 48
		.amdhsa_user_sgpr_count 2
		.amdhsa_user_sgpr_dispatch_ptr 0
		.amdhsa_user_sgpr_queue_ptr 0
		.amdhsa_user_sgpr_kernarg_segment_ptr 1
		.amdhsa_user_sgpr_dispatch_id 0
		.amdhsa_user_sgpr_kernarg_preload_length 0
		.amdhsa_user_sgpr_kernarg_preload_offset 0
		.amdhsa_user_sgpr_private_segment_size 0
		.amdhsa_wavefront_size32 1
		.amdhsa_uses_dynamic_stack 0
		.amdhsa_enable_private_segment 0
		.amdhsa_system_sgpr_workgroup_id_x 1
		.amdhsa_system_sgpr_workgroup_id_y 0
		.amdhsa_system_sgpr_workgroup_id_z 0
		.amdhsa_system_sgpr_workgroup_info 0
		.amdhsa_system_vgpr_workitem_id 0
		.amdhsa_next_free_vgpr 1
		.amdhsa_next_free_sgpr 1
		.amdhsa_named_barrier_count 0
		.amdhsa_reserve_vcc 0
		.amdhsa_float_round_mode_32 0
		.amdhsa_float_round_mode_16_64 0
		.amdhsa_float_denorm_mode_32 3
		.amdhsa_float_denorm_mode_16_64 3
		.amdhsa_fp16_overflow 0
		.amdhsa_memory_ordered 1
		.amdhsa_forward_progress 1
		.amdhsa_inst_pref_size 0
		.amdhsa_round_robin_scheduling 0
		.amdhsa_exception_fp_ieee_invalid_op 0
		.amdhsa_exception_fp_denorm_src 0
		.amdhsa_exception_fp_ieee_div_zero 0
		.amdhsa_exception_fp_ieee_overflow 0
		.amdhsa_exception_fp_ieee_underflow 0
		.amdhsa_exception_fp_ieee_inexact 0
		.amdhsa_exception_int_div_zero 0
	.end_amdhsa_kernel
	.section	.text._ZN7rocprim17ROCPRIM_400000_NS6detail17trampoline_kernelINS0_14default_configENS1_32segmented_reduce_config_selectorIN3c108BFloat16EEEZNS1_21segmented_reduce_implIS3_PKS6_PS6_PKlS6_N6hipcub16HIPCUB_304000_NS6detail27convert_result_type_wrapperISA_SB_N2at6native12_GLOBAL__N_19CustomMaxEEEEE10hipError_tPvRmT0_T1_jT2_SS_T4_T3_P12ihipStream_tbEUlT_E_NS1_11comp_targetILNS1_3genE3ELNS1_11target_archE908ELNS1_3gpuE7ELNS1_3repE0EEENS1_30default_config_static_selectorELNS0_4arch9wavefront6targetE0EEEvSR_,"axG",@progbits,_ZN7rocprim17ROCPRIM_400000_NS6detail17trampoline_kernelINS0_14default_configENS1_32segmented_reduce_config_selectorIN3c108BFloat16EEEZNS1_21segmented_reduce_implIS3_PKS6_PS6_PKlS6_N6hipcub16HIPCUB_304000_NS6detail27convert_result_type_wrapperISA_SB_N2at6native12_GLOBAL__N_19CustomMaxEEEEE10hipError_tPvRmT0_T1_jT2_SS_T4_T3_P12ihipStream_tbEUlT_E_NS1_11comp_targetILNS1_3genE3ELNS1_11target_archE908ELNS1_3gpuE7ELNS1_3repE0EEENS1_30default_config_static_selectorELNS0_4arch9wavefront6targetE0EEEvSR_,comdat
.Lfunc_end251:
	.size	_ZN7rocprim17ROCPRIM_400000_NS6detail17trampoline_kernelINS0_14default_configENS1_32segmented_reduce_config_selectorIN3c108BFloat16EEEZNS1_21segmented_reduce_implIS3_PKS6_PS6_PKlS6_N6hipcub16HIPCUB_304000_NS6detail27convert_result_type_wrapperISA_SB_N2at6native12_GLOBAL__N_19CustomMaxEEEEE10hipError_tPvRmT0_T1_jT2_SS_T4_T3_P12ihipStream_tbEUlT_E_NS1_11comp_targetILNS1_3genE3ELNS1_11target_archE908ELNS1_3gpuE7ELNS1_3repE0EEENS1_30default_config_static_selectorELNS0_4arch9wavefront6targetE0EEEvSR_, .Lfunc_end251-_ZN7rocprim17ROCPRIM_400000_NS6detail17trampoline_kernelINS0_14default_configENS1_32segmented_reduce_config_selectorIN3c108BFloat16EEEZNS1_21segmented_reduce_implIS3_PKS6_PS6_PKlS6_N6hipcub16HIPCUB_304000_NS6detail27convert_result_type_wrapperISA_SB_N2at6native12_GLOBAL__N_19CustomMaxEEEEE10hipError_tPvRmT0_T1_jT2_SS_T4_T3_P12ihipStream_tbEUlT_E_NS1_11comp_targetILNS1_3genE3ELNS1_11target_archE908ELNS1_3gpuE7ELNS1_3repE0EEENS1_30default_config_static_selectorELNS0_4arch9wavefront6targetE0EEEvSR_
                                        ; -- End function
	.set _ZN7rocprim17ROCPRIM_400000_NS6detail17trampoline_kernelINS0_14default_configENS1_32segmented_reduce_config_selectorIN3c108BFloat16EEEZNS1_21segmented_reduce_implIS3_PKS6_PS6_PKlS6_N6hipcub16HIPCUB_304000_NS6detail27convert_result_type_wrapperISA_SB_N2at6native12_GLOBAL__N_19CustomMaxEEEEE10hipError_tPvRmT0_T1_jT2_SS_T4_T3_P12ihipStream_tbEUlT_E_NS1_11comp_targetILNS1_3genE3ELNS1_11target_archE908ELNS1_3gpuE7ELNS1_3repE0EEENS1_30default_config_static_selectorELNS0_4arch9wavefront6targetE0EEEvSR_.num_vgpr, 0
	.set _ZN7rocprim17ROCPRIM_400000_NS6detail17trampoline_kernelINS0_14default_configENS1_32segmented_reduce_config_selectorIN3c108BFloat16EEEZNS1_21segmented_reduce_implIS3_PKS6_PS6_PKlS6_N6hipcub16HIPCUB_304000_NS6detail27convert_result_type_wrapperISA_SB_N2at6native12_GLOBAL__N_19CustomMaxEEEEE10hipError_tPvRmT0_T1_jT2_SS_T4_T3_P12ihipStream_tbEUlT_E_NS1_11comp_targetILNS1_3genE3ELNS1_11target_archE908ELNS1_3gpuE7ELNS1_3repE0EEENS1_30default_config_static_selectorELNS0_4arch9wavefront6targetE0EEEvSR_.num_agpr, 0
	.set _ZN7rocprim17ROCPRIM_400000_NS6detail17trampoline_kernelINS0_14default_configENS1_32segmented_reduce_config_selectorIN3c108BFloat16EEEZNS1_21segmented_reduce_implIS3_PKS6_PS6_PKlS6_N6hipcub16HIPCUB_304000_NS6detail27convert_result_type_wrapperISA_SB_N2at6native12_GLOBAL__N_19CustomMaxEEEEE10hipError_tPvRmT0_T1_jT2_SS_T4_T3_P12ihipStream_tbEUlT_E_NS1_11comp_targetILNS1_3genE3ELNS1_11target_archE908ELNS1_3gpuE7ELNS1_3repE0EEENS1_30default_config_static_selectorELNS0_4arch9wavefront6targetE0EEEvSR_.numbered_sgpr, 0
	.set _ZN7rocprim17ROCPRIM_400000_NS6detail17trampoline_kernelINS0_14default_configENS1_32segmented_reduce_config_selectorIN3c108BFloat16EEEZNS1_21segmented_reduce_implIS3_PKS6_PS6_PKlS6_N6hipcub16HIPCUB_304000_NS6detail27convert_result_type_wrapperISA_SB_N2at6native12_GLOBAL__N_19CustomMaxEEEEE10hipError_tPvRmT0_T1_jT2_SS_T4_T3_P12ihipStream_tbEUlT_E_NS1_11comp_targetILNS1_3genE3ELNS1_11target_archE908ELNS1_3gpuE7ELNS1_3repE0EEENS1_30default_config_static_selectorELNS0_4arch9wavefront6targetE0EEEvSR_.num_named_barrier, 0
	.set _ZN7rocprim17ROCPRIM_400000_NS6detail17trampoline_kernelINS0_14default_configENS1_32segmented_reduce_config_selectorIN3c108BFloat16EEEZNS1_21segmented_reduce_implIS3_PKS6_PS6_PKlS6_N6hipcub16HIPCUB_304000_NS6detail27convert_result_type_wrapperISA_SB_N2at6native12_GLOBAL__N_19CustomMaxEEEEE10hipError_tPvRmT0_T1_jT2_SS_T4_T3_P12ihipStream_tbEUlT_E_NS1_11comp_targetILNS1_3genE3ELNS1_11target_archE908ELNS1_3gpuE7ELNS1_3repE0EEENS1_30default_config_static_selectorELNS0_4arch9wavefront6targetE0EEEvSR_.private_seg_size, 0
	.set _ZN7rocprim17ROCPRIM_400000_NS6detail17trampoline_kernelINS0_14default_configENS1_32segmented_reduce_config_selectorIN3c108BFloat16EEEZNS1_21segmented_reduce_implIS3_PKS6_PS6_PKlS6_N6hipcub16HIPCUB_304000_NS6detail27convert_result_type_wrapperISA_SB_N2at6native12_GLOBAL__N_19CustomMaxEEEEE10hipError_tPvRmT0_T1_jT2_SS_T4_T3_P12ihipStream_tbEUlT_E_NS1_11comp_targetILNS1_3genE3ELNS1_11target_archE908ELNS1_3gpuE7ELNS1_3repE0EEENS1_30default_config_static_selectorELNS0_4arch9wavefront6targetE0EEEvSR_.uses_vcc, 0
	.set _ZN7rocprim17ROCPRIM_400000_NS6detail17trampoline_kernelINS0_14default_configENS1_32segmented_reduce_config_selectorIN3c108BFloat16EEEZNS1_21segmented_reduce_implIS3_PKS6_PS6_PKlS6_N6hipcub16HIPCUB_304000_NS6detail27convert_result_type_wrapperISA_SB_N2at6native12_GLOBAL__N_19CustomMaxEEEEE10hipError_tPvRmT0_T1_jT2_SS_T4_T3_P12ihipStream_tbEUlT_E_NS1_11comp_targetILNS1_3genE3ELNS1_11target_archE908ELNS1_3gpuE7ELNS1_3repE0EEENS1_30default_config_static_selectorELNS0_4arch9wavefront6targetE0EEEvSR_.uses_flat_scratch, 0
	.set _ZN7rocprim17ROCPRIM_400000_NS6detail17trampoline_kernelINS0_14default_configENS1_32segmented_reduce_config_selectorIN3c108BFloat16EEEZNS1_21segmented_reduce_implIS3_PKS6_PS6_PKlS6_N6hipcub16HIPCUB_304000_NS6detail27convert_result_type_wrapperISA_SB_N2at6native12_GLOBAL__N_19CustomMaxEEEEE10hipError_tPvRmT0_T1_jT2_SS_T4_T3_P12ihipStream_tbEUlT_E_NS1_11comp_targetILNS1_3genE3ELNS1_11target_archE908ELNS1_3gpuE7ELNS1_3repE0EEENS1_30default_config_static_selectorELNS0_4arch9wavefront6targetE0EEEvSR_.has_dyn_sized_stack, 0
	.set _ZN7rocprim17ROCPRIM_400000_NS6detail17trampoline_kernelINS0_14default_configENS1_32segmented_reduce_config_selectorIN3c108BFloat16EEEZNS1_21segmented_reduce_implIS3_PKS6_PS6_PKlS6_N6hipcub16HIPCUB_304000_NS6detail27convert_result_type_wrapperISA_SB_N2at6native12_GLOBAL__N_19CustomMaxEEEEE10hipError_tPvRmT0_T1_jT2_SS_T4_T3_P12ihipStream_tbEUlT_E_NS1_11comp_targetILNS1_3genE3ELNS1_11target_archE908ELNS1_3gpuE7ELNS1_3repE0EEENS1_30default_config_static_selectorELNS0_4arch9wavefront6targetE0EEEvSR_.has_recursion, 0
	.set _ZN7rocprim17ROCPRIM_400000_NS6detail17trampoline_kernelINS0_14default_configENS1_32segmented_reduce_config_selectorIN3c108BFloat16EEEZNS1_21segmented_reduce_implIS3_PKS6_PS6_PKlS6_N6hipcub16HIPCUB_304000_NS6detail27convert_result_type_wrapperISA_SB_N2at6native12_GLOBAL__N_19CustomMaxEEEEE10hipError_tPvRmT0_T1_jT2_SS_T4_T3_P12ihipStream_tbEUlT_E_NS1_11comp_targetILNS1_3genE3ELNS1_11target_archE908ELNS1_3gpuE7ELNS1_3repE0EEENS1_30default_config_static_selectorELNS0_4arch9wavefront6targetE0EEEvSR_.has_indirect_call, 0
	.section	.AMDGPU.csdata,"",@progbits
; Kernel info:
; codeLenInByte = 0
; TotalNumSgprs: 0
; NumVgprs: 0
; ScratchSize: 0
; MemoryBound: 0
; FloatMode: 240
; IeeeMode: 1
; LDSByteSize: 0 bytes/workgroup (compile time only)
; SGPRBlocks: 0
; VGPRBlocks: 0
; NumSGPRsForWavesPerEU: 1
; NumVGPRsForWavesPerEU: 1
; NamedBarCnt: 0
; Occupancy: 16
; WaveLimiterHint : 0
; COMPUTE_PGM_RSRC2:SCRATCH_EN: 0
; COMPUTE_PGM_RSRC2:USER_SGPR: 2
; COMPUTE_PGM_RSRC2:TRAP_HANDLER: 0
; COMPUTE_PGM_RSRC2:TGID_X_EN: 1
; COMPUTE_PGM_RSRC2:TGID_Y_EN: 0
; COMPUTE_PGM_RSRC2:TGID_Z_EN: 0
; COMPUTE_PGM_RSRC2:TIDIG_COMP_CNT: 0
	.section	.text._ZN7rocprim17ROCPRIM_400000_NS6detail17trampoline_kernelINS0_14default_configENS1_32segmented_reduce_config_selectorIN3c108BFloat16EEEZNS1_21segmented_reduce_implIS3_PKS6_PS6_PKlS6_N6hipcub16HIPCUB_304000_NS6detail27convert_result_type_wrapperISA_SB_N2at6native12_GLOBAL__N_19CustomMaxEEEEE10hipError_tPvRmT0_T1_jT2_SS_T4_T3_P12ihipStream_tbEUlT_E_NS1_11comp_targetILNS1_3genE2ELNS1_11target_archE906ELNS1_3gpuE6ELNS1_3repE0EEENS1_30default_config_static_selectorELNS0_4arch9wavefront6targetE0EEEvSR_,"axG",@progbits,_ZN7rocprim17ROCPRIM_400000_NS6detail17trampoline_kernelINS0_14default_configENS1_32segmented_reduce_config_selectorIN3c108BFloat16EEEZNS1_21segmented_reduce_implIS3_PKS6_PS6_PKlS6_N6hipcub16HIPCUB_304000_NS6detail27convert_result_type_wrapperISA_SB_N2at6native12_GLOBAL__N_19CustomMaxEEEEE10hipError_tPvRmT0_T1_jT2_SS_T4_T3_P12ihipStream_tbEUlT_E_NS1_11comp_targetILNS1_3genE2ELNS1_11target_archE906ELNS1_3gpuE6ELNS1_3repE0EEENS1_30default_config_static_selectorELNS0_4arch9wavefront6targetE0EEEvSR_,comdat
	.globl	_ZN7rocprim17ROCPRIM_400000_NS6detail17trampoline_kernelINS0_14default_configENS1_32segmented_reduce_config_selectorIN3c108BFloat16EEEZNS1_21segmented_reduce_implIS3_PKS6_PS6_PKlS6_N6hipcub16HIPCUB_304000_NS6detail27convert_result_type_wrapperISA_SB_N2at6native12_GLOBAL__N_19CustomMaxEEEEE10hipError_tPvRmT0_T1_jT2_SS_T4_T3_P12ihipStream_tbEUlT_E_NS1_11comp_targetILNS1_3genE2ELNS1_11target_archE906ELNS1_3gpuE6ELNS1_3repE0EEENS1_30default_config_static_selectorELNS0_4arch9wavefront6targetE0EEEvSR_ ; -- Begin function _ZN7rocprim17ROCPRIM_400000_NS6detail17trampoline_kernelINS0_14default_configENS1_32segmented_reduce_config_selectorIN3c108BFloat16EEEZNS1_21segmented_reduce_implIS3_PKS6_PS6_PKlS6_N6hipcub16HIPCUB_304000_NS6detail27convert_result_type_wrapperISA_SB_N2at6native12_GLOBAL__N_19CustomMaxEEEEE10hipError_tPvRmT0_T1_jT2_SS_T4_T3_P12ihipStream_tbEUlT_E_NS1_11comp_targetILNS1_3genE2ELNS1_11target_archE906ELNS1_3gpuE6ELNS1_3repE0EEENS1_30default_config_static_selectorELNS0_4arch9wavefront6targetE0EEEvSR_
	.p2align	8
	.type	_ZN7rocprim17ROCPRIM_400000_NS6detail17trampoline_kernelINS0_14default_configENS1_32segmented_reduce_config_selectorIN3c108BFloat16EEEZNS1_21segmented_reduce_implIS3_PKS6_PS6_PKlS6_N6hipcub16HIPCUB_304000_NS6detail27convert_result_type_wrapperISA_SB_N2at6native12_GLOBAL__N_19CustomMaxEEEEE10hipError_tPvRmT0_T1_jT2_SS_T4_T3_P12ihipStream_tbEUlT_E_NS1_11comp_targetILNS1_3genE2ELNS1_11target_archE906ELNS1_3gpuE6ELNS1_3repE0EEENS1_30default_config_static_selectorELNS0_4arch9wavefront6targetE0EEEvSR_,@function
_ZN7rocprim17ROCPRIM_400000_NS6detail17trampoline_kernelINS0_14default_configENS1_32segmented_reduce_config_selectorIN3c108BFloat16EEEZNS1_21segmented_reduce_implIS3_PKS6_PS6_PKlS6_N6hipcub16HIPCUB_304000_NS6detail27convert_result_type_wrapperISA_SB_N2at6native12_GLOBAL__N_19CustomMaxEEEEE10hipError_tPvRmT0_T1_jT2_SS_T4_T3_P12ihipStream_tbEUlT_E_NS1_11comp_targetILNS1_3genE2ELNS1_11target_archE906ELNS1_3gpuE6ELNS1_3repE0EEENS1_30default_config_static_selectorELNS0_4arch9wavefront6targetE0EEEvSR_: ; @_ZN7rocprim17ROCPRIM_400000_NS6detail17trampoline_kernelINS0_14default_configENS1_32segmented_reduce_config_selectorIN3c108BFloat16EEEZNS1_21segmented_reduce_implIS3_PKS6_PS6_PKlS6_N6hipcub16HIPCUB_304000_NS6detail27convert_result_type_wrapperISA_SB_N2at6native12_GLOBAL__N_19CustomMaxEEEEE10hipError_tPvRmT0_T1_jT2_SS_T4_T3_P12ihipStream_tbEUlT_E_NS1_11comp_targetILNS1_3genE2ELNS1_11target_archE906ELNS1_3gpuE6ELNS1_3repE0EEENS1_30default_config_static_selectorELNS0_4arch9wavefront6targetE0EEEvSR_
; %bb.0:
	.section	.rodata,"a",@progbits
	.p2align	6, 0x0
	.amdhsa_kernel _ZN7rocprim17ROCPRIM_400000_NS6detail17trampoline_kernelINS0_14default_configENS1_32segmented_reduce_config_selectorIN3c108BFloat16EEEZNS1_21segmented_reduce_implIS3_PKS6_PS6_PKlS6_N6hipcub16HIPCUB_304000_NS6detail27convert_result_type_wrapperISA_SB_N2at6native12_GLOBAL__N_19CustomMaxEEEEE10hipError_tPvRmT0_T1_jT2_SS_T4_T3_P12ihipStream_tbEUlT_E_NS1_11comp_targetILNS1_3genE2ELNS1_11target_archE906ELNS1_3gpuE6ELNS1_3repE0EEENS1_30default_config_static_selectorELNS0_4arch9wavefront6targetE0EEEvSR_
		.amdhsa_group_segment_fixed_size 0
		.amdhsa_private_segment_fixed_size 0
		.amdhsa_kernarg_size 48
		.amdhsa_user_sgpr_count 2
		.amdhsa_user_sgpr_dispatch_ptr 0
		.amdhsa_user_sgpr_queue_ptr 0
		.amdhsa_user_sgpr_kernarg_segment_ptr 1
		.amdhsa_user_sgpr_dispatch_id 0
		.amdhsa_user_sgpr_kernarg_preload_length 0
		.amdhsa_user_sgpr_kernarg_preload_offset 0
		.amdhsa_user_sgpr_private_segment_size 0
		.amdhsa_wavefront_size32 1
		.amdhsa_uses_dynamic_stack 0
		.amdhsa_enable_private_segment 0
		.amdhsa_system_sgpr_workgroup_id_x 1
		.amdhsa_system_sgpr_workgroup_id_y 0
		.amdhsa_system_sgpr_workgroup_id_z 0
		.amdhsa_system_sgpr_workgroup_info 0
		.amdhsa_system_vgpr_workitem_id 0
		.amdhsa_next_free_vgpr 1
		.amdhsa_next_free_sgpr 1
		.amdhsa_named_barrier_count 0
		.amdhsa_reserve_vcc 0
		.amdhsa_float_round_mode_32 0
		.amdhsa_float_round_mode_16_64 0
		.amdhsa_float_denorm_mode_32 3
		.amdhsa_float_denorm_mode_16_64 3
		.amdhsa_fp16_overflow 0
		.amdhsa_memory_ordered 1
		.amdhsa_forward_progress 1
		.amdhsa_inst_pref_size 0
		.amdhsa_round_robin_scheduling 0
		.amdhsa_exception_fp_ieee_invalid_op 0
		.amdhsa_exception_fp_denorm_src 0
		.amdhsa_exception_fp_ieee_div_zero 0
		.amdhsa_exception_fp_ieee_overflow 0
		.amdhsa_exception_fp_ieee_underflow 0
		.amdhsa_exception_fp_ieee_inexact 0
		.amdhsa_exception_int_div_zero 0
	.end_amdhsa_kernel
	.section	.text._ZN7rocprim17ROCPRIM_400000_NS6detail17trampoline_kernelINS0_14default_configENS1_32segmented_reduce_config_selectorIN3c108BFloat16EEEZNS1_21segmented_reduce_implIS3_PKS6_PS6_PKlS6_N6hipcub16HIPCUB_304000_NS6detail27convert_result_type_wrapperISA_SB_N2at6native12_GLOBAL__N_19CustomMaxEEEEE10hipError_tPvRmT0_T1_jT2_SS_T4_T3_P12ihipStream_tbEUlT_E_NS1_11comp_targetILNS1_3genE2ELNS1_11target_archE906ELNS1_3gpuE6ELNS1_3repE0EEENS1_30default_config_static_selectorELNS0_4arch9wavefront6targetE0EEEvSR_,"axG",@progbits,_ZN7rocprim17ROCPRIM_400000_NS6detail17trampoline_kernelINS0_14default_configENS1_32segmented_reduce_config_selectorIN3c108BFloat16EEEZNS1_21segmented_reduce_implIS3_PKS6_PS6_PKlS6_N6hipcub16HIPCUB_304000_NS6detail27convert_result_type_wrapperISA_SB_N2at6native12_GLOBAL__N_19CustomMaxEEEEE10hipError_tPvRmT0_T1_jT2_SS_T4_T3_P12ihipStream_tbEUlT_E_NS1_11comp_targetILNS1_3genE2ELNS1_11target_archE906ELNS1_3gpuE6ELNS1_3repE0EEENS1_30default_config_static_selectorELNS0_4arch9wavefront6targetE0EEEvSR_,comdat
.Lfunc_end252:
	.size	_ZN7rocprim17ROCPRIM_400000_NS6detail17trampoline_kernelINS0_14default_configENS1_32segmented_reduce_config_selectorIN3c108BFloat16EEEZNS1_21segmented_reduce_implIS3_PKS6_PS6_PKlS6_N6hipcub16HIPCUB_304000_NS6detail27convert_result_type_wrapperISA_SB_N2at6native12_GLOBAL__N_19CustomMaxEEEEE10hipError_tPvRmT0_T1_jT2_SS_T4_T3_P12ihipStream_tbEUlT_E_NS1_11comp_targetILNS1_3genE2ELNS1_11target_archE906ELNS1_3gpuE6ELNS1_3repE0EEENS1_30default_config_static_selectorELNS0_4arch9wavefront6targetE0EEEvSR_, .Lfunc_end252-_ZN7rocprim17ROCPRIM_400000_NS6detail17trampoline_kernelINS0_14default_configENS1_32segmented_reduce_config_selectorIN3c108BFloat16EEEZNS1_21segmented_reduce_implIS3_PKS6_PS6_PKlS6_N6hipcub16HIPCUB_304000_NS6detail27convert_result_type_wrapperISA_SB_N2at6native12_GLOBAL__N_19CustomMaxEEEEE10hipError_tPvRmT0_T1_jT2_SS_T4_T3_P12ihipStream_tbEUlT_E_NS1_11comp_targetILNS1_3genE2ELNS1_11target_archE906ELNS1_3gpuE6ELNS1_3repE0EEENS1_30default_config_static_selectorELNS0_4arch9wavefront6targetE0EEEvSR_
                                        ; -- End function
	.set _ZN7rocprim17ROCPRIM_400000_NS6detail17trampoline_kernelINS0_14default_configENS1_32segmented_reduce_config_selectorIN3c108BFloat16EEEZNS1_21segmented_reduce_implIS3_PKS6_PS6_PKlS6_N6hipcub16HIPCUB_304000_NS6detail27convert_result_type_wrapperISA_SB_N2at6native12_GLOBAL__N_19CustomMaxEEEEE10hipError_tPvRmT0_T1_jT2_SS_T4_T3_P12ihipStream_tbEUlT_E_NS1_11comp_targetILNS1_3genE2ELNS1_11target_archE906ELNS1_3gpuE6ELNS1_3repE0EEENS1_30default_config_static_selectorELNS0_4arch9wavefront6targetE0EEEvSR_.num_vgpr, 0
	.set _ZN7rocprim17ROCPRIM_400000_NS6detail17trampoline_kernelINS0_14default_configENS1_32segmented_reduce_config_selectorIN3c108BFloat16EEEZNS1_21segmented_reduce_implIS3_PKS6_PS6_PKlS6_N6hipcub16HIPCUB_304000_NS6detail27convert_result_type_wrapperISA_SB_N2at6native12_GLOBAL__N_19CustomMaxEEEEE10hipError_tPvRmT0_T1_jT2_SS_T4_T3_P12ihipStream_tbEUlT_E_NS1_11comp_targetILNS1_3genE2ELNS1_11target_archE906ELNS1_3gpuE6ELNS1_3repE0EEENS1_30default_config_static_selectorELNS0_4arch9wavefront6targetE0EEEvSR_.num_agpr, 0
	.set _ZN7rocprim17ROCPRIM_400000_NS6detail17trampoline_kernelINS0_14default_configENS1_32segmented_reduce_config_selectorIN3c108BFloat16EEEZNS1_21segmented_reduce_implIS3_PKS6_PS6_PKlS6_N6hipcub16HIPCUB_304000_NS6detail27convert_result_type_wrapperISA_SB_N2at6native12_GLOBAL__N_19CustomMaxEEEEE10hipError_tPvRmT0_T1_jT2_SS_T4_T3_P12ihipStream_tbEUlT_E_NS1_11comp_targetILNS1_3genE2ELNS1_11target_archE906ELNS1_3gpuE6ELNS1_3repE0EEENS1_30default_config_static_selectorELNS0_4arch9wavefront6targetE0EEEvSR_.numbered_sgpr, 0
	.set _ZN7rocprim17ROCPRIM_400000_NS6detail17trampoline_kernelINS0_14default_configENS1_32segmented_reduce_config_selectorIN3c108BFloat16EEEZNS1_21segmented_reduce_implIS3_PKS6_PS6_PKlS6_N6hipcub16HIPCUB_304000_NS6detail27convert_result_type_wrapperISA_SB_N2at6native12_GLOBAL__N_19CustomMaxEEEEE10hipError_tPvRmT0_T1_jT2_SS_T4_T3_P12ihipStream_tbEUlT_E_NS1_11comp_targetILNS1_3genE2ELNS1_11target_archE906ELNS1_3gpuE6ELNS1_3repE0EEENS1_30default_config_static_selectorELNS0_4arch9wavefront6targetE0EEEvSR_.num_named_barrier, 0
	.set _ZN7rocprim17ROCPRIM_400000_NS6detail17trampoline_kernelINS0_14default_configENS1_32segmented_reduce_config_selectorIN3c108BFloat16EEEZNS1_21segmented_reduce_implIS3_PKS6_PS6_PKlS6_N6hipcub16HIPCUB_304000_NS6detail27convert_result_type_wrapperISA_SB_N2at6native12_GLOBAL__N_19CustomMaxEEEEE10hipError_tPvRmT0_T1_jT2_SS_T4_T3_P12ihipStream_tbEUlT_E_NS1_11comp_targetILNS1_3genE2ELNS1_11target_archE906ELNS1_3gpuE6ELNS1_3repE0EEENS1_30default_config_static_selectorELNS0_4arch9wavefront6targetE0EEEvSR_.private_seg_size, 0
	.set _ZN7rocprim17ROCPRIM_400000_NS6detail17trampoline_kernelINS0_14default_configENS1_32segmented_reduce_config_selectorIN3c108BFloat16EEEZNS1_21segmented_reduce_implIS3_PKS6_PS6_PKlS6_N6hipcub16HIPCUB_304000_NS6detail27convert_result_type_wrapperISA_SB_N2at6native12_GLOBAL__N_19CustomMaxEEEEE10hipError_tPvRmT0_T1_jT2_SS_T4_T3_P12ihipStream_tbEUlT_E_NS1_11comp_targetILNS1_3genE2ELNS1_11target_archE906ELNS1_3gpuE6ELNS1_3repE0EEENS1_30default_config_static_selectorELNS0_4arch9wavefront6targetE0EEEvSR_.uses_vcc, 0
	.set _ZN7rocprim17ROCPRIM_400000_NS6detail17trampoline_kernelINS0_14default_configENS1_32segmented_reduce_config_selectorIN3c108BFloat16EEEZNS1_21segmented_reduce_implIS3_PKS6_PS6_PKlS6_N6hipcub16HIPCUB_304000_NS6detail27convert_result_type_wrapperISA_SB_N2at6native12_GLOBAL__N_19CustomMaxEEEEE10hipError_tPvRmT0_T1_jT2_SS_T4_T3_P12ihipStream_tbEUlT_E_NS1_11comp_targetILNS1_3genE2ELNS1_11target_archE906ELNS1_3gpuE6ELNS1_3repE0EEENS1_30default_config_static_selectorELNS0_4arch9wavefront6targetE0EEEvSR_.uses_flat_scratch, 0
	.set _ZN7rocprim17ROCPRIM_400000_NS6detail17trampoline_kernelINS0_14default_configENS1_32segmented_reduce_config_selectorIN3c108BFloat16EEEZNS1_21segmented_reduce_implIS3_PKS6_PS6_PKlS6_N6hipcub16HIPCUB_304000_NS6detail27convert_result_type_wrapperISA_SB_N2at6native12_GLOBAL__N_19CustomMaxEEEEE10hipError_tPvRmT0_T1_jT2_SS_T4_T3_P12ihipStream_tbEUlT_E_NS1_11comp_targetILNS1_3genE2ELNS1_11target_archE906ELNS1_3gpuE6ELNS1_3repE0EEENS1_30default_config_static_selectorELNS0_4arch9wavefront6targetE0EEEvSR_.has_dyn_sized_stack, 0
	.set _ZN7rocprim17ROCPRIM_400000_NS6detail17trampoline_kernelINS0_14default_configENS1_32segmented_reduce_config_selectorIN3c108BFloat16EEEZNS1_21segmented_reduce_implIS3_PKS6_PS6_PKlS6_N6hipcub16HIPCUB_304000_NS6detail27convert_result_type_wrapperISA_SB_N2at6native12_GLOBAL__N_19CustomMaxEEEEE10hipError_tPvRmT0_T1_jT2_SS_T4_T3_P12ihipStream_tbEUlT_E_NS1_11comp_targetILNS1_3genE2ELNS1_11target_archE906ELNS1_3gpuE6ELNS1_3repE0EEENS1_30default_config_static_selectorELNS0_4arch9wavefront6targetE0EEEvSR_.has_recursion, 0
	.set _ZN7rocprim17ROCPRIM_400000_NS6detail17trampoline_kernelINS0_14default_configENS1_32segmented_reduce_config_selectorIN3c108BFloat16EEEZNS1_21segmented_reduce_implIS3_PKS6_PS6_PKlS6_N6hipcub16HIPCUB_304000_NS6detail27convert_result_type_wrapperISA_SB_N2at6native12_GLOBAL__N_19CustomMaxEEEEE10hipError_tPvRmT0_T1_jT2_SS_T4_T3_P12ihipStream_tbEUlT_E_NS1_11comp_targetILNS1_3genE2ELNS1_11target_archE906ELNS1_3gpuE6ELNS1_3repE0EEENS1_30default_config_static_selectorELNS0_4arch9wavefront6targetE0EEEvSR_.has_indirect_call, 0
	.section	.AMDGPU.csdata,"",@progbits
; Kernel info:
; codeLenInByte = 0
; TotalNumSgprs: 0
; NumVgprs: 0
; ScratchSize: 0
; MemoryBound: 0
; FloatMode: 240
; IeeeMode: 1
; LDSByteSize: 0 bytes/workgroup (compile time only)
; SGPRBlocks: 0
; VGPRBlocks: 0
; NumSGPRsForWavesPerEU: 1
; NumVGPRsForWavesPerEU: 1
; NamedBarCnt: 0
; Occupancy: 16
; WaveLimiterHint : 0
; COMPUTE_PGM_RSRC2:SCRATCH_EN: 0
; COMPUTE_PGM_RSRC2:USER_SGPR: 2
; COMPUTE_PGM_RSRC2:TRAP_HANDLER: 0
; COMPUTE_PGM_RSRC2:TGID_X_EN: 1
; COMPUTE_PGM_RSRC2:TGID_Y_EN: 0
; COMPUTE_PGM_RSRC2:TGID_Z_EN: 0
; COMPUTE_PGM_RSRC2:TIDIG_COMP_CNT: 0
	.section	.text._ZN7rocprim17ROCPRIM_400000_NS6detail17trampoline_kernelINS0_14default_configENS1_32segmented_reduce_config_selectorIN3c108BFloat16EEEZNS1_21segmented_reduce_implIS3_PKS6_PS6_PKlS6_N6hipcub16HIPCUB_304000_NS6detail27convert_result_type_wrapperISA_SB_N2at6native12_GLOBAL__N_19CustomMaxEEEEE10hipError_tPvRmT0_T1_jT2_SS_T4_T3_P12ihipStream_tbEUlT_E_NS1_11comp_targetILNS1_3genE9ELNS1_11target_archE1100ELNS1_3gpuE3ELNS1_3repE0EEENS1_30default_config_static_selectorELNS0_4arch9wavefront6targetE0EEEvSR_,"axG",@progbits,_ZN7rocprim17ROCPRIM_400000_NS6detail17trampoline_kernelINS0_14default_configENS1_32segmented_reduce_config_selectorIN3c108BFloat16EEEZNS1_21segmented_reduce_implIS3_PKS6_PS6_PKlS6_N6hipcub16HIPCUB_304000_NS6detail27convert_result_type_wrapperISA_SB_N2at6native12_GLOBAL__N_19CustomMaxEEEEE10hipError_tPvRmT0_T1_jT2_SS_T4_T3_P12ihipStream_tbEUlT_E_NS1_11comp_targetILNS1_3genE9ELNS1_11target_archE1100ELNS1_3gpuE3ELNS1_3repE0EEENS1_30default_config_static_selectorELNS0_4arch9wavefront6targetE0EEEvSR_,comdat
	.globl	_ZN7rocprim17ROCPRIM_400000_NS6detail17trampoline_kernelINS0_14default_configENS1_32segmented_reduce_config_selectorIN3c108BFloat16EEEZNS1_21segmented_reduce_implIS3_PKS6_PS6_PKlS6_N6hipcub16HIPCUB_304000_NS6detail27convert_result_type_wrapperISA_SB_N2at6native12_GLOBAL__N_19CustomMaxEEEEE10hipError_tPvRmT0_T1_jT2_SS_T4_T3_P12ihipStream_tbEUlT_E_NS1_11comp_targetILNS1_3genE9ELNS1_11target_archE1100ELNS1_3gpuE3ELNS1_3repE0EEENS1_30default_config_static_selectorELNS0_4arch9wavefront6targetE0EEEvSR_ ; -- Begin function _ZN7rocprim17ROCPRIM_400000_NS6detail17trampoline_kernelINS0_14default_configENS1_32segmented_reduce_config_selectorIN3c108BFloat16EEEZNS1_21segmented_reduce_implIS3_PKS6_PS6_PKlS6_N6hipcub16HIPCUB_304000_NS6detail27convert_result_type_wrapperISA_SB_N2at6native12_GLOBAL__N_19CustomMaxEEEEE10hipError_tPvRmT0_T1_jT2_SS_T4_T3_P12ihipStream_tbEUlT_E_NS1_11comp_targetILNS1_3genE9ELNS1_11target_archE1100ELNS1_3gpuE3ELNS1_3repE0EEENS1_30default_config_static_selectorELNS0_4arch9wavefront6targetE0EEEvSR_
	.p2align	8
	.type	_ZN7rocprim17ROCPRIM_400000_NS6detail17trampoline_kernelINS0_14default_configENS1_32segmented_reduce_config_selectorIN3c108BFloat16EEEZNS1_21segmented_reduce_implIS3_PKS6_PS6_PKlS6_N6hipcub16HIPCUB_304000_NS6detail27convert_result_type_wrapperISA_SB_N2at6native12_GLOBAL__N_19CustomMaxEEEEE10hipError_tPvRmT0_T1_jT2_SS_T4_T3_P12ihipStream_tbEUlT_E_NS1_11comp_targetILNS1_3genE9ELNS1_11target_archE1100ELNS1_3gpuE3ELNS1_3repE0EEENS1_30default_config_static_selectorELNS0_4arch9wavefront6targetE0EEEvSR_,@function
_ZN7rocprim17ROCPRIM_400000_NS6detail17trampoline_kernelINS0_14default_configENS1_32segmented_reduce_config_selectorIN3c108BFloat16EEEZNS1_21segmented_reduce_implIS3_PKS6_PS6_PKlS6_N6hipcub16HIPCUB_304000_NS6detail27convert_result_type_wrapperISA_SB_N2at6native12_GLOBAL__N_19CustomMaxEEEEE10hipError_tPvRmT0_T1_jT2_SS_T4_T3_P12ihipStream_tbEUlT_E_NS1_11comp_targetILNS1_3genE9ELNS1_11target_archE1100ELNS1_3gpuE3ELNS1_3repE0EEENS1_30default_config_static_selectorELNS0_4arch9wavefront6targetE0EEEvSR_: ; @_ZN7rocprim17ROCPRIM_400000_NS6detail17trampoline_kernelINS0_14default_configENS1_32segmented_reduce_config_selectorIN3c108BFloat16EEEZNS1_21segmented_reduce_implIS3_PKS6_PS6_PKlS6_N6hipcub16HIPCUB_304000_NS6detail27convert_result_type_wrapperISA_SB_N2at6native12_GLOBAL__N_19CustomMaxEEEEE10hipError_tPvRmT0_T1_jT2_SS_T4_T3_P12ihipStream_tbEUlT_E_NS1_11comp_targetILNS1_3genE9ELNS1_11target_archE1100ELNS1_3gpuE3ELNS1_3repE0EEENS1_30default_config_static_selectorELNS0_4arch9wavefront6targetE0EEEvSR_
; %bb.0:
	.section	.rodata,"a",@progbits
	.p2align	6, 0x0
	.amdhsa_kernel _ZN7rocprim17ROCPRIM_400000_NS6detail17trampoline_kernelINS0_14default_configENS1_32segmented_reduce_config_selectorIN3c108BFloat16EEEZNS1_21segmented_reduce_implIS3_PKS6_PS6_PKlS6_N6hipcub16HIPCUB_304000_NS6detail27convert_result_type_wrapperISA_SB_N2at6native12_GLOBAL__N_19CustomMaxEEEEE10hipError_tPvRmT0_T1_jT2_SS_T4_T3_P12ihipStream_tbEUlT_E_NS1_11comp_targetILNS1_3genE9ELNS1_11target_archE1100ELNS1_3gpuE3ELNS1_3repE0EEENS1_30default_config_static_selectorELNS0_4arch9wavefront6targetE0EEEvSR_
		.amdhsa_group_segment_fixed_size 0
		.amdhsa_private_segment_fixed_size 0
		.amdhsa_kernarg_size 48
		.amdhsa_user_sgpr_count 2
		.amdhsa_user_sgpr_dispatch_ptr 0
		.amdhsa_user_sgpr_queue_ptr 0
		.amdhsa_user_sgpr_kernarg_segment_ptr 1
		.amdhsa_user_sgpr_dispatch_id 0
		.amdhsa_user_sgpr_kernarg_preload_length 0
		.amdhsa_user_sgpr_kernarg_preload_offset 0
		.amdhsa_user_sgpr_private_segment_size 0
		.amdhsa_wavefront_size32 1
		.amdhsa_uses_dynamic_stack 0
		.amdhsa_enable_private_segment 0
		.amdhsa_system_sgpr_workgroup_id_x 1
		.amdhsa_system_sgpr_workgroup_id_y 0
		.amdhsa_system_sgpr_workgroup_id_z 0
		.amdhsa_system_sgpr_workgroup_info 0
		.amdhsa_system_vgpr_workitem_id 0
		.amdhsa_next_free_vgpr 1
		.amdhsa_next_free_sgpr 1
		.amdhsa_named_barrier_count 0
		.amdhsa_reserve_vcc 0
		.amdhsa_float_round_mode_32 0
		.amdhsa_float_round_mode_16_64 0
		.amdhsa_float_denorm_mode_32 3
		.amdhsa_float_denorm_mode_16_64 3
		.amdhsa_fp16_overflow 0
		.amdhsa_memory_ordered 1
		.amdhsa_forward_progress 1
		.amdhsa_inst_pref_size 0
		.amdhsa_round_robin_scheduling 0
		.amdhsa_exception_fp_ieee_invalid_op 0
		.amdhsa_exception_fp_denorm_src 0
		.amdhsa_exception_fp_ieee_div_zero 0
		.amdhsa_exception_fp_ieee_overflow 0
		.amdhsa_exception_fp_ieee_underflow 0
		.amdhsa_exception_fp_ieee_inexact 0
		.amdhsa_exception_int_div_zero 0
	.end_amdhsa_kernel
	.section	.text._ZN7rocprim17ROCPRIM_400000_NS6detail17trampoline_kernelINS0_14default_configENS1_32segmented_reduce_config_selectorIN3c108BFloat16EEEZNS1_21segmented_reduce_implIS3_PKS6_PS6_PKlS6_N6hipcub16HIPCUB_304000_NS6detail27convert_result_type_wrapperISA_SB_N2at6native12_GLOBAL__N_19CustomMaxEEEEE10hipError_tPvRmT0_T1_jT2_SS_T4_T3_P12ihipStream_tbEUlT_E_NS1_11comp_targetILNS1_3genE9ELNS1_11target_archE1100ELNS1_3gpuE3ELNS1_3repE0EEENS1_30default_config_static_selectorELNS0_4arch9wavefront6targetE0EEEvSR_,"axG",@progbits,_ZN7rocprim17ROCPRIM_400000_NS6detail17trampoline_kernelINS0_14default_configENS1_32segmented_reduce_config_selectorIN3c108BFloat16EEEZNS1_21segmented_reduce_implIS3_PKS6_PS6_PKlS6_N6hipcub16HIPCUB_304000_NS6detail27convert_result_type_wrapperISA_SB_N2at6native12_GLOBAL__N_19CustomMaxEEEEE10hipError_tPvRmT0_T1_jT2_SS_T4_T3_P12ihipStream_tbEUlT_E_NS1_11comp_targetILNS1_3genE9ELNS1_11target_archE1100ELNS1_3gpuE3ELNS1_3repE0EEENS1_30default_config_static_selectorELNS0_4arch9wavefront6targetE0EEEvSR_,comdat
.Lfunc_end253:
	.size	_ZN7rocprim17ROCPRIM_400000_NS6detail17trampoline_kernelINS0_14default_configENS1_32segmented_reduce_config_selectorIN3c108BFloat16EEEZNS1_21segmented_reduce_implIS3_PKS6_PS6_PKlS6_N6hipcub16HIPCUB_304000_NS6detail27convert_result_type_wrapperISA_SB_N2at6native12_GLOBAL__N_19CustomMaxEEEEE10hipError_tPvRmT0_T1_jT2_SS_T4_T3_P12ihipStream_tbEUlT_E_NS1_11comp_targetILNS1_3genE9ELNS1_11target_archE1100ELNS1_3gpuE3ELNS1_3repE0EEENS1_30default_config_static_selectorELNS0_4arch9wavefront6targetE0EEEvSR_, .Lfunc_end253-_ZN7rocprim17ROCPRIM_400000_NS6detail17trampoline_kernelINS0_14default_configENS1_32segmented_reduce_config_selectorIN3c108BFloat16EEEZNS1_21segmented_reduce_implIS3_PKS6_PS6_PKlS6_N6hipcub16HIPCUB_304000_NS6detail27convert_result_type_wrapperISA_SB_N2at6native12_GLOBAL__N_19CustomMaxEEEEE10hipError_tPvRmT0_T1_jT2_SS_T4_T3_P12ihipStream_tbEUlT_E_NS1_11comp_targetILNS1_3genE9ELNS1_11target_archE1100ELNS1_3gpuE3ELNS1_3repE0EEENS1_30default_config_static_selectorELNS0_4arch9wavefront6targetE0EEEvSR_
                                        ; -- End function
	.set _ZN7rocprim17ROCPRIM_400000_NS6detail17trampoline_kernelINS0_14default_configENS1_32segmented_reduce_config_selectorIN3c108BFloat16EEEZNS1_21segmented_reduce_implIS3_PKS6_PS6_PKlS6_N6hipcub16HIPCUB_304000_NS6detail27convert_result_type_wrapperISA_SB_N2at6native12_GLOBAL__N_19CustomMaxEEEEE10hipError_tPvRmT0_T1_jT2_SS_T4_T3_P12ihipStream_tbEUlT_E_NS1_11comp_targetILNS1_3genE9ELNS1_11target_archE1100ELNS1_3gpuE3ELNS1_3repE0EEENS1_30default_config_static_selectorELNS0_4arch9wavefront6targetE0EEEvSR_.num_vgpr, 0
	.set _ZN7rocprim17ROCPRIM_400000_NS6detail17trampoline_kernelINS0_14default_configENS1_32segmented_reduce_config_selectorIN3c108BFloat16EEEZNS1_21segmented_reduce_implIS3_PKS6_PS6_PKlS6_N6hipcub16HIPCUB_304000_NS6detail27convert_result_type_wrapperISA_SB_N2at6native12_GLOBAL__N_19CustomMaxEEEEE10hipError_tPvRmT0_T1_jT2_SS_T4_T3_P12ihipStream_tbEUlT_E_NS1_11comp_targetILNS1_3genE9ELNS1_11target_archE1100ELNS1_3gpuE3ELNS1_3repE0EEENS1_30default_config_static_selectorELNS0_4arch9wavefront6targetE0EEEvSR_.num_agpr, 0
	.set _ZN7rocprim17ROCPRIM_400000_NS6detail17trampoline_kernelINS0_14default_configENS1_32segmented_reduce_config_selectorIN3c108BFloat16EEEZNS1_21segmented_reduce_implIS3_PKS6_PS6_PKlS6_N6hipcub16HIPCUB_304000_NS6detail27convert_result_type_wrapperISA_SB_N2at6native12_GLOBAL__N_19CustomMaxEEEEE10hipError_tPvRmT0_T1_jT2_SS_T4_T3_P12ihipStream_tbEUlT_E_NS1_11comp_targetILNS1_3genE9ELNS1_11target_archE1100ELNS1_3gpuE3ELNS1_3repE0EEENS1_30default_config_static_selectorELNS0_4arch9wavefront6targetE0EEEvSR_.numbered_sgpr, 0
	.set _ZN7rocprim17ROCPRIM_400000_NS6detail17trampoline_kernelINS0_14default_configENS1_32segmented_reduce_config_selectorIN3c108BFloat16EEEZNS1_21segmented_reduce_implIS3_PKS6_PS6_PKlS6_N6hipcub16HIPCUB_304000_NS6detail27convert_result_type_wrapperISA_SB_N2at6native12_GLOBAL__N_19CustomMaxEEEEE10hipError_tPvRmT0_T1_jT2_SS_T4_T3_P12ihipStream_tbEUlT_E_NS1_11comp_targetILNS1_3genE9ELNS1_11target_archE1100ELNS1_3gpuE3ELNS1_3repE0EEENS1_30default_config_static_selectorELNS0_4arch9wavefront6targetE0EEEvSR_.num_named_barrier, 0
	.set _ZN7rocprim17ROCPRIM_400000_NS6detail17trampoline_kernelINS0_14default_configENS1_32segmented_reduce_config_selectorIN3c108BFloat16EEEZNS1_21segmented_reduce_implIS3_PKS6_PS6_PKlS6_N6hipcub16HIPCUB_304000_NS6detail27convert_result_type_wrapperISA_SB_N2at6native12_GLOBAL__N_19CustomMaxEEEEE10hipError_tPvRmT0_T1_jT2_SS_T4_T3_P12ihipStream_tbEUlT_E_NS1_11comp_targetILNS1_3genE9ELNS1_11target_archE1100ELNS1_3gpuE3ELNS1_3repE0EEENS1_30default_config_static_selectorELNS0_4arch9wavefront6targetE0EEEvSR_.private_seg_size, 0
	.set _ZN7rocprim17ROCPRIM_400000_NS6detail17trampoline_kernelINS0_14default_configENS1_32segmented_reduce_config_selectorIN3c108BFloat16EEEZNS1_21segmented_reduce_implIS3_PKS6_PS6_PKlS6_N6hipcub16HIPCUB_304000_NS6detail27convert_result_type_wrapperISA_SB_N2at6native12_GLOBAL__N_19CustomMaxEEEEE10hipError_tPvRmT0_T1_jT2_SS_T4_T3_P12ihipStream_tbEUlT_E_NS1_11comp_targetILNS1_3genE9ELNS1_11target_archE1100ELNS1_3gpuE3ELNS1_3repE0EEENS1_30default_config_static_selectorELNS0_4arch9wavefront6targetE0EEEvSR_.uses_vcc, 0
	.set _ZN7rocprim17ROCPRIM_400000_NS6detail17trampoline_kernelINS0_14default_configENS1_32segmented_reduce_config_selectorIN3c108BFloat16EEEZNS1_21segmented_reduce_implIS3_PKS6_PS6_PKlS6_N6hipcub16HIPCUB_304000_NS6detail27convert_result_type_wrapperISA_SB_N2at6native12_GLOBAL__N_19CustomMaxEEEEE10hipError_tPvRmT0_T1_jT2_SS_T4_T3_P12ihipStream_tbEUlT_E_NS1_11comp_targetILNS1_3genE9ELNS1_11target_archE1100ELNS1_3gpuE3ELNS1_3repE0EEENS1_30default_config_static_selectorELNS0_4arch9wavefront6targetE0EEEvSR_.uses_flat_scratch, 0
	.set _ZN7rocprim17ROCPRIM_400000_NS6detail17trampoline_kernelINS0_14default_configENS1_32segmented_reduce_config_selectorIN3c108BFloat16EEEZNS1_21segmented_reduce_implIS3_PKS6_PS6_PKlS6_N6hipcub16HIPCUB_304000_NS6detail27convert_result_type_wrapperISA_SB_N2at6native12_GLOBAL__N_19CustomMaxEEEEE10hipError_tPvRmT0_T1_jT2_SS_T4_T3_P12ihipStream_tbEUlT_E_NS1_11comp_targetILNS1_3genE9ELNS1_11target_archE1100ELNS1_3gpuE3ELNS1_3repE0EEENS1_30default_config_static_selectorELNS0_4arch9wavefront6targetE0EEEvSR_.has_dyn_sized_stack, 0
	.set _ZN7rocprim17ROCPRIM_400000_NS6detail17trampoline_kernelINS0_14default_configENS1_32segmented_reduce_config_selectorIN3c108BFloat16EEEZNS1_21segmented_reduce_implIS3_PKS6_PS6_PKlS6_N6hipcub16HIPCUB_304000_NS6detail27convert_result_type_wrapperISA_SB_N2at6native12_GLOBAL__N_19CustomMaxEEEEE10hipError_tPvRmT0_T1_jT2_SS_T4_T3_P12ihipStream_tbEUlT_E_NS1_11comp_targetILNS1_3genE9ELNS1_11target_archE1100ELNS1_3gpuE3ELNS1_3repE0EEENS1_30default_config_static_selectorELNS0_4arch9wavefront6targetE0EEEvSR_.has_recursion, 0
	.set _ZN7rocprim17ROCPRIM_400000_NS6detail17trampoline_kernelINS0_14default_configENS1_32segmented_reduce_config_selectorIN3c108BFloat16EEEZNS1_21segmented_reduce_implIS3_PKS6_PS6_PKlS6_N6hipcub16HIPCUB_304000_NS6detail27convert_result_type_wrapperISA_SB_N2at6native12_GLOBAL__N_19CustomMaxEEEEE10hipError_tPvRmT0_T1_jT2_SS_T4_T3_P12ihipStream_tbEUlT_E_NS1_11comp_targetILNS1_3genE9ELNS1_11target_archE1100ELNS1_3gpuE3ELNS1_3repE0EEENS1_30default_config_static_selectorELNS0_4arch9wavefront6targetE0EEEvSR_.has_indirect_call, 0
	.section	.AMDGPU.csdata,"",@progbits
; Kernel info:
; codeLenInByte = 0
; TotalNumSgprs: 0
; NumVgprs: 0
; ScratchSize: 0
; MemoryBound: 0
; FloatMode: 240
; IeeeMode: 1
; LDSByteSize: 0 bytes/workgroup (compile time only)
; SGPRBlocks: 0
; VGPRBlocks: 0
; NumSGPRsForWavesPerEU: 1
; NumVGPRsForWavesPerEU: 1
; NamedBarCnt: 0
; Occupancy: 16
; WaveLimiterHint : 0
; COMPUTE_PGM_RSRC2:SCRATCH_EN: 0
; COMPUTE_PGM_RSRC2:USER_SGPR: 2
; COMPUTE_PGM_RSRC2:TRAP_HANDLER: 0
; COMPUTE_PGM_RSRC2:TGID_X_EN: 1
; COMPUTE_PGM_RSRC2:TGID_Y_EN: 0
; COMPUTE_PGM_RSRC2:TGID_Z_EN: 0
; COMPUTE_PGM_RSRC2:TIDIG_COMP_CNT: 0
	.section	.text._ZN7rocprim17ROCPRIM_400000_NS6detail17trampoline_kernelINS0_14default_configENS1_32segmented_reduce_config_selectorIN3c108BFloat16EEEZNS1_21segmented_reduce_implIS3_PKS6_PS6_PKlS6_N6hipcub16HIPCUB_304000_NS6detail27convert_result_type_wrapperISA_SB_N2at6native12_GLOBAL__N_19CustomMaxEEEEE10hipError_tPvRmT0_T1_jT2_SS_T4_T3_P12ihipStream_tbEUlT_E_NS1_11comp_targetILNS1_3genE8ELNS1_11target_archE1030ELNS1_3gpuE2ELNS1_3repE0EEENS1_30default_config_static_selectorELNS0_4arch9wavefront6targetE0EEEvSR_,"axG",@progbits,_ZN7rocprim17ROCPRIM_400000_NS6detail17trampoline_kernelINS0_14default_configENS1_32segmented_reduce_config_selectorIN3c108BFloat16EEEZNS1_21segmented_reduce_implIS3_PKS6_PS6_PKlS6_N6hipcub16HIPCUB_304000_NS6detail27convert_result_type_wrapperISA_SB_N2at6native12_GLOBAL__N_19CustomMaxEEEEE10hipError_tPvRmT0_T1_jT2_SS_T4_T3_P12ihipStream_tbEUlT_E_NS1_11comp_targetILNS1_3genE8ELNS1_11target_archE1030ELNS1_3gpuE2ELNS1_3repE0EEENS1_30default_config_static_selectorELNS0_4arch9wavefront6targetE0EEEvSR_,comdat
	.globl	_ZN7rocprim17ROCPRIM_400000_NS6detail17trampoline_kernelINS0_14default_configENS1_32segmented_reduce_config_selectorIN3c108BFloat16EEEZNS1_21segmented_reduce_implIS3_PKS6_PS6_PKlS6_N6hipcub16HIPCUB_304000_NS6detail27convert_result_type_wrapperISA_SB_N2at6native12_GLOBAL__N_19CustomMaxEEEEE10hipError_tPvRmT0_T1_jT2_SS_T4_T3_P12ihipStream_tbEUlT_E_NS1_11comp_targetILNS1_3genE8ELNS1_11target_archE1030ELNS1_3gpuE2ELNS1_3repE0EEENS1_30default_config_static_selectorELNS0_4arch9wavefront6targetE0EEEvSR_ ; -- Begin function _ZN7rocprim17ROCPRIM_400000_NS6detail17trampoline_kernelINS0_14default_configENS1_32segmented_reduce_config_selectorIN3c108BFloat16EEEZNS1_21segmented_reduce_implIS3_PKS6_PS6_PKlS6_N6hipcub16HIPCUB_304000_NS6detail27convert_result_type_wrapperISA_SB_N2at6native12_GLOBAL__N_19CustomMaxEEEEE10hipError_tPvRmT0_T1_jT2_SS_T4_T3_P12ihipStream_tbEUlT_E_NS1_11comp_targetILNS1_3genE8ELNS1_11target_archE1030ELNS1_3gpuE2ELNS1_3repE0EEENS1_30default_config_static_selectorELNS0_4arch9wavefront6targetE0EEEvSR_
	.p2align	8
	.type	_ZN7rocprim17ROCPRIM_400000_NS6detail17trampoline_kernelINS0_14default_configENS1_32segmented_reduce_config_selectorIN3c108BFloat16EEEZNS1_21segmented_reduce_implIS3_PKS6_PS6_PKlS6_N6hipcub16HIPCUB_304000_NS6detail27convert_result_type_wrapperISA_SB_N2at6native12_GLOBAL__N_19CustomMaxEEEEE10hipError_tPvRmT0_T1_jT2_SS_T4_T3_P12ihipStream_tbEUlT_E_NS1_11comp_targetILNS1_3genE8ELNS1_11target_archE1030ELNS1_3gpuE2ELNS1_3repE0EEENS1_30default_config_static_selectorELNS0_4arch9wavefront6targetE0EEEvSR_,@function
_ZN7rocprim17ROCPRIM_400000_NS6detail17trampoline_kernelINS0_14default_configENS1_32segmented_reduce_config_selectorIN3c108BFloat16EEEZNS1_21segmented_reduce_implIS3_PKS6_PS6_PKlS6_N6hipcub16HIPCUB_304000_NS6detail27convert_result_type_wrapperISA_SB_N2at6native12_GLOBAL__N_19CustomMaxEEEEE10hipError_tPvRmT0_T1_jT2_SS_T4_T3_P12ihipStream_tbEUlT_E_NS1_11comp_targetILNS1_3genE8ELNS1_11target_archE1030ELNS1_3gpuE2ELNS1_3repE0EEENS1_30default_config_static_selectorELNS0_4arch9wavefront6targetE0EEEvSR_: ; @_ZN7rocprim17ROCPRIM_400000_NS6detail17trampoline_kernelINS0_14default_configENS1_32segmented_reduce_config_selectorIN3c108BFloat16EEEZNS1_21segmented_reduce_implIS3_PKS6_PS6_PKlS6_N6hipcub16HIPCUB_304000_NS6detail27convert_result_type_wrapperISA_SB_N2at6native12_GLOBAL__N_19CustomMaxEEEEE10hipError_tPvRmT0_T1_jT2_SS_T4_T3_P12ihipStream_tbEUlT_E_NS1_11comp_targetILNS1_3genE8ELNS1_11target_archE1030ELNS1_3gpuE2ELNS1_3repE0EEENS1_30default_config_static_selectorELNS0_4arch9wavefront6targetE0EEEvSR_
; %bb.0:
	.section	.rodata,"a",@progbits
	.p2align	6, 0x0
	.amdhsa_kernel _ZN7rocprim17ROCPRIM_400000_NS6detail17trampoline_kernelINS0_14default_configENS1_32segmented_reduce_config_selectorIN3c108BFloat16EEEZNS1_21segmented_reduce_implIS3_PKS6_PS6_PKlS6_N6hipcub16HIPCUB_304000_NS6detail27convert_result_type_wrapperISA_SB_N2at6native12_GLOBAL__N_19CustomMaxEEEEE10hipError_tPvRmT0_T1_jT2_SS_T4_T3_P12ihipStream_tbEUlT_E_NS1_11comp_targetILNS1_3genE8ELNS1_11target_archE1030ELNS1_3gpuE2ELNS1_3repE0EEENS1_30default_config_static_selectorELNS0_4arch9wavefront6targetE0EEEvSR_
		.amdhsa_group_segment_fixed_size 0
		.amdhsa_private_segment_fixed_size 0
		.amdhsa_kernarg_size 48
		.amdhsa_user_sgpr_count 2
		.amdhsa_user_sgpr_dispatch_ptr 0
		.amdhsa_user_sgpr_queue_ptr 0
		.amdhsa_user_sgpr_kernarg_segment_ptr 1
		.amdhsa_user_sgpr_dispatch_id 0
		.amdhsa_user_sgpr_kernarg_preload_length 0
		.amdhsa_user_sgpr_kernarg_preload_offset 0
		.amdhsa_user_sgpr_private_segment_size 0
		.amdhsa_wavefront_size32 1
		.amdhsa_uses_dynamic_stack 0
		.amdhsa_enable_private_segment 0
		.amdhsa_system_sgpr_workgroup_id_x 1
		.amdhsa_system_sgpr_workgroup_id_y 0
		.amdhsa_system_sgpr_workgroup_id_z 0
		.amdhsa_system_sgpr_workgroup_info 0
		.amdhsa_system_vgpr_workitem_id 0
		.amdhsa_next_free_vgpr 1
		.amdhsa_next_free_sgpr 1
		.amdhsa_named_barrier_count 0
		.amdhsa_reserve_vcc 0
		.amdhsa_float_round_mode_32 0
		.amdhsa_float_round_mode_16_64 0
		.amdhsa_float_denorm_mode_32 3
		.amdhsa_float_denorm_mode_16_64 3
		.amdhsa_fp16_overflow 0
		.amdhsa_memory_ordered 1
		.amdhsa_forward_progress 1
		.amdhsa_inst_pref_size 0
		.amdhsa_round_robin_scheduling 0
		.amdhsa_exception_fp_ieee_invalid_op 0
		.amdhsa_exception_fp_denorm_src 0
		.amdhsa_exception_fp_ieee_div_zero 0
		.amdhsa_exception_fp_ieee_overflow 0
		.amdhsa_exception_fp_ieee_underflow 0
		.amdhsa_exception_fp_ieee_inexact 0
		.amdhsa_exception_int_div_zero 0
	.end_amdhsa_kernel
	.section	.text._ZN7rocprim17ROCPRIM_400000_NS6detail17trampoline_kernelINS0_14default_configENS1_32segmented_reduce_config_selectorIN3c108BFloat16EEEZNS1_21segmented_reduce_implIS3_PKS6_PS6_PKlS6_N6hipcub16HIPCUB_304000_NS6detail27convert_result_type_wrapperISA_SB_N2at6native12_GLOBAL__N_19CustomMaxEEEEE10hipError_tPvRmT0_T1_jT2_SS_T4_T3_P12ihipStream_tbEUlT_E_NS1_11comp_targetILNS1_3genE8ELNS1_11target_archE1030ELNS1_3gpuE2ELNS1_3repE0EEENS1_30default_config_static_selectorELNS0_4arch9wavefront6targetE0EEEvSR_,"axG",@progbits,_ZN7rocprim17ROCPRIM_400000_NS6detail17trampoline_kernelINS0_14default_configENS1_32segmented_reduce_config_selectorIN3c108BFloat16EEEZNS1_21segmented_reduce_implIS3_PKS6_PS6_PKlS6_N6hipcub16HIPCUB_304000_NS6detail27convert_result_type_wrapperISA_SB_N2at6native12_GLOBAL__N_19CustomMaxEEEEE10hipError_tPvRmT0_T1_jT2_SS_T4_T3_P12ihipStream_tbEUlT_E_NS1_11comp_targetILNS1_3genE8ELNS1_11target_archE1030ELNS1_3gpuE2ELNS1_3repE0EEENS1_30default_config_static_selectorELNS0_4arch9wavefront6targetE0EEEvSR_,comdat
.Lfunc_end254:
	.size	_ZN7rocprim17ROCPRIM_400000_NS6detail17trampoline_kernelINS0_14default_configENS1_32segmented_reduce_config_selectorIN3c108BFloat16EEEZNS1_21segmented_reduce_implIS3_PKS6_PS6_PKlS6_N6hipcub16HIPCUB_304000_NS6detail27convert_result_type_wrapperISA_SB_N2at6native12_GLOBAL__N_19CustomMaxEEEEE10hipError_tPvRmT0_T1_jT2_SS_T4_T3_P12ihipStream_tbEUlT_E_NS1_11comp_targetILNS1_3genE8ELNS1_11target_archE1030ELNS1_3gpuE2ELNS1_3repE0EEENS1_30default_config_static_selectorELNS0_4arch9wavefront6targetE0EEEvSR_, .Lfunc_end254-_ZN7rocprim17ROCPRIM_400000_NS6detail17trampoline_kernelINS0_14default_configENS1_32segmented_reduce_config_selectorIN3c108BFloat16EEEZNS1_21segmented_reduce_implIS3_PKS6_PS6_PKlS6_N6hipcub16HIPCUB_304000_NS6detail27convert_result_type_wrapperISA_SB_N2at6native12_GLOBAL__N_19CustomMaxEEEEE10hipError_tPvRmT0_T1_jT2_SS_T4_T3_P12ihipStream_tbEUlT_E_NS1_11comp_targetILNS1_3genE8ELNS1_11target_archE1030ELNS1_3gpuE2ELNS1_3repE0EEENS1_30default_config_static_selectorELNS0_4arch9wavefront6targetE0EEEvSR_
                                        ; -- End function
	.set _ZN7rocprim17ROCPRIM_400000_NS6detail17trampoline_kernelINS0_14default_configENS1_32segmented_reduce_config_selectorIN3c108BFloat16EEEZNS1_21segmented_reduce_implIS3_PKS6_PS6_PKlS6_N6hipcub16HIPCUB_304000_NS6detail27convert_result_type_wrapperISA_SB_N2at6native12_GLOBAL__N_19CustomMaxEEEEE10hipError_tPvRmT0_T1_jT2_SS_T4_T3_P12ihipStream_tbEUlT_E_NS1_11comp_targetILNS1_3genE8ELNS1_11target_archE1030ELNS1_3gpuE2ELNS1_3repE0EEENS1_30default_config_static_selectorELNS0_4arch9wavefront6targetE0EEEvSR_.num_vgpr, 0
	.set _ZN7rocprim17ROCPRIM_400000_NS6detail17trampoline_kernelINS0_14default_configENS1_32segmented_reduce_config_selectorIN3c108BFloat16EEEZNS1_21segmented_reduce_implIS3_PKS6_PS6_PKlS6_N6hipcub16HIPCUB_304000_NS6detail27convert_result_type_wrapperISA_SB_N2at6native12_GLOBAL__N_19CustomMaxEEEEE10hipError_tPvRmT0_T1_jT2_SS_T4_T3_P12ihipStream_tbEUlT_E_NS1_11comp_targetILNS1_3genE8ELNS1_11target_archE1030ELNS1_3gpuE2ELNS1_3repE0EEENS1_30default_config_static_selectorELNS0_4arch9wavefront6targetE0EEEvSR_.num_agpr, 0
	.set _ZN7rocprim17ROCPRIM_400000_NS6detail17trampoline_kernelINS0_14default_configENS1_32segmented_reduce_config_selectorIN3c108BFloat16EEEZNS1_21segmented_reduce_implIS3_PKS6_PS6_PKlS6_N6hipcub16HIPCUB_304000_NS6detail27convert_result_type_wrapperISA_SB_N2at6native12_GLOBAL__N_19CustomMaxEEEEE10hipError_tPvRmT0_T1_jT2_SS_T4_T3_P12ihipStream_tbEUlT_E_NS1_11comp_targetILNS1_3genE8ELNS1_11target_archE1030ELNS1_3gpuE2ELNS1_3repE0EEENS1_30default_config_static_selectorELNS0_4arch9wavefront6targetE0EEEvSR_.numbered_sgpr, 0
	.set _ZN7rocprim17ROCPRIM_400000_NS6detail17trampoline_kernelINS0_14default_configENS1_32segmented_reduce_config_selectorIN3c108BFloat16EEEZNS1_21segmented_reduce_implIS3_PKS6_PS6_PKlS6_N6hipcub16HIPCUB_304000_NS6detail27convert_result_type_wrapperISA_SB_N2at6native12_GLOBAL__N_19CustomMaxEEEEE10hipError_tPvRmT0_T1_jT2_SS_T4_T3_P12ihipStream_tbEUlT_E_NS1_11comp_targetILNS1_3genE8ELNS1_11target_archE1030ELNS1_3gpuE2ELNS1_3repE0EEENS1_30default_config_static_selectorELNS0_4arch9wavefront6targetE0EEEvSR_.num_named_barrier, 0
	.set _ZN7rocprim17ROCPRIM_400000_NS6detail17trampoline_kernelINS0_14default_configENS1_32segmented_reduce_config_selectorIN3c108BFloat16EEEZNS1_21segmented_reduce_implIS3_PKS6_PS6_PKlS6_N6hipcub16HIPCUB_304000_NS6detail27convert_result_type_wrapperISA_SB_N2at6native12_GLOBAL__N_19CustomMaxEEEEE10hipError_tPvRmT0_T1_jT2_SS_T4_T3_P12ihipStream_tbEUlT_E_NS1_11comp_targetILNS1_3genE8ELNS1_11target_archE1030ELNS1_3gpuE2ELNS1_3repE0EEENS1_30default_config_static_selectorELNS0_4arch9wavefront6targetE0EEEvSR_.private_seg_size, 0
	.set _ZN7rocprim17ROCPRIM_400000_NS6detail17trampoline_kernelINS0_14default_configENS1_32segmented_reduce_config_selectorIN3c108BFloat16EEEZNS1_21segmented_reduce_implIS3_PKS6_PS6_PKlS6_N6hipcub16HIPCUB_304000_NS6detail27convert_result_type_wrapperISA_SB_N2at6native12_GLOBAL__N_19CustomMaxEEEEE10hipError_tPvRmT0_T1_jT2_SS_T4_T3_P12ihipStream_tbEUlT_E_NS1_11comp_targetILNS1_3genE8ELNS1_11target_archE1030ELNS1_3gpuE2ELNS1_3repE0EEENS1_30default_config_static_selectorELNS0_4arch9wavefront6targetE0EEEvSR_.uses_vcc, 0
	.set _ZN7rocprim17ROCPRIM_400000_NS6detail17trampoline_kernelINS0_14default_configENS1_32segmented_reduce_config_selectorIN3c108BFloat16EEEZNS1_21segmented_reduce_implIS3_PKS6_PS6_PKlS6_N6hipcub16HIPCUB_304000_NS6detail27convert_result_type_wrapperISA_SB_N2at6native12_GLOBAL__N_19CustomMaxEEEEE10hipError_tPvRmT0_T1_jT2_SS_T4_T3_P12ihipStream_tbEUlT_E_NS1_11comp_targetILNS1_3genE8ELNS1_11target_archE1030ELNS1_3gpuE2ELNS1_3repE0EEENS1_30default_config_static_selectorELNS0_4arch9wavefront6targetE0EEEvSR_.uses_flat_scratch, 0
	.set _ZN7rocprim17ROCPRIM_400000_NS6detail17trampoline_kernelINS0_14default_configENS1_32segmented_reduce_config_selectorIN3c108BFloat16EEEZNS1_21segmented_reduce_implIS3_PKS6_PS6_PKlS6_N6hipcub16HIPCUB_304000_NS6detail27convert_result_type_wrapperISA_SB_N2at6native12_GLOBAL__N_19CustomMaxEEEEE10hipError_tPvRmT0_T1_jT2_SS_T4_T3_P12ihipStream_tbEUlT_E_NS1_11comp_targetILNS1_3genE8ELNS1_11target_archE1030ELNS1_3gpuE2ELNS1_3repE0EEENS1_30default_config_static_selectorELNS0_4arch9wavefront6targetE0EEEvSR_.has_dyn_sized_stack, 0
	.set _ZN7rocprim17ROCPRIM_400000_NS6detail17trampoline_kernelINS0_14default_configENS1_32segmented_reduce_config_selectorIN3c108BFloat16EEEZNS1_21segmented_reduce_implIS3_PKS6_PS6_PKlS6_N6hipcub16HIPCUB_304000_NS6detail27convert_result_type_wrapperISA_SB_N2at6native12_GLOBAL__N_19CustomMaxEEEEE10hipError_tPvRmT0_T1_jT2_SS_T4_T3_P12ihipStream_tbEUlT_E_NS1_11comp_targetILNS1_3genE8ELNS1_11target_archE1030ELNS1_3gpuE2ELNS1_3repE0EEENS1_30default_config_static_selectorELNS0_4arch9wavefront6targetE0EEEvSR_.has_recursion, 0
	.set _ZN7rocprim17ROCPRIM_400000_NS6detail17trampoline_kernelINS0_14default_configENS1_32segmented_reduce_config_selectorIN3c108BFloat16EEEZNS1_21segmented_reduce_implIS3_PKS6_PS6_PKlS6_N6hipcub16HIPCUB_304000_NS6detail27convert_result_type_wrapperISA_SB_N2at6native12_GLOBAL__N_19CustomMaxEEEEE10hipError_tPvRmT0_T1_jT2_SS_T4_T3_P12ihipStream_tbEUlT_E_NS1_11comp_targetILNS1_3genE8ELNS1_11target_archE1030ELNS1_3gpuE2ELNS1_3repE0EEENS1_30default_config_static_selectorELNS0_4arch9wavefront6targetE0EEEvSR_.has_indirect_call, 0
	.section	.AMDGPU.csdata,"",@progbits
; Kernel info:
; codeLenInByte = 0
; TotalNumSgprs: 0
; NumVgprs: 0
; ScratchSize: 0
; MemoryBound: 0
; FloatMode: 240
; IeeeMode: 1
; LDSByteSize: 0 bytes/workgroup (compile time only)
; SGPRBlocks: 0
; VGPRBlocks: 0
; NumSGPRsForWavesPerEU: 1
; NumVGPRsForWavesPerEU: 1
; NamedBarCnt: 0
; Occupancy: 16
; WaveLimiterHint : 0
; COMPUTE_PGM_RSRC2:SCRATCH_EN: 0
; COMPUTE_PGM_RSRC2:USER_SGPR: 2
; COMPUTE_PGM_RSRC2:TRAP_HANDLER: 0
; COMPUTE_PGM_RSRC2:TGID_X_EN: 1
; COMPUTE_PGM_RSRC2:TGID_Y_EN: 0
; COMPUTE_PGM_RSRC2:TGID_Z_EN: 0
; COMPUTE_PGM_RSRC2:TIDIG_COMP_CNT: 0
	.section	.text._ZN7rocprim17ROCPRIM_400000_NS6detail17trampoline_kernelINS0_14default_configENS1_32segmented_reduce_config_selectorIN3c108BFloat16EEEZNS1_21segmented_reduce_implIS3_PKS6_PS6_PKlS6_N6hipcub16HIPCUB_304000_NS6detail27convert_result_type_wrapperISA_SB_N2at6native12_GLOBAL__N_19CustomSumEEEEE10hipError_tPvRmT0_T1_jT2_SS_T4_T3_P12ihipStream_tbEUlT_E_NS1_11comp_targetILNS1_3genE0ELNS1_11target_archE4294967295ELNS1_3gpuE0ELNS1_3repE0EEENS1_30default_config_static_selectorELNS0_4arch9wavefront6targetE0EEEvSR_,"axG",@progbits,_ZN7rocprim17ROCPRIM_400000_NS6detail17trampoline_kernelINS0_14default_configENS1_32segmented_reduce_config_selectorIN3c108BFloat16EEEZNS1_21segmented_reduce_implIS3_PKS6_PS6_PKlS6_N6hipcub16HIPCUB_304000_NS6detail27convert_result_type_wrapperISA_SB_N2at6native12_GLOBAL__N_19CustomSumEEEEE10hipError_tPvRmT0_T1_jT2_SS_T4_T3_P12ihipStream_tbEUlT_E_NS1_11comp_targetILNS1_3genE0ELNS1_11target_archE4294967295ELNS1_3gpuE0ELNS1_3repE0EEENS1_30default_config_static_selectorELNS0_4arch9wavefront6targetE0EEEvSR_,comdat
	.globl	_ZN7rocprim17ROCPRIM_400000_NS6detail17trampoline_kernelINS0_14default_configENS1_32segmented_reduce_config_selectorIN3c108BFloat16EEEZNS1_21segmented_reduce_implIS3_PKS6_PS6_PKlS6_N6hipcub16HIPCUB_304000_NS6detail27convert_result_type_wrapperISA_SB_N2at6native12_GLOBAL__N_19CustomSumEEEEE10hipError_tPvRmT0_T1_jT2_SS_T4_T3_P12ihipStream_tbEUlT_E_NS1_11comp_targetILNS1_3genE0ELNS1_11target_archE4294967295ELNS1_3gpuE0ELNS1_3repE0EEENS1_30default_config_static_selectorELNS0_4arch9wavefront6targetE0EEEvSR_ ; -- Begin function _ZN7rocprim17ROCPRIM_400000_NS6detail17trampoline_kernelINS0_14default_configENS1_32segmented_reduce_config_selectorIN3c108BFloat16EEEZNS1_21segmented_reduce_implIS3_PKS6_PS6_PKlS6_N6hipcub16HIPCUB_304000_NS6detail27convert_result_type_wrapperISA_SB_N2at6native12_GLOBAL__N_19CustomSumEEEEE10hipError_tPvRmT0_T1_jT2_SS_T4_T3_P12ihipStream_tbEUlT_E_NS1_11comp_targetILNS1_3genE0ELNS1_11target_archE4294967295ELNS1_3gpuE0ELNS1_3repE0EEENS1_30default_config_static_selectorELNS0_4arch9wavefront6targetE0EEEvSR_
	.p2align	8
	.type	_ZN7rocprim17ROCPRIM_400000_NS6detail17trampoline_kernelINS0_14default_configENS1_32segmented_reduce_config_selectorIN3c108BFloat16EEEZNS1_21segmented_reduce_implIS3_PKS6_PS6_PKlS6_N6hipcub16HIPCUB_304000_NS6detail27convert_result_type_wrapperISA_SB_N2at6native12_GLOBAL__N_19CustomSumEEEEE10hipError_tPvRmT0_T1_jT2_SS_T4_T3_P12ihipStream_tbEUlT_E_NS1_11comp_targetILNS1_3genE0ELNS1_11target_archE4294967295ELNS1_3gpuE0ELNS1_3repE0EEENS1_30default_config_static_selectorELNS0_4arch9wavefront6targetE0EEEvSR_,@function
_ZN7rocprim17ROCPRIM_400000_NS6detail17trampoline_kernelINS0_14default_configENS1_32segmented_reduce_config_selectorIN3c108BFloat16EEEZNS1_21segmented_reduce_implIS3_PKS6_PS6_PKlS6_N6hipcub16HIPCUB_304000_NS6detail27convert_result_type_wrapperISA_SB_N2at6native12_GLOBAL__N_19CustomSumEEEEE10hipError_tPvRmT0_T1_jT2_SS_T4_T3_P12ihipStream_tbEUlT_E_NS1_11comp_targetILNS1_3genE0ELNS1_11target_archE4294967295ELNS1_3gpuE0ELNS1_3repE0EEENS1_30default_config_static_selectorELNS0_4arch9wavefront6targetE0EEEvSR_: ; @_ZN7rocprim17ROCPRIM_400000_NS6detail17trampoline_kernelINS0_14default_configENS1_32segmented_reduce_config_selectorIN3c108BFloat16EEEZNS1_21segmented_reduce_implIS3_PKS6_PS6_PKlS6_N6hipcub16HIPCUB_304000_NS6detail27convert_result_type_wrapperISA_SB_N2at6native12_GLOBAL__N_19CustomSumEEEEE10hipError_tPvRmT0_T1_jT2_SS_T4_T3_P12ihipStream_tbEUlT_E_NS1_11comp_targetILNS1_3genE0ELNS1_11target_archE4294967295ELNS1_3gpuE0ELNS1_3repE0EEENS1_30default_config_static_selectorELNS0_4arch9wavefront6targetE0EEEvSR_
; %bb.0:
	v_mov_b32_e32 v1, 0
	s_clause 0x1
	s_load_b256 s[16:23], s[0:1], 0x0
	s_load_b64 s[2:3], s[0:1], 0x20
	s_bfe_u32 s4, ttmp6, 0x4000c
	s_and_b32 s5, ttmp6, 15
	s_add_co_i32 s4, s4, 1
	global_load_u16 v6, v1, s[0:1] offset:42
	s_mul_i32 s4, ttmp9, s4
	s_getreg_b32 s6, hwreg(HW_REG_IB_STS2, 6, 4)
	s_add_co_i32 s7, s5, s4
	s_mov_b32 s15, 0
	s_wait_kmcnt 0x0
	s_lshl_b64 s[0:1], s[20:21], 3
	s_cmp_eq_u32 s6, 0
	s_add_nc_u64 s[4:5], s[22:23], s[0:1]
	s_cselect_b32 s22, ttmp9, s7
	s_add_nc_u64 s[0:1], s[2:3], s[0:1]
	s_load_b64 s[26:27], s[4:5], s22 offset:0x0 scale_offset
	s_load_b64 s[24:25], s[0:1], s22 offset:0x0 scale_offset
	s_mov_b32 s23, 0
	s_wait_xcnt 0x0
	s_mov_b32 s1, -1
	s_wait_kmcnt 0x0
	v_cmp_gt_i64_e64 s0, s[24:25], s[26:27]
	s_and_b32 vcc_lo, exec_lo, s0
	v_cmp_eq_u32_e64 s0, 0, v0
	s_cbranch_vccz .LBB255_4
; %bb.1:
	s_and_not1_b32 vcc_lo, exec_lo, s1
	s_cbranch_vccz .LBB255_5
.LBB255_2:
	s_and_saveexec_b32 s0, s15
	s_cbranch_execnz .LBB255_116
.LBB255_3:
	s_endpgm
.LBB255_4:
	s_and_b32 s15, s0, exec_lo
	s_cbranch_execnz .LBB255_2
.LBB255_5:
	s_add_nc_u64 s[0:1], s[26:27], 0x1000
	s_delay_alu instid0(SALU_CYCLE_1)
	v_cmp_le_i64_e64 s2, s[0:1], s[24:25]
	s_and_b32 vcc_lo, exec_lo, s2
	s_cbranch_vccz .LBB255_62
; %bb.6:
	s_lshl_b64 s[2:3], s[26:27], 1
	s_add_nc_u64 s[4:5], s[26:27], 0x2000
	s_add_nc_u64 s[2:3], s[16:17], s[2:3]
	v_cmp_ge_i64_e64 s4, s[4:5], s[24:25]
	s_clause 0xf
	global_load_u16 v19, v0, s[2:3] scale_offset
	global_load_u16 v18, v0, s[2:3] offset:512 scale_offset
	global_load_u16 v17, v0, s[2:3] offset:1024 scale_offset
	;; [unrolled: 1-line block ×15, first 2 shown]
	s_wait_loadcnt 0xe
	v_dual_lshlrev_b32 v2, 16, v19 :: v_dual_lshlrev_b32 v3, 16, v18
	s_wait_loadcnt 0xd
	s_delay_alu instid0(VALU_DEP_1) | instskip(NEXT) | instid1(VALU_DEP_1)
	v_dual_lshlrev_b32 v20, 16, v17 :: v_dual_add_f32 v2, v3, v2
	v_bfe_u32 v3, v2, 16, 1
	v_cmp_o_f32_e32 vcc_lo, v2, v2
	s_delay_alu instid0(VALU_DEP_2) | instskip(NEXT) | instid1(VALU_DEP_1)
	v_add3_u32 v3, v2, v3, 0x7fff
	v_and_b32_e32 v3, 0xffff0000, v3
	s_delay_alu instid0(VALU_DEP_1) | instskip(NEXT) | instid1(VALU_DEP_1)
	v_cndmask_b32_e32 v2, 0x7fc00000, v3, vcc_lo
	v_add_f32_e32 v2, v2, v20
	s_wait_loadcnt 0xc
	v_lshlrev_b32_e32 v20, 16, v16
	s_delay_alu instid0(VALU_DEP_2) | instskip(SKIP_1) | instid1(VALU_DEP_2)
	v_bfe_u32 v3, v2, 16, 1
	v_cmp_o_f32_e32 vcc_lo, v2, v2
	v_add3_u32 v3, v2, v3, 0x7fff
	s_delay_alu instid0(VALU_DEP_1) | instskip(NEXT) | instid1(VALU_DEP_1)
	v_and_b32_e32 v3, 0xffff0000, v3
	v_cndmask_b32_e32 v2, 0x7fc00000, v3, vcc_lo
	s_wait_loadcnt 0xb
	s_delay_alu instid0(VALU_DEP_1) | instskip(NEXT) | instid1(VALU_DEP_1)
	v_dual_add_f32 v2, v2, v20 :: v_dual_lshlrev_b32 v20, 16, v15
	v_bfe_u32 v3, v2, 16, 1
	v_cmp_o_f32_e32 vcc_lo, v2, v2
	s_delay_alu instid0(VALU_DEP_2) | instskip(NEXT) | instid1(VALU_DEP_1)
	v_add3_u32 v3, v2, v3, 0x7fff
	v_and_b32_e32 v3, 0xffff0000, v3
	s_delay_alu instid0(VALU_DEP_1) | instskip(SKIP_1) | instid1(VALU_DEP_1)
	v_cndmask_b32_e32 v2, 0x7fc00000, v3, vcc_lo
	s_wait_loadcnt 0xa
	v_dual_add_f32 v2, v2, v20 :: v_dual_lshlrev_b32 v20, 16, v14
	s_delay_alu instid0(VALU_DEP_1) | instskip(SKIP_1) | instid1(VALU_DEP_2)
	v_bfe_u32 v3, v2, 16, 1
	v_cmp_o_f32_e32 vcc_lo, v2, v2
	v_add3_u32 v3, v2, v3, 0x7fff
	s_delay_alu instid0(VALU_DEP_1) | instskip(NEXT) | instid1(VALU_DEP_1)
	v_and_b32_e32 v3, 0xffff0000, v3
	v_cndmask_b32_e32 v2, 0x7fc00000, v3, vcc_lo
	s_wait_loadcnt 0x9
	s_delay_alu instid0(VALU_DEP_1) | instskip(NEXT) | instid1(VALU_DEP_1)
	v_dual_add_f32 v2, v2, v20 :: v_dual_lshlrev_b32 v20, 16, v13
	v_bfe_u32 v3, v2, 16, 1
	v_cmp_o_f32_e32 vcc_lo, v2, v2
	s_delay_alu instid0(VALU_DEP_2) | instskip(NEXT) | instid1(VALU_DEP_1)
	v_add3_u32 v3, v2, v3, 0x7fff
	v_and_b32_e32 v3, 0xffff0000, v3
	s_delay_alu instid0(VALU_DEP_1) | instskip(NEXT) | instid1(VALU_DEP_1)
	v_cndmask_b32_e32 v2, 0x7fc00000, v3, vcc_lo
	v_add_f32_e32 v2, v2, v20
	s_wait_loadcnt 0x8
	v_lshlrev_b32_e32 v20, 16, v12
	s_delay_alu instid0(VALU_DEP_2) | instskip(SKIP_1) | instid1(VALU_DEP_2)
	v_bfe_u32 v3, v2, 16, 1
	v_cmp_o_f32_e32 vcc_lo, v2, v2
	v_add3_u32 v3, v2, v3, 0x7fff
	s_delay_alu instid0(VALU_DEP_1) | instskip(NEXT) | instid1(VALU_DEP_1)
	v_and_b32_e32 v3, 0xffff0000, v3
	v_cndmask_b32_e32 v2, 0x7fc00000, v3, vcc_lo
	s_wait_loadcnt 0x7
	s_delay_alu instid0(VALU_DEP_1) | instskip(NEXT) | instid1(VALU_DEP_1)
	v_dual_add_f32 v2, v2, v20 :: v_dual_lshlrev_b32 v20, 16, v11
	v_bfe_u32 v3, v2, 16, 1
	v_cmp_o_f32_e32 vcc_lo, v2, v2
	s_delay_alu instid0(VALU_DEP_2) | instskip(NEXT) | instid1(VALU_DEP_1)
	v_add3_u32 v3, v2, v3, 0x7fff
	v_and_b32_e32 v3, 0xffff0000, v3
	s_delay_alu instid0(VALU_DEP_1) | instskip(SKIP_1) | instid1(VALU_DEP_1)
	v_cndmask_b32_e32 v2, 0x7fc00000, v3, vcc_lo
	s_wait_loadcnt 0x6
	v_dual_add_f32 v2, v2, v20 :: v_dual_lshlrev_b32 v20, 16, v10
	s_delay_alu instid0(VALU_DEP_1) | instskip(SKIP_1) | instid1(VALU_DEP_2)
	v_bfe_u32 v3, v2, 16, 1
	v_cmp_o_f32_e32 vcc_lo, v2, v2
	v_add3_u32 v3, v2, v3, 0x7fff
	s_delay_alu instid0(VALU_DEP_1) | instskip(NEXT) | instid1(VALU_DEP_1)
	v_and_b32_e32 v3, 0xffff0000, v3
	v_cndmask_b32_e32 v2, 0x7fc00000, v3, vcc_lo
	s_wait_loadcnt 0x5
	s_delay_alu instid0(VALU_DEP_1) | instskip(NEXT) | instid1(VALU_DEP_1)
	v_dual_add_f32 v2, v2, v20 :: v_dual_lshlrev_b32 v20, 16, v9
	;; [unrolled: 39-line block ×3, first 2 shown]
	v_bfe_u32 v3, v2, 16, 1
	v_cmp_o_f32_e32 vcc_lo, v2, v2
	s_delay_alu instid0(VALU_DEP_2) | instskip(NEXT) | instid1(VALU_DEP_1)
	v_add3_u32 v3, v2, v3, 0x7fff
	v_and_b32_e32 v3, 0xffff0000, v3
	s_delay_alu instid0(VALU_DEP_1) | instskip(NEXT) | instid1(VALU_DEP_1)
	v_cndmask_b32_e32 v2, 0x7fc00000, v3, vcc_lo
	v_add_f32_e32 v2, v2, v20
	s_wait_loadcnt 0x0
	v_lshlrev_b32_e32 v20, 16, v4
	s_delay_alu instid0(VALU_DEP_2) | instskip(SKIP_1) | instid1(VALU_DEP_2)
	v_bfe_u32 v3, v2, 16, 1
	v_cmp_o_f32_e32 vcc_lo, v2, v2
	v_add3_u32 v3, v2, v3, 0x7fff
	s_delay_alu instid0(VALU_DEP_1) | instskip(NEXT) | instid1(VALU_DEP_1)
	v_and_b32_e32 v3, 0xffff0000, v3
	v_cndmask_b32_e32 v2, 0x7fc00000, v3, vcc_lo
	s_delay_alu instid0(VALU_DEP_1) | instskip(NEXT) | instid1(VALU_DEP_1)
	v_add_f32_e32 v2, v2, v20
	v_bfe_u32 v3, v2, 16, 1
	v_cmp_o_f32_e32 vcc_lo, v2, v2
	s_delay_alu instid0(VALU_DEP_2) | instskip(NEXT) | instid1(VALU_DEP_1)
	v_add3_u32 v3, v2, v3, 0x7fff
	v_dual_mov_b32 v3, 0 :: v_dual_lshrrev_b32 v20, 16, v3
	s_delay_alu instid0(VALU_DEP_1)
	v_cndmask_b32_e32 v20, 0x7fc0, v20, vcc_lo
	s_and_b32 vcc_lo, exec_lo, s4
	s_cbranch_vccnz .LBB255_9
; %bb.7:
	v_lshlrev_b32_e32 v2, 1, v0
	s_delay_alu instid0(VALU_DEP_1) | instskip(NEXT) | instid1(VALU_DEP_1)
	v_add_nc_u64_e32 v[2:3], s[2:3], v[2:3]
	v_add_nc_u64_e32 v[2:3], 0x2000, v[2:3]
.LBB255_8:                              ; =>This Inner Loop Header: Depth=1
	s_clause 0xc
	global_load_u16 v19, v[2:3], off
	global_load_u16 v18, v[2:3], off offset:512
	global_load_u16 v17, v[2:3], off offset:1024
	;; [unrolled: 1-line block ×12, first 2 shown]
	v_lshlrev_b32_e32 v1, 16, v20
	global_load_u16 v5, v[2:3], off offset:6656
	s_mov_b64 s[2:3], s[0:1]
	s_add_nc_u64 s[0:1], s[0:1], 0x2000
	s_delay_alu instid0(SALU_CYCLE_1) | instskip(SKIP_4) | instid1(VALU_DEP_2)
	v_cmp_lt_i64_e64 s0, s[0:1], s[24:25]
	s_wait_loadcnt 0xc
	v_dual_lshlrev_b32 v4, 16, v19 :: v_dual_lshlrev_b32 v20, 16, v18
	s_wait_loadcnt 0xa
	v_dual_lshlrev_b32 v21, 16, v17 :: v_dual_lshlrev_b32 v22, 16, v16
	v_add_f32_e32 v1, v4, v1
	s_delay_alu instid0(VALU_DEP_1) | instskip(SKIP_1) | instid1(VALU_DEP_2)
	v_bfe_u32 v4, v1, 16, 1
	v_cmp_o_f32_e32 vcc_lo, v1, v1
	v_add3_u32 v4, v1, v4, 0x7fff
	global_load_u16 v1, v[2:3], off offset:7168
	v_and_b32_e32 v4, 0xffff0000, v4
	s_delay_alu instid0(VALU_DEP_1) | instskip(NEXT) | instid1(VALU_DEP_1)
	v_cndmask_b32_e32 v4, 0x7fc00000, v4, vcc_lo
	v_add_f32_e32 v4, v4, v20
	s_delay_alu instid0(VALU_DEP_1) | instskip(SKIP_1) | instid1(VALU_DEP_2)
	v_bfe_u32 v20, v4, 16, 1
	v_cmp_o_f32_e32 vcc_lo, v4, v4
	v_add3_u32 v20, v4, v20, 0x7fff
	global_load_u16 v4, v[2:3], off offset:7680
	s_wait_xcnt 0x0
	v_add_nc_u64_e32 v[2:3], 0x2000, v[2:3]
	v_and_b32_e32 v20, 0xffff0000, v20
	s_delay_alu instid0(VALU_DEP_1) | instskip(NEXT) | instid1(VALU_DEP_1)
	v_cndmask_b32_e32 v20, 0x7fc00000, v20, vcc_lo
	v_add_f32_e32 v20, v20, v21
	s_delay_alu instid0(VALU_DEP_1) | instskip(SKIP_1) | instid1(VALU_DEP_2)
	v_bfe_u32 v21, v20, 16, 1
	v_cmp_o_f32_e32 vcc_lo, v20, v20
	v_add3_u32 v21, v20, v21, 0x7fff
	s_delay_alu instid0(VALU_DEP_1) | instskip(NEXT) | instid1(VALU_DEP_1)
	v_and_b32_e32 v21, 0xffff0000, v21
	v_cndmask_b32_e32 v20, 0x7fc00000, v21, vcc_lo
	s_wait_loadcnt 0xb
	s_delay_alu instid0(VALU_DEP_1) | instskip(NEXT) | instid1(VALU_DEP_1)
	v_dual_add_f32 v20, v20, v22 :: v_dual_lshlrev_b32 v22, 16, v15
	v_bfe_u32 v21, v20, 16, 1
	v_cmp_o_f32_e32 vcc_lo, v20, v20
	s_delay_alu instid0(VALU_DEP_2) | instskip(NEXT) | instid1(VALU_DEP_1)
	v_add3_u32 v21, v20, v21, 0x7fff
	v_and_b32_e32 v21, 0xffff0000, v21
	s_delay_alu instid0(VALU_DEP_1) | instskip(NEXT) | instid1(VALU_DEP_1)
	v_cndmask_b32_e32 v20, 0x7fc00000, v21, vcc_lo
	v_add_f32_e32 v20, v20, v22
	s_wait_loadcnt 0xa
	v_lshlrev_b32_e32 v22, 16, v14
	s_delay_alu instid0(VALU_DEP_2) | instskip(SKIP_1) | instid1(VALU_DEP_2)
	v_bfe_u32 v21, v20, 16, 1
	v_cmp_o_f32_e32 vcc_lo, v20, v20
	v_add3_u32 v21, v20, v21, 0x7fff
	s_delay_alu instid0(VALU_DEP_1) | instskip(NEXT) | instid1(VALU_DEP_1)
	v_and_b32_e32 v21, 0xffff0000, v21
	v_cndmask_b32_e32 v20, 0x7fc00000, v21, vcc_lo
	s_wait_loadcnt 0x9
	s_delay_alu instid0(VALU_DEP_1) | instskip(NEXT) | instid1(VALU_DEP_1)
	v_dual_add_f32 v20, v20, v22 :: v_dual_lshlrev_b32 v22, 16, v13
	v_bfe_u32 v21, v20, 16, 1
	v_cmp_o_f32_e32 vcc_lo, v20, v20
	s_delay_alu instid0(VALU_DEP_2) | instskip(NEXT) | instid1(VALU_DEP_1)
	v_add3_u32 v21, v20, v21, 0x7fff
	v_and_b32_e32 v21, 0xffff0000, v21
	s_delay_alu instid0(VALU_DEP_1) | instskip(SKIP_1) | instid1(VALU_DEP_1)
	v_cndmask_b32_e32 v20, 0x7fc00000, v21, vcc_lo
	s_wait_loadcnt 0x8
	v_dual_add_f32 v20, v20, v22 :: v_dual_lshlrev_b32 v22, 16, v12
	s_delay_alu instid0(VALU_DEP_1) | instskip(SKIP_1) | instid1(VALU_DEP_2)
	v_bfe_u32 v21, v20, 16, 1
	v_cmp_o_f32_e32 vcc_lo, v20, v20
	v_add3_u32 v21, v20, v21, 0x7fff
	s_delay_alu instid0(VALU_DEP_1) | instskip(NEXT) | instid1(VALU_DEP_1)
	v_and_b32_e32 v21, 0xffff0000, v21
	v_cndmask_b32_e32 v20, 0x7fc00000, v21, vcc_lo
	s_wait_loadcnt 0x7
	s_delay_alu instid0(VALU_DEP_1) | instskip(NEXT) | instid1(VALU_DEP_1)
	v_dual_add_f32 v20, v20, v22 :: v_dual_lshlrev_b32 v22, 16, v11
	v_bfe_u32 v21, v20, 16, 1
	v_cmp_o_f32_e32 vcc_lo, v20, v20
	s_delay_alu instid0(VALU_DEP_2) | instskip(NEXT) | instid1(VALU_DEP_1)
	v_add3_u32 v21, v20, v21, 0x7fff
	v_and_b32_e32 v21, 0xffff0000, v21
	s_delay_alu instid0(VALU_DEP_1) | instskip(NEXT) | instid1(VALU_DEP_1)
	v_cndmask_b32_e32 v20, 0x7fc00000, v21, vcc_lo
	v_add_f32_e32 v20, v20, v22
	s_wait_loadcnt 0x6
	v_lshlrev_b32_e32 v22, 16, v10
	s_delay_alu instid0(VALU_DEP_2) | instskip(SKIP_1) | instid1(VALU_DEP_2)
	v_bfe_u32 v21, v20, 16, 1
	v_cmp_o_f32_e32 vcc_lo, v20, v20
	v_add3_u32 v21, v20, v21, 0x7fff
	s_delay_alu instid0(VALU_DEP_1) | instskip(NEXT) | instid1(VALU_DEP_1)
	v_and_b32_e32 v21, 0xffff0000, v21
	v_cndmask_b32_e32 v20, 0x7fc00000, v21, vcc_lo
	s_wait_loadcnt 0x5
	s_delay_alu instid0(VALU_DEP_1) | instskip(NEXT) | instid1(VALU_DEP_1)
	v_dual_add_f32 v20, v20, v22 :: v_dual_lshlrev_b32 v22, 16, v9
	v_bfe_u32 v21, v20, 16, 1
	v_cmp_o_f32_e32 vcc_lo, v20, v20
	s_delay_alu instid0(VALU_DEP_2) | instskip(NEXT) | instid1(VALU_DEP_1)
	v_add3_u32 v21, v20, v21, 0x7fff
	v_and_b32_e32 v21, 0xffff0000, v21
	s_delay_alu instid0(VALU_DEP_1) | instskip(SKIP_1) | instid1(VALU_DEP_1)
	v_cndmask_b32_e32 v20, 0x7fc00000, v21, vcc_lo
	s_wait_loadcnt 0x4
	v_dual_add_f32 v20, v20, v22 :: v_dual_lshlrev_b32 v22, 16, v8
	s_delay_alu instid0(VALU_DEP_1) | instskip(SKIP_1) | instid1(VALU_DEP_2)
	v_bfe_u32 v21, v20, 16, 1
	v_cmp_o_f32_e32 vcc_lo, v20, v20
	v_add3_u32 v21, v20, v21, 0x7fff
	s_delay_alu instid0(VALU_DEP_1) | instskip(NEXT) | instid1(VALU_DEP_1)
	v_and_b32_e32 v21, 0xffff0000, v21
	v_cndmask_b32_e32 v20, 0x7fc00000, v21, vcc_lo
	s_wait_loadcnt 0x3
	s_delay_alu instid0(VALU_DEP_1) | instskip(NEXT) | instid1(VALU_DEP_1)
	v_dual_add_f32 v20, v20, v22 :: v_dual_lshlrev_b32 v22, 16, v7
	v_bfe_u32 v21, v20, 16, 1
	v_cmp_o_f32_e32 vcc_lo, v20, v20
	s_delay_alu instid0(VALU_DEP_2) | instskip(NEXT) | instid1(VALU_DEP_1)
	v_add3_u32 v21, v20, v21, 0x7fff
	v_and_b32_e32 v21, 0xffff0000, v21
	s_delay_alu instid0(VALU_DEP_1) | instskip(SKIP_1) | instid1(VALU_DEP_1)
	v_cndmask_b32_e32 v20, 0x7fc00000, v21, vcc_lo
	s_wait_loadcnt 0x2
	v_dual_add_f32 v20, v20, v22 :: v_dual_lshlrev_b32 v22, 16, v5
	s_delay_alu instid0(VALU_DEP_1) | instskip(SKIP_1) | instid1(VALU_DEP_2)
	v_bfe_u32 v21, v20, 16, 1
	v_cmp_o_f32_e32 vcc_lo, v20, v20
	v_add3_u32 v21, v20, v21, 0x7fff
	s_delay_alu instid0(VALU_DEP_1) | instskip(NEXT) | instid1(VALU_DEP_1)
	v_and_b32_e32 v21, 0xffff0000, v21
	v_cndmask_b32_e32 v20, 0x7fc00000, v21, vcc_lo
	s_delay_alu instid0(VALU_DEP_1) | instskip(NEXT) | instid1(VALU_DEP_1)
	v_add_f32_e32 v20, v20, v22
	v_bfe_u32 v21, v20, 16, 1
	v_cmp_o_f32_e32 vcc_lo, v20, v20
	s_wait_loadcnt 0x1
	v_lshlrev_b32_e32 v22, 16, v1
	s_delay_alu instid0(VALU_DEP_3) | instskip(NEXT) | instid1(VALU_DEP_1)
	v_add3_u32 v21, v20, v21, 0x7fff
	v_and_b32_e32 v21, 0xffff0000, v21
	s_delay_alu instid0(VALU_DEP_1) | instskip(NEXT) | instid1(VALU_DEP_1)
	v_cndmask_b32_e32 v20, 0x7fc00000, v21, vcc_lo
	v_add_f32_e32 v20, v20, v22
	s_delay_alu instid0(VALU_DEP_1) | instskip(SKIP_3) | instid1(VALU_DEP_3)
	v_bfe_u32 v21, v20, 16, 1
	v_cmp_o_f32_e32 vcc_lo, v20, v20
	s_wait_loadcnt 0x0
	v_lshlrev_b32_e32 v22, 16, v4
	v_add3_u32 v21, v20, v21, 0x7fff
	s_delay_alu instid0(VALU_DEP_1) | instskip(NEXT) | instid1(VALU_DEP_1)
	v_and_b32_e32 v21, 0xffff0000, v21
	v_cndmask_b32_e32 v20, 0x7fc00000, v21, vcc_lo
	s_and_b32 vcc_lo, exec_lo, s0
	s_delay_alu instid0(VALU_DEP_1) | instskip(NEXT) | instid1(VALU_DEP_1)
	v_add_f32_e32 v20, v20, v22
	v_bfe_u32 v21, v20, 16, 1
	v_cmp_o_f32_e64 s0, v20, v20
	s_delay_alu instid0(VALU_DEP_2) | instskip(NEXT) | instid1(VALU_DEP_1)
	v_add3_u32 v21, v20, v21, 0x7fff
	v_lshrrev_b32_e32 v21, 16, v21
	s_delay_alu instid0(VALU_DEP_1)
	v_cndmask_b32_e64 v20, 0x7fc0, v21, s0
	s_add_nc_u64 s[0:1], s[2:3], 0x1000
	s_cbranch_vccnz .LBB255_8
.LBB255_9:
	s_sub_co_i32 s30, s24, s0
	s_lshl_b64 s[0:1], s[0:1], 1
	v_cmp_gt_u32_e64 s14, s30, v0
	s_add_nc_u64 s[28:29], s[16:17], s[0:1]
	s_and_saveexec_b32 s0, s14
	s_cbranch_execz .LBB255_11
; %bb.10:
	global_load_u16 v19, v0, s[28:29] scale_offset
.LBB255_11:
	s_wait_xcnt 0x0
	s_or_b32 exec_lo, exec_lo, s0
	v_or_b32_e32 v2, 0x100, v0
	s_delay_alu instid0(VALU_DEP_1)
	v_cmp_gt_u32_e64 s13, s30, v2
	s_and_saveexec_b32 s0, s13
	s_cbranch_execz .LBB255_13
; %bb.12:
	global_load_u16 v18, v0, s[28:29] offset:512 scale_offset
.LBB255_13:
	s_wait_xcnt 0x0
	s_or_b32 exec_lo, exec_lo, s0
	v_or_b32_e32 v2, 0x200, v0
	s_delay_alu instid0(VALU_DEP_1)
	v_cmp_gt_u32_e64 s12, s30, v2
	s_and_saveexec_b32 s0, s12
	s_cbranch_execz .LBB255_15
; %bb.14:
	global_load_u16 v17, v0, s[28:29] offset:1024 scale_offset
.LBB255_15:
	;; [unrolled: 10-line block ×14, first 2 shown]
	s_wait_xcnt 0x0
	s_or_b32 exec_lo, exec_lo, s31
	v_or_b32_e32 v2, 0xf00, v0
	s_delay_alu instid0(VALU_DEP_1)
	v_cmp_gt_u32_e32 vcc_lo, s30, v2
	s_and_saveexec_b32 s30, vcc_lo
	s_cbranch_execnz .LBB255_91
; %bb.40:
	s_or_b32 exec_lo, exec_lo, s30
	s_and_saveexec_b32 s28, s14
	s_cbranch_execnz .LBB255_92
.LBB255_41:
	s_or_b32 exec_lo, exec_lo, s28
	s_and_saveexec_b32 s14, s13
	s_cbranch_execnz .LBB255_93
.LBB255_42:
	s_or_b32 exec_lo, exec_lo, s14
	s_and_saveexec_b32 s13, s12
	s_cbranch_execnz .LBB255_94
.LBB255_43:
	s_or_b32 exec_lo, exec_lo, s13
	s_and_saveexec_b32 s12, s11
	s_cbranch_execnz .LBB255_95
.LBB255_44:
	s_or_b32 exec_lo, exec_lo, s12
	s_and_saveexec_b32 s11, s10
	s_cbranch_execnz .LBB255_96
.LBB255_45:
	s_or_b32 exec_lo, exec_lo, s11
	s_and_saveexec_b32 s10, s9
	s_cbranch_execnz .LBB255_97
.LBB255_46:
	s_or_b32 exec_lo, exec_lo, s10
	s_and_saveexec_b32 s9, s8
	s_cbranch_execnz .LBB255_98
.LBB255_47:
	s_or_b32 exec_lo, exec_lo, s9
	s_and_saveexec_b32 s8, s7
	s_cbranch_execnz .LBB255_99
.LBB255_48:
	s_or_b32 exec_lo, exec_lo, s8
	s_and_saveexec_b32 s7, s6
	s_cbranch_execnz .LBB255_100
.LBB255_49:
	s_or_b32 exec_lo, exec_lo, s7
	s_and_saveexec_b32 s6, s5
	s_cbranch_execnz .LBB255_101
.LBB255_50:
	s_or_b32 exec_lo, exec_lo, s6
	s_and_saveexec_b32 s5, s4
	s_cbranch_execnz .LBB255_102
.LBB255_51:
	s_or_b32 exec_lo, exec_lo, s5
	s_and_saveexec_b32 s4, s3
	s_cbranch_execnz .LBB255_103
.LBB255_52:
	s_or_b32 exec_lo, exec_lo, s4
	s_and_saveexec_b32 s3, s2
	s_cbranch_execnz .LBB255_104
.LBB255_53:
	s_or_b32 exec_lo, exec_lo, s3
	s_and_saveexec_b32 s2, s1
	s_cbranch_execnz .LBB255_105
.LBB255_54:
	s_or_b32 exec_lo, exec_lo, s2
	s_and_saveexec_b32 s1, s0
	s_cbranch_execnz .LBB255_106
.LBB255_55:
	s_or_b32 exec_lo, exec_lo, s1
	s_and_saveexec_b32 s0, vcc_lo
	s_cbranch_execz .LBB255_57
.LBB255_56:
	s_wait_loadcnt 0x0
	v_lshlrev_b32_e32 v1, 16, v4
	v_lshlrev_b32_e32 v2, 16, v20
	s_delay_alu instid0(VALU_DEP_1) | instskip(NEXT) | instid1(VALU_DEP_1)
	v_add_f32_e32 v1, v2, v1
	v_bfe_u32 v2, v1, 16, 1
	v_cmp_o_f32_e32 vcc_lo, v1, v1
	s_delay_alu instid0(VALU_DEP_2) | instskip(NEXT) | instid1(VALU_DEP_1)
	v_add3_u32 v2, v1, v2, 0x7fff
	v_lshrrev_b32_e32 v2, 16, v2
	s_delay_alu instid0(VALU_DEP_1)
	v_cndmask_b32_e32 v20, 0x7fc0, v2, vcc_lo
.LBB255_57:
	s_or_b32 exec_lo, exec_lo, s0
	s_wait_loadcnt 0x0
	s_delay_alu instid0(VALU_DEP_1) | instskip(SKIP_1) | instid1(VALU_DEP_1)
	v_and_b32_e32 v1, 0xffff, v20
	s_mov_b32 s0, exec_lo
	v_mov_b32_dpp v1, v1 quad_perm:[1,0,3,2] row_mask:0xf bank_mask:0xf
	s_delay_alu instid0(VALU_DEP_1) | instskip(NEXT) | instid1(VALU_DEP_1)
	v_dual_lshlrev_b32 v2, 16, v20 :: v_dual_lshlrev_b32 v1, 16, v1
	v_add_f32_e32 v1, v1, v2
	s_delay_alu instid0(VALU_DEP_1) | instskip(NEXT) | instid1(VALU_DEP_1)
	v_bfe_u32 v2, v1, 16, 1
	v_add3_u32 v2, v1, v2, 0x7fff
	s_delay_alu instid0(VALU_DEP_1) | instskip(SKIP_1) | instid1(VALU_DEP_2)
	v_lshrrev_b32_e32 v2, 16, v2
	v_cmp_o_f32_e32 vcc_lo, v1, v1
	v_cndmask_b32_e32 v1, 0x7fc0, v2, vcc_lo
	s_delay_alu instid0(VALU_DEP_1) | instskip(NEXT) | instid1(VALU_DEP_1)
	v_mov_b32_dpp v2, v1 quad_perm:[2,3,0,1] row_mask:0xf bank_mask:0xf
	v_dual_lshlrev_b32 v2, 16, v2 :: v_dual_lshlrev_b32 v1, 16, v1
	s_delay_alu instid0(VALU_DEP_1) | instskip(NEXT) | instid1(VALU_DEP_1)
	v_add_f32_e32 v1, v1, v2
	v_bfe_u32 v2, v1, 16, 1
	v_cmp_o_f32_e32 vcc_lo, v1, v1
	s_delay_alu instid0(VALU_DEP_2) | instskip(NEXT) | instid1(VALU_DEP_1)
	v_add3_u32 v2, v1, v2, 0x7fff
	v_lshrrev_b32_e32 v2, 16, v2
	s_delay_alu instid0(VALU_DEP_1) | instskip(NEXT) | instid1(VALU_DEP_1)
	v_cndmask_b32_e32 v1, 0x7fc0, v2, vcc_lo
	v_mov_b32_dpp v2, v1 row_ror:4 row_mask:0xf bank_mask:0xf
	s_delay_alu instid0(VALU_DEP_1) | instskip(NEXT) | instid1(VALU_DEP_1)
	v_dual_lshlrev_b32 v1, 16, v1 :: v_dual_lshlrev_b32 v2, 16, v2
	v_add_f32_e32 v1, v1, v2
	s_delay_alu instid0(VALU_DEP_1) | instskip(SKIP_1) | instid1(VALU_DEP_2)
	v_bfe_u32 v2, v1, 16, 1
	v_cmp_o_f32_e32 vcc_lo, v1, v1
	v_add3_u32 v2, v1, v2, 0x7fff
	s_delay_alu instid0(VALU_DEP_1) | instskip(NEXT) | instid1(VALU_DEP_1)
	v_lshrrev_b32_e32 v2, 16, v2
	v_cndmask_b32_e32 v1, 0x7fc0, v2, vcc_lo
	s_delay_alu instid0(VALU_DEP_1) | instskip(NEXT) | instid1(VALU_DEP_1)
	v_mov_b32_dpp v2, v1 row_ror:8 row_mask:0xf bank_mask:0xf
	v_dual_lshlrev_b32 v1, 16, v1 :: v_dual_lshlrev_b32 v2, 16, v2
	s_delay_alu instid0(VALU_DEP_1) | instskip(NEXT) | instid1(VALU_DEP_1)
	v_add_f32_e32 v1, v1, v2
	v_bfe_u32 v2, v1, 16, 1
	v_cmp_o_f32_e32 vcc_lo, v1, v1
	s_delay_alu instid0(VALU_DEP_2) | instskip(NEXT) | instid1(VALU_DEP_1)
	v_add3_u32 v2, v1, v2, 0x7fff
	v_lshrrev_b32_e32 v2, 16, v2
	s_delay_alu instid0(VALU_DEP_1) | instskip(SKIP_3) | instid1(VALU_DEP_1)
	v_cndmask_b32_e32 v1, 0x7fc0, v2, vcc_lo
	ds_swizzle_b32 v2, v1 offset:swizzle(BROADCAST,32,15)
	s_wait_dscnt 0x0
	v_dual_lshlrev_b32 v1, 16, v1 :: v_dual_lshlrev_b32 v2, 16, v2
	v_add_f32_e32 v1, v1, v2
	s_delay_alu instid0(VALU_DEP_1) | instskip(SKIP_1) | instid1(VALU_DEP_2)
	v_bfe_u32 v2, v1, 16, 1
	v_cmp_o_f32_e32 vcc_lo, v1, v1
	v_add3_u32 v2, v1, v2, 0x7fff
	s_delay_alu instid0(VALU_DEP_1) | instskip(NEXT) | instid1(VALU_DEP_1)
	v_lshrrev_b32_e32 v2, 16, v2
	v_dual_cndmask_b32 v1, 0x7fc0, v2 :: v_dual_mov_b32 v2, 0
	ds_bpermute_b32 v2, v2, v1 offset:124
	v_mbcnt_lo_u32_b32 v1, -1, 0
	s_delay_alu instid0(VALU_DEP_1)
	v_cmpx_eq_u32_e32 0, v1
	s_xor_b32 s0, exec_lo, s0
	s_cbranch_execz .LBB255_59
; %bb.58:
	v_lshrrev_b32_e32 v3, 4, v0
	s_delay_alu instid0(VALU_DEP_1)
	v_and_b32_e32 v3, 14, v3
	s_wait_dscnt 0x0
	ds_store_b16 v3, v2
.LBB255_59:
	s_or_b32 exec_lo, exec_lo, s0
	s_delay_alu instid0(SALU_CYCLE_1)
	s_mov_b32 s0, exec_lo
	s_wait_dscnt 0x0
	s_barrier_signal -1
	s_barrier_wait -1
	v_cmpx_gt_u32_e32 32, v0
	s_cbranch_execz .LBB255_61
; %bb.60:
	v_and_b32_e32 v2, 7, v1
	s_delay_alu instid0(VALU_DEP_1) | instskip(SKIP_1) | instid1(VALU_DEP_1)
	v_cmp_ne_u32_e32 vcc_lo, 7, v2
	v_add_co_ci_u32_e64 v4, null, 0, v1, vcc_lo
	v_dual_lshlrev_b32 v4, 2, v4 :: v_dual_lshlrev_b32 v3, 1, v2
	v_cmp_gt_u32_e32 vcc_lo, 6, v2
	ds_load_u16 v3, v3
	v_cndmask_b32_e64 v2, 0, 2, vcc_lo
	s_delay_alu instid0(VALU_DEP_1) | instskip(SKIP_1) | instid1(VALU_DEP_1)
	v_add_lshl_u32 v2, v2, v1, 2
	v_lshlrev_b32_e32 v1, 2, v1
	v_or_b32_e32 v1, 16, v1
	s_wait_dscnt 0x0
	ds_bpermute_b32 v4, v4, v3
	s_wait_dscnt 0x0
	v_dual_lshlrev_b32 v3, 16, v3 :: v_dual_lshlrev_b32 v4, 16, v4
	s_delay_alu instid0(VALU_DEP_1) | instskip(NEXT) | instid1(VALU_DEP_1)
	v_add_f32_e32 v3, v4, v3
	v_bfe_u32 v4, v3, 16, 1
	v_cmp_o_f32_e32 vcc_lo, v3, v3
	s_delay_alu instid0(VALU_DEP_2) | instskip(NEXT) | instid1(VALU_DEP_1)
	v_add3_u32 v4, v3, v4, 0x7fff
	v_lshrrev_b32_e32 v4, 16, v4
	s_delay_alu instid0(VALU_DEP_1) | instskip(SKIP_3) | instid1(VALU_DEP_1)
	v_cndmask_b32_e32 v3, 0x7fc0, v4, vcc_lo
	ds_bpermute_b32 v2, v2, v3
	s_wait_dscnt 0x0
	v_dual_lshlrev_b32 v3, 16, v3 :: v_dual_lshlrev_b32 v2, 16, v2
	v_add_f32_e32 v2, v3, v2
	s_delay_alu instid0(VALU_DEP_1) | instskip(NEXT) | instid1(VALU_DEP_1)
	v_bfe_u32 v3, v2, 16, 1
	v_add3_u32 v3, v2, v3, 0x7fff
	s_delay_alu instid0(VALU_DEP_1) | instskip(SKIP_1) | instid1(VALU_DEP_2)
	v_lshrrev_b32_e32 v3, 16, v3
	v_cmp_o_f32_e32 vcc_lo, v2, v2
	v_cndmask_b32_e32 v2, 0x7fc0, v3, vcc_lo
	ds_bpermute_b32 v1, v1, v2
	s_wait_dscnt 0x0
	v_dual_lshlrev_b32 v1, 16, v1 :: v_dual_lshlrev_b32 v2, 16, v2
	s_delay_alu instid0(VALU_DEP_1) | instskip(NEXT) | instid1(VALU_DEP_1)
	v_add_f32_e32 v1, v2, v1
	v_bfe_u32 v2, v1, 16, 1
	v_cmp_o_f32_e32 vcc_lo, v1, v1
	s_delay_alu instid0(VALU_DEP_2) | instskip(NEXT) | instid1(VALU_DEP_1)
	v_add3_u32 v2, v1, v2, 0x7fff
	v_lshrrev_b32_e32 v2, 16, v2
	s_delay_alu instid0(VALU_DEP_1)
	v_cndmask_b32_e32 v2, 0x7fc0, v2, vcc_lo
.LBB255_61:
	s_or_b32 exec_lo, exec_lo, s0
	s_branch .LBB255_113
.LBB255_62:
                                        ; implicit-def: $vgpr2
	s_cbranch_execz .LBB255_113
; %bb.63:
	s_sub_co_i32 s1, s24, s26
	s_mov_b32 s2, exec_lo
                                        ; implicit-def: $vgpr7
	v_cmpx_gt_u32_e64 s1, v0
	s_cbranch_execz .LBB255_69
; %bb.64:
	v_mov_b32_e32 v1, 0
	s_mov_b32 s3, exec_lo
	s_delay_alu instid0(VALU_DEP_1) | instskip(NEXT) | instid1(VALU_DEP_1)
	v_add_nc_u64_e32 v[2:3], s[26:27], v[0:1]
	v_lshl_add_u64 v[4:5], v[2:3], 1, s[16:17]
	v_add_nc_u64_e32 v[2:3], 0x100, v[2:3]
	global_load_u16 v7, v[4:5], off
	s_wait_xcnt 0x0
	v_cmpx_gt_i64_e64 s[24:25], v[2:3]
	s_cbranch_execz .LBB255_68
; %bb.65:
	v_add_nc_u64_e32 v[4:5], 0x200, v[4:5]
	s_mov_b32 s4, 0
.LBB255_66:                             ; =>This Inner Loop Header: Depth=1
	global_load_u16 v1, v[4:5], off
	s_wait_loadcnt 0x1
	v_lshlrev_b32_e32 v7, 16, v7
	v_add_nc_u64_e32 v[2:3], 0x100, v[2:3]
	s_wait_xcnt 0x0
	v_add_nc_u64_e32 v[4:5], 0x200, v[4:5]
	s_delay_alu instid0(VALU_DEP_2) | instskip(SKIP_3) | instid1(VALU_DEP_1)
	v_cmp_le_i64_e32 vcc_lo, s[24:25], v[2:3]
	s_or_b32 s4, vcc_lo, s4
	s_wait_loadcnt 0x0
	v_lshlrev_b32_e32 v1, 16, v1
	v_add_f32_e32 v1, v1, v7
	s_delay_alu instid0(VALU_DEP_1) | instskip(NEXT) | instid1(VALU_DEP_1)
	v_bfe_u32 v7, v1, 16, 1
	v_add3_u32 v7, v1, v7, 0x7fff
	s_delay_alu instid0(VALU_DEP_1) | instskip(SKIP_1) | instid1(VALU_DEP_1)
	v_lshrrev_b32_e32 v7, 16, v7
	v_cmp_o_f32_e64 s0, v1, v1
	v_cndmask_b32_e64 v7, 0x7fc0, v7, s0
	s_and_not1_b32 exec_lo, exec_lo, s4
	s_cbranch_execnz .LBB255_66
; %bb.67:
	s_or_b32 exec_lo, exec_lo, s4
.LBB255_68:
	s_delay_alu instid0(SALU_CYCLE_1)
	s_or_b32 exec_lo, exec_lo, s3
.LBB255_69:
	s_delay_alu instid0(SALU_CYCLE_1)
	s_or_b32 exec_lo, exec_lo, s2
	v_mbcnt_lo_u32_b32 v1, -1, 0
	s_wait_loadcnt 0x0
	v_and_b32_e32 v3, 0xffff, v7
	s_cmp_lt_u32 s1, 0x100
	s_cbranch_scc0 .LBB255_107
; %bb.70:
	v_cmp_ne_u32_e32 vcc_lo, 31, v1
	s_delay_alu instid0(VALU_DEP_2) | instskip(SKIP_1) | instid1(VALU_DEP_1)
	v_mov_b32_e32 v8, v3
	v_add_co_ci_u32_e64 v2, null, 0, v1, vcc_lo
	v_lshlrev_b32_e32 v2, 2, v2
	ds_bpermute_b32 v5, v2, v3
	v_and_b32_e32 v2, 0xe0, v0
	s_delay_alu instid0(VALU_DEP_1) | instskip(SKIP_1) | instid1(VALU_DEP_1)
	v_sub_nc_u32_e64 v4, s1, v2 clamp
	v_add_nc_u32_e32 v2, 1, v1
	v_cmp_lt_u32_e32 vcc_lo, v2, v4
	v_mov_b32_e32 v2, v7
	s_and_saveexec_b32 s0, vcc_lo
	s_cbranch_execz .LBB255_72
; %bb.71:
	s_wait_dscnt 0x0
	v_dual_lshlrev_b32 v2, 16, v3 :: v_dual_lshlrev_b32 v5, 16, v5
	s_delay_alu instid0(VALU_DEP_1) | instskip(NEXT) | instid1(VALU_DEP_1)
	v_add_f32_e32 v2, v5, v2
	v_bfe_u32 v5, v2, 16, 1
	s_delay_alu instid0(VALU_DEP_1) | instskip(NEXT) | instid1(VALU_DEP_1)
	v_add3_u32 v5, v2, v5, 0x7fff
	v_lshrrev_b32_e32 v5, 16, v5
	v_cmp_o_f32_e32 vcc_lo, v2, v2
	s_delay_alu instid0(VALU_DEP_2) | instskip(NEXT) | instid1(VALU_DEP_1)
	v_cndmask_b32_e32 v2, 0x7fc0, v5, vcc_lo
	v_and_b32_e32 v8, 0xffff, v2
.LBB255_72:
	s_or_b32 exec_lo, exec_lo, s0
	v_cmp_gt_u32_e32 vcc_lo, 30, v1
	v_add_nc_u32_e32 v9, 2, v1
	s_mov_b32 s0, exec_lo
	s_wait_dscnt 0x0
	v_cndmask_b32_e64 v5, 0, 2, vcc_lo
	s_delay_alu instid0(VALU_DEP_1)
	v_add_lshl_u32 v5, v5, v1, 2
	ds_bpermute_b32 v5, v5, v8
	v_cmpx_lt_u32_e64 v9, v4
	s_cbranch_execz .LBB255_74
; %bb.73:
	s_wait_dscnt 0x0
	v_dual_lshlrev_b32 v2, 16, v8 :: v_dual_lshlrev_b32 v5, 16, v5
	s_delay_alu instid0(VALU_DEP_1) | instskip(NEXT) | instid1(VALU_DEP_1)
	v_add_f32_e32 v2, v5, v2
	v_bfe_u32 v5, v2, 16, 1
	s_delay_alu instid0(VALU_DEP_1) | instskip(NEXT) | instid1(VALU_DEP_1)
	v_add3_u32 v5, v2, v5, 0x7fff
	v_lshrrev_b32_e32 v5, 16, v5
	v_cmp_o_f32_e32 vcc_lo, v2, v2
	s_delay_alu instid0(VALU_DEP_2) | instskip(NEXT) | instid1(VALU_DEP_1)
	v_cndmask_b32_e32 v2, 0x7fc0, v5, vcc_lo
	v_and_b32_e32 v8, 0xffff, v2
.LBB255_74:
	s_or_b32 exec_lo, exec_lo, s0
	v_cmp_gt_u32_e32 vcc_lo, 28, v1
	v_add_nc_u32_e32 v9, 4, v1
	s_mov_b32 s0, exec_lo
	s_wait_dscnt 0x0
	v_cndmask_b32_e64 v5, 0, 4, vcc_lo
	s_delay_alu instid0(VALU_DEP_1)
	v_add_lshl_u32 v5, v5, v1, 2
	ds_bpermute_b32 v5, v5, v8
	v_cmpx_lt_u32_e64 v9, v4
	;; [unrolled: 25-line block ×3, first 2 shown]
	s_cbranch_execz .LBB255_78
; %bb.77:
	s_wait_dscnt 0x0
	v_dual_lshlrev_b32 v2, 16, v8 :: v_dual_lshlrev_b32 v5, 16, v5
	s_delay_alu instid0(VALU_DEP_1) | instskip(NEXT) | instid1(VALU_DEP_1)
	v_add_f32_e32 v2, v5, v2
	v_bfe_u32 v5, v2, 16, 1
	s_delay_alu instid0(VALU_DEP_1) | instskip(NEXT) | instid1(VALU_DEP_1)
	v_add3_u32 v5, v2, v5, 0x7fff
	v_lshrrev_b32_e32 v5, 16, v5
	v_cmp_o_f32_e32 vcc_lo, v2, v2
	s_delay_alu instid0(VALU_DEP_2) | instskip(NEXT) | instid1(VALU_DEP_1)
	v_cndmask_b32_e32 v2, 0x7fc0, v5, vcc_lo
	v_and_b32_e32 v8, 0xffff, v2
.LBB255_78:
	s_or_b32 exec_lo, exec_lo, s0
	s_wait_dscnt 0x0
	v_dual_lshlrev_b32 v5, 2, v1 :: v_dual_add_nc_u32 v10, 16, v1
	s_mov_b32 s0, exec_lo
	s_delay_alu instid0(VALU_DEP_1)
	v_or_b32_e32 v9, 64, v5
	ds_bpermute_b32 v9, v9, v8
	v_cmpx_lt_u32_e64 v10, v4
	s_cbranch_execz .LBB255_80
; %bb.79:
	s_wait_dscnt 0x0
	v_dual_lshlrev_b32 v2, 16, v8 :: v_dual_lshlrev_b32 v4, 16, v9
	s_delay_alu instid0(VALU_DEP_1) | instskip(NEXT) | instid1(VALU_DEP_1)
	v_add_f32_e32 v2, v4, v2
	v_bfe_u32 v4, v2, 16, 1
	s_delay_alu instid0(VALU_DEP_1) | instskip(NEXT) | instid1(VALU_DEP_1)
	v_add3_u32 v4, v2, v4, 0x7fff
	v_lshrrev_b32_e32 v4, 16, v4
	v_cmp_o_f32_e32 vcc_lo, v2, v2
	s_delay_alu instid0(VALU_DEP_2)
	v_cndmask_b32_e32 v2, 0x7fc0, v4, vcc_lo
.LBB255_80:
	s_or_b32 exec_lo, exec_lo, s0
	s_delay_alu instid0(SALU_CYCLE_1)
	s_mov_b32 s0, exec_lo
	v_cmpx_eq_u32_e32 0, v1
; %bb.81:
	v_lshrrev_b32_e32 v4, 4, v0
	s_delay_alu instid0(VALU_DEP_1)
	v_and_b32_e32 v4, 14, v4
	ds_store_b16 v4, v2
; %bb.82:
	s_or_b32 exec_lo, exec_lo, s0
	s_delay_alu instid0(SALU_CYCLE_1)
	s_mov_b32 s0, exec_lo
	s_wait_dscnt 0x0
	s_barrier_signal -1
	s_barrier_wait -1
	v_cmpx_gt_u32_e32 8, v0
	s_cbranch_execz .LBB255_90
; %bb.83:
	v_dual_lshlrev_b32 v2, 1, v1 :: v_dual_bitop2_b32 v4, 7, v1 bitop3:0x40
	s_add_co_i32 s1, s1, 31
	s_mov_b32 s2, exec_lo
	s_lshr_b32 s1, s1, 5
	ds_load_u16 v2, v2
	v_cmp_ne_u32_e32 vcc_lo, 7, v4
	v_add_nc_u32_e32 v10, 1, v4
	v_add_co_ci_u32_e64 v8, null, 0, v1, vcc_lo
	s_delay_alu instid0(VALU_DEP_1)
	v_lshlrev_b32_e32 v9, 2, v8
	s_wait_dscnt 0x0
	v_and_b32_e32 v8, 0xffff, v2
	ds_bpermute_b32 v9, v9, v8
	v_cmpx_gt_u32_e64 s1, v10
	s_cbranch_execz .LBB255_85
; %bb.84:
	s_wait_dscnt 0x0
	v_dual_lshlrev_b32 v2, 16, v8 :: v_dual_lshlrev_b32 v8, 16, v9
	s_delay_alu instid0(VALU_DEP_1) | instskip(NEXT) | instid1(VALU_DEP_1)
	v_add_f32_e32 v2, v8, v2
	v_bfe_u32 v8, v2, 16, 1
	s_delay_alu instid0(VALU_DEP_1) | instskip(NEXT) | instid1(VALU_DEP_1)
	v_add3_u32 v8, v2, v8, 0x7fff
	v_lshrrev_b32_e32 v8, 16, v8
	v_cmp_o_f32_e32 vcc_lo, v2, v2
	s_delay_alu instid0(VALU_DEP_2) | instskip(NEXT) | instid1(VALU_DEP_1)
	v_cndmask_b32_e32 v2, 0x7fc0, v8, vcc_lo
	v_and_b32_e32 v8, 0xffff, v2
.LBB255_85:
	s_or_b32 exec_lo, exec_lo, s2
	v_cmp_gt_u32_e32 vcc_lo, 6, v4
	v_add_nc_u32_e32 v10, 2, v4
	s_mov_b32 s2, exec_lo
	s_wait_dscnt 0x0
	v_cndmask_b32_e64 v9, 0, 2, vcc_lo
	s_delay_alu instid0(VALU_DEP_1)
	v_add_lshl_u32 v9, v9, v1, 2
	ds_bpermute_b32 v9, v9, v8
	v_cmpx_gt_u32_e64 s1, v10
	s_cbranch_execz .LBB255_87
; %bb.86:
	s_wait_dscnt 0x0
	v_dual_lshlrev_b32 v2, 16, v8 :: v_dual_lshlrev_b32 v8, 16, v9
	s_delay_alu instid0(VALU_DEP_1) | instskip(NEXT) | instid1(VALU_DEP_1)
	v_add_f32_e32 v2, v8, v2
	v_bfe_u32 v8, v2, 16, 1
	s_delay_alu instid0(VALU_DEP_1) | instskip(NEXT) | instid1(VALU_DEP_1)
	v_add3_u32 v8, v2, v8, 0x7fff
	v_lshrrev_b32_e32 v8, 16, v8
	v_cmp_o_f32_e32 vcc_lo, v2, v2
	s_delay_alu instid0(VALU_DEP_2) | instskip(NEXT) | instid1(VALU_DEP_1)
	v_cndmask_b32_e32 v2, 0x7fc0, v8, vcc_lo
	v_and_b32_e32 v8, 0xffff, v2
.LBB255_87:
	s_or_b32 exec_lo, exec_lo, s2
	v_dual_add_nc_u32 v4, 4, v4 :: v_dual_bitop2_b32 v5, 16, v5 bitop3:0x54
	ds_bpermute_b32 v5, v5, v8
	v_cmp_gt_u32_e32 vcc_lo, s1, v4
	s_and_saveexec_b32 s1, vcc_lo
	s_cbranch_execz .LBB255_89
; %bb.88:
	s_wait_dscnt 0x0
	v_dual_lshlrev_b32 v2, 16, v8 :: v_dual_lshlrev_b32 v4, 16, v5
	s_delay_alu instid0(VALU_DEP_1) | instskip(NEXT) | instid1(VALU_DEP_1)
	v_add_f32_e32 v2, v4, v2
	v_bfe_u32 v4, v2, 16, 1
	s_delay_alu instid0(VALU_DEP_1) | instskip(NEXT) | instid1(VALU_DEP_1)
	v_add3_u32 v4, v2, v4, 0x7fff
	v_lshrrev_b32_e32 v4, 16, v4
	v_cmp_o_f32_e32 vcc_lo, v2, v2
	s_delay_alu instid0(VALU_DEP_2)
	v_cndmask_b32_e32 v2, 0x7fc0, v4, vcc_lo
.LBB255_89:
	s_or_b32 exec_lo, exec_lo, s1
.LBB255_90:
	s_delay_alu instid0(SALU_CYCLE_1)
	s_or_b32 exec_lo, exec_lo, s0
	s_branch .LBB255_113
.LBB255_91:
	global_load_u16 v4, v0, s[28:29] offset:7680 scale_offset
	s_wait_xcnt 0x0
	s_or_b32 exec_lo, exec_lo, s30
	s_and_saveexec_b32 s28, s14
	s_cbranch_execz .LBB255_41
.LBB255_92:
	s_wait_loadcnt 0x0
	v_dual_lshlrev_b32 v2, 16, v20 :: v_dual_lshlrev_b32 v3, 16, v19
	s_delay_alu instid0(VALU_DEP_1) | instskip(NEXT) | instid1(VALU_DEP_1)
	v_add_f32_e32 v2, v3, v2
	v_bfe_u32 v3, v2, 16, 1
	s_delay_alu instid0(VALU_DEP_1) | instskip(NEXT) | instid1(VALU_DEP_1)
	v_add3_u32 v3, v2, v3, 0x7fff
	v_lshrrev_b32_e32 v3, 16, v3
	v_cmp_o_f32_e64 s14, v2, v2
	s_delay_alu instid0(VALU_DEP_1)
	v_cndmask_b32_e64 v20, 0x7fc0, v3, s14
	s_or_b32 exec_lo, exec_lo, s28
	s_and_saveexec_b32 s14, s13
	s_cbranch_execz .LBB255_42
.LBB255_93:
	s_wait_loadcnt 0x0
	v_dual_lshlrev_b32 v2, 16, v18 :: v_dual_lshlrev_b32 v3, 16, v20
	s_delay_alu instid0(VALU_DEP_1) | instskip(NEXT) | instid1(VALU_DEP_1)
	v_add_f32_e32 v2, v3, v2
	v_bfe_u32 v3, v2, 16, 1
	s_delay_alu instid0(VALU_DEP_1) | instskip(NEXT) | instid1(VALU_DEP_1)
	v_add3_u32 v3, v2, v3, 0x7fff
	v_lshrrev_b32_e32 v3, 16, v3
	v_cmp_o_f32_e64 s13, v2, v2
	s_delay_alu instid0(VALU_DEP_1)
	v_cndmask_b32_e64 v20, 0x7fc0, v3, s13
	s_or_b32 exec_lo, exec_lo, s14
	s_and_saveexec_b32 s13, s12
	s_cbranch_execz .LBB255_43
.LBB255_94:
	s_wait_loadcnt 0x0
	v_dual_lshlrev_b32 v2, 16, v17 :: v_dual_lshlrev_b32 v3, 16, v20
	s_delay_alu instid0(VALU_DEP_1) | instskip(NEXT) | instid1(VALU_DEP_1)
	v_add_f32_e32 v2, v3, v2
	v_bfe_u32 v3, v2, 16, 1
	s_delay_alu instid0(VALU_DEP_1) | instskip(NEXT) | instid1(VALU_DEP_1)
	v_add3_u32 v3, v2, v3, 0x7fff
	v_lshrrev_b32_e32 v3, 16, v3
	v_cmp_o_f32_e64 s12, v2, v2
	s_delay_alu instid0(VALU_DEP_1)
	v_cndmask_b32_e64 v20, 0x7fc0, v3, s12
	s_or_b32 exec_lo, exec_lo, s13
	s_and_saveexec_b32 s12, s11
	s_cbranch_execz .LBB255_44
.LBB255_95:
	s_wait_loadcnt 0x0
	v_lshlrev_b32_e32 v2, 16, v16
	v_lshlrev_b32_e32 v3, 16, v20
	s_delay_alu instid0(VALU_DEP_1) | instskip(NEXT) | instid1(VALU_DEP_1)
	v_add_f32_e32 v2, v3, v2
	v_bfe_u32 v3, v2, 16, 1
	v_cmp_o_f32_e64 s11, v2, v2
	s_delay_alu instid0(VALU_DEP_2) | instskip(NEXT) | instid1(VALU_DEP_1)
	v_add3_u32 v3, v2, v3, 0x7fff
	v_lshrrev_b32_e32 v3, 16, v3
	s_delay_alu instid0(VALU_DEP_1)
	v_cndmask_b32_e64 v20, 0x7fc0, v3, s11
	s_or_b32 exec_lo, exec_lo, s12
	s_and_saveexec_b32 s11, s10
	s_cbranch_execz .LBB255_45
.LBB255_96:
	s_wait_loadcnt 0x0
	v_dual_lshlrev_b32 v2, 16, v15 :: v_dual_lshlrev_b32 v3, 16, v20
	s_delay_alu instid0(VALU_DEP_1) | instskip(NEXT) | instid1(VALU_DEP_1)
	v_add_f32_e32 v2, v3, v2
	v_bfe_u32 v3, v2, 16, 1
	s_delay_alu instid0(VALU_DEP_1) | instskip(NEXT) | instid1(VALU_DEP_1)
	v_add3_u32 v3, v2, v3, 0x7fff
	v_lshrrev_b32_e32 v3, 16, v3
	v_cmp_o_f32_e64 s10, v2, v2
	s_delay_alu instid0(VALU_DEP_1)
	v_cndmask_b32_e64 v20, 0x7fc0, v3, s10
	s_or_b32 exec_lo, exec_lo, s11
	s_and_saveexec_b32 s10, s9
	s_cbranch_execz .LBB255_46
.LBB255_97:
	s_wait_loadcnt 0x0
	v_dual_lshlrev_b32 v2, 16, v14 :: v_dual_lshlrev_b32 v3, 16, v20
	s_delay_alu instid0(VALU_DEP_1) | instskip(NEXT) | instid1(VALU_DEP_1)
	v_add_f32_e32 v2, v3, v2
	v_bfe_u32 v3, v2, 16, 1
	s_delay_alu instid0(VALU_DEP_1) | instskip(NEXT) | instid1(VALU_DEP_1)
	v_add3_u32 v3, v2, v3, 0x7fff
	v_lshrrev_b32_e32 v3, 16, v3
	v_cmp_o_f32_e64 s9, v2, v2
	s_delay_alu instid0(VALU_DEP_1)
	v_cndmask_b32_e64 v20, 0x7fc0, v3, s9
	s_or_b32 exec_lo, exec_lo, s10
	s_and_saveexec_b32 s9, s8
	s_cbranch_execz .LBB255_47
.LBB255_98:
	s_wait_loadcnt 0x0
	v_dual_lshlrev_b32 v2, 16, v13 :: v_dual_lshlrev_b32 v3, 16, v20
	s_delay_alu instid0(VALU_DEP_1) | instskip(NEXT) | instid1(VALU_DEP_1)
	v_add_f32_e32 v2, v3, v2
	v_bfe_u32 v3, v2, 16, 1
	s_delay_alu instid0(VALU_DEP_1) | instskip(NEXT) | instid1(VALU_DEP_1)
	v_add3_u32 v3, v2, v3, 0x7fff
	v_lshrrev_b32_e32 v3, 16, v3
	v_cmp_o_f32_e64 s8, v2, v2
	s_delay_alu instid0(VALU_DEP_1)
	v_cndmask_b32_e64 v20, 0x7fc0, v3, s8
	s_or_b32 exec_lo, exec_lo, s9
	s_and_saveexec_b32 s8, s7
	s_cbranch_execz .LBB255_48
.LBB255_99:
	s_wait_loadcnt 0x0
	v_lshlrev_b32_e32 v2, 16, v12
	v_lshlrev_b32_e32 v3, 16, v20
	s_delay_alu instid0(VALU_DEP_1) | instskip(NEXT) | instid1(VALU_DEP_1)
	v_add_f32_e32 v2, v3, v2
	v_bfe_u32 v3, v2, 16, 1
	v_cmp_o_f32_e64 s7, v2, v2
	s_delay_alu instid0(VALU_DEP_2) | instskip(NEXT) | instid1(VALU_DEP_1)
	v_add3_u32 v3, v2, v3, 0x7fff
	v_lshrrev_b32_e32 v3, 16, v3
	s_delay_alu instid0(VALU_DEP_1)
	v_cndmask_b32_e64 v20, 0x7fc0, v3, s7
	s_or_b32 exec_lo, exec_lo, s8
	s_and_saveexec_b32 s7, s6
	s_cbranch_execz .LBB255_49
.LBB255_100:
	s_wait_loadcnt 0x0
	v_dual_lshlrev_b32 v2, 16, v11 :: v_dual_lshlrev_b32 v3, 16, v20
	s_delay_alu instid0(VALU_DEP_1) | instskip(NEXT) | instid1(VALU_DEP_1)
	v_add_f32_e32 v2, v3, v2
	v_bfe_u32 v3, v2, 16, 1
	s_delay_alu instid0(VALU_DEP_1) | instskip(NEXT) | instid1(VALU_DEP_1)
	v_add3_u32 v3, v2, v3, 0x7fff
	v_lshrrev_b32_e32 v3, 16, v3
	v_cmp_o_f32_e64 s6, v2, v2
	s_delay_alu instid0(VALU_DEP_1)
	v_cndmask_b32_e64 v20, 0x7fc0, v3, s6
	s_or_b32 exec_lo, exec_lo, s7
	s_and_saveexec_b32 s6, s5
	s_cbranch_execz .LBB255_50
.LBB255_101:
	s_wait_loadcnt 0x0
	v_dual_lshlrev_b32 v2, 16, v10 :: v_dual_lshlrev_b32 v3, 16, v20
	s_delay_alu instid0(VALU_DEP_1) | instskip(NEXT) | instid1(VALU_DEP_1)
	v_add_f32_e32 v2, v3, v2
	v_bfe_u32 v3, v2, 16, 1
	s_delay_alu instid0(VALU_DEP_1) | instskip(NEXT) | instid1(VALU_DEP_1)
	v_add3_u32 v3, v2, v3, 0x7fff
	v_lshrrev_b32_e32 v3, 16, v3
	v_cmp_o_f32_e64 s5, v2, v2
	s_delay_alu instid0(VALU_DEP_1)
	v_cndmask_b32_e64 v20, 0x7fc0, v3, s5
	s_or_b32 exec_lo, exec_lo, s6
	s_and_saveexec_b32 s5, s4
	s_cbranch_execz .LBB255_51
.LBB255_102:
	s_wait_loadcnt 0x0
	v_dual_lshlrev_b32 v2, 16, v9 :: v_dual_lshlrev_b32 v3, 16, v20
	s_delay_alu instid0(VALU_DEP_1) | instskip(NEXT) | instid1(VALU_DEP_1)
	v_add_f32_e32 v2, v3, v2
	v_bfe_u32 v3, v2, 16, 1
	s_delay_alu instid0(VALU_DEP_1) | instskip(NEXT) | instid1(VALU_DEP_1)
	v_add3_u32 v3, v2, v3, 0x7fff
	v_lshrrev_b32_e32 v3, 16, v3
	v_cmp_o_f32_e64 s4, v2, v2
	s_delay_alu instid0(VALU_DEP_1)
	v_cndmask_b32_e64 v20, 0x7fc0, v3, s4
	s_or_b32 exec_lo, exec_lo, s5
	s_and_saveexec_b32 s4, s3
	s_cbranch_execz .LBB255_52
.LBB255_103:
	s_wait_loadcnt 0x0
	v_lshlrev_b32_e32 v2, 16, v8
	v_lshlrev_b32_e32 v3, 16, v20
	s_delay_alu instid0(VALU_DEP_1) | instskip(NEXT) | instid1(VALU_DEP_1)
	v_add_f32_e32 v2, v3, v2
	v_bfe_u32 v3, v2, 16, 1
	v_cmp_o_f32_e64 s3, v2, v2
	s_delay_alu instid0(VALU_DEP_2) | instskip(NEXT) | instid1(VALU_DEP_1)
	v_add3_u32 v3, v2, v3, 0x7fff
	v_lshrrev_b32_e32 v3, 16, v3
	s_delay_alu instid0(VALU_DEP_1)
	v_cndmask_b32_e64 v20, 0x7fc0, v3, s3
	s_or_b32 exec_lo, exec_lo, s4
	s_and_saveexec_b32 s3, s2
	s_cbranch_execz .LBB255_53
.LBB255_104:
	s_wait_loadcnt 0x0
	v_dual_lshlrev_b32 v2, 16, v7 :: v_dual_lshlrev_b32 v3, 16, v20
	s_delay_alu instid0(VALU_DEP_1) | instskip(NEXT) | instid1(VALU_DEP_1)
	v_add_f32_e32 v2, v3, v2
	v_bfe_u32 v3, v2, 16, 1
	s_delay_alu instid0(VALU_DEP_1) | instskip(NEXT) | instid1(VALU_DEP_1)
	v_add3_u32 v3, v2, v3, 0x7fff
	v_lshrrev_b32_e32 v3, 16, v3
	v_cmp_o_f32_e64 s2, v2, v2
	s_delay_alu instid0(VALU_DEP_1)
	v_cndmask_b32_e64 v20, 0x7fc0, v3, s2
	s_or_b32 exec_lo, exec_lo, s3
	s_and_saveexec_b32 s2, s1
	s_cbranch_execz .LBB255_54
.LBB255_105:
	s_wait_loadcnt 0x0
	v_dual_lshlrev_b32 v2, 16, v5 :: v_dual_lshlrev_b32 v3, 16, v20
	s_delay_alu instid0(VALU_DEP_1) | instskip(NEXT) | instid1(VALU_DEP_1)
	v_add_f32_e32 v2, v3, v2
	v_bfe_u32 v3, v2, 16, 1
	s_delay_alu instid0(VALU_DEP_1) | instskip(NEXT) | instid1(VALU_DEP_1)
	v_add3_u32 v3, v2, v3, 0x7fff
	v_lshrrev_b32_e32 v3, 16, v3
	v_cmp_o_f32_e64 s1, v2, v2
	s_delay_alu instid0(VALU_DEP_1)
	v_cndmask_b32_e64 v20, 0x7fc0, v3, s1
	s_or_b32 exec_lo, exec_lo, s2
	s_and_saveexec_b32 s1, s0
	s_cbranch_execz .LBB255_55
.LBB255_106:
	s_wait_loadcnt 0x0
	v_dual_lshlrev_b32 v1, 16, v1 :: v_dual_lshlrev_b32 v2, 16, v20
	s_delay_alu instid0(VALU_DEP_1) | instskip(NEXT) | instid1(VALU_DEP_1)
	v_add_f32_e32 v1, v2, v1
	v_bfe_u32 v2, v1, 16, 1
	s_delay_alu instid0(VALU_DEP_1) | instskip(NEXT) | instid1(VALU_DEP_1)
	v_add3_u32 v2, v1, v2, 0x7fff
	v_lshrrev_b32_e32 v2, 16, v2
	v_cmp_o_f32_e64 s0, v1, v1
	s_delay_alu instid0(VALU_DEP_1)
	v_cndmask_b32_e64 v20, 0x7fc0, v2, s0
	s_or_b32 exec_lo, exec_lo, s1
	s_and_saveexec_b32 s0, vcc_lo
	s_cbranch_execnz .LBB255_56
	s_branch .LBB255_57
.LBB255_107:
                                        ; implicit-def: $vgpr2
	s_cbranch_execz .LBB255_113
; %bb.108:
	s_delay_alu instid0(VALU_DEP_1) | instskip(SKIP_2) | instid1(VALU_DEP_2)
	v_mov_b32_dpp v2, v3 quad_perm:[1,0,3,2] row_mask:0xf bank_mask:0xf
	v_lshlrev_b32_e32 v3, 16, v7
	s_mov_b32 s0, exec_lo
	v_lshlrev_b32_e32 v2, 16, v2
	s_delay_alu instid0(VALU_DEP_1) | instskip(NEXT) | instid1(VALU_DEP_1)
	v_add_f32_e32 v2, v2, v3
	v_bfe_u32 v3, v2, 16, 1
	s_delay_alu instid0(VALU_DEP_1) | instskip(NEXT) | instid1(VALU_DEP_1)
	v_add3_u32 v3, v2, v3, 0x7fff
	v_lshrrev_b32_e32 v3, 16, v3
	v_cmp_o_f32_e32 vcc_lo, v2, v2
	s_delay_alu instid0(VALU_DEP_2) | instskip(NEXT) | instid1(VALU_DEP_1)
	v_cndmask_b32_e32 v2, 0x7fc0, v3, vcc_lo
	v_mov_b32_dpp v3, v2 quad_perm:[2,3,0,1] row_mask:0xf bank_mask:0xf
	s_delay_alu instid0(VALU_DEP_1) | instskip(NEXT) | instid1(VALU_DEP_1)
	v_dual_lshlrev_b32 v3, 16, v3 :: v_dual_lshlrev_b32 v2, 16, v2
	v_add_f32_e32 v2, v2, v3
	s_delay_alu instid0(VALU_DEP_1) | instskip(SKIP_1) | instid1(VALU_DEP_2)
	v_bfe_u32 v3, v2, 16, 1
	v_cmp_o_f32_e32 vcc_lo, v2, v2
	v_add3_u32 v3, v2, v3, 0x7fff
	s_delay_alu instid0(VALU_DEP_1) | instskip(NEXT) | instid1(VALU_DEP_1)
	v_lshrrev_b32_e32 v3, 16, v3
	v_cndmask_b32_e32 v2, 0x7fc0, v3, vcc_lo
	s_delay_alu instid0(VALU_DEP_1) | instskip(NEXT) | instid1(VALU_DEP_1)
	v_mov_b32_dpp v3, v2 row_ror:4 row_mask:0xf bank_mask:0xf
	v_dual_lshlrev_b32 v2, 16, v2 :: v_dual_lshlrev_b32 v3, 16, v3
	s_delay_alu instid0(VALU_DEP_1) | instskip(NEXT) | instid1(VALU_DEP_1)
	v_add_f32_e32 v2, v2, v3
	v_bfe_u32 v3, v2, 16, 1
	v_cmp_o_f32_e32 vcc_lo, v2, v2
	s_delay_alu instid0(VALU_DEP_2) | instskip(NEXT) | instid1(VALU_DEP_1)
	v_add3_u32 v3, v2, v3, 0x7fff
	v_lshrrev_b32_e32 v3, 16, v3
	s_delay_alu instid0(VALU_DEP_1) | instskip(NEXT) | instid1(VALU_DEP_1)
	v_cndmask_b32_e32 v2, 0x7fc0, v3, vcc_lo
	v_mov_b32_dpp v3, v2 row_ror:8 row_mask:0xf bank_mask:0xf
	s_delay_alu instid0(VALU_DEP_1) | instskip(NEXT) | instid1(VALU_DEP_1)
	v_dual_lshlrev_b32 v2, 16, v2 :: v_dual_lshlrev_b32 v3, 16, v3
	v_add_f32_e32 v2, v2, v3
	s_delay_alu instid0(VALU_DEP_1) | instskip(SKIP_1) | instid1(VALU_DEP_2)
	v_bfe_u32 v3, v2, 16, 1
	v_cmp_o_f32_e32 vcc_lo, v2, v2
	v_add3_u32 v3, v2, v3, 0x7fff
	s_delay_alu instid0(VALU_DEP_1) | instskip(NEXT) | instid1(VALU_DEP_1)
	v_lshrrev_b32_e32 v3, 16, v3
	v_cndmask_b32_e32 v2, 0x7fc0, v3, vcc_lo
	ds_swizzle_b32 v3, v2 offset:swizzle(BROADCAST,32,15)
	s_wait_dscnt 0x0
	v_dual_lshlrev_b32 v2, 16, v2 :: v_dual_lshlrev_b32 v3, 16, v3
	s_delay_alu instid0(VALU_DEP_1) | instskip(NEXT) | instid1(VALU_DEP_1)
	v_add_f32_e32 v2, v2, v3
	v_bfe_u32 v3, v2, 16, 1
	v_cmp_o_f32_e32 vcc_lo, v2, v2
	s_delay_alu instid0(VALU_DEP_2) | instskip(NEXT) | instid1(VALU_DEP_1)
	v_add3_u32 v3, v2, v3, 0x7fff
	v_lshrrev_b32_e32 v3, 16, v3
	s_delay_alu instid0(VALU_DEP_1)
	v_dual_cndmask_b32 v2, 0x7fc0, v3 :: v_dual_mov_b32 v3, 0
	ds_bpermute_b32 v2, v3, v2 offset:124
	v_cmpx_eq_u32_e32 0, v1
	s_cbranch_execz .LBB255_110
; %bb.109:
	v_lshrrev_b32_e32 v3, 4, v0
	s_delay_alu instid0(VALU_DEP_1)
	v_and_b32_e32 v3, 14, v3
	s_wait_dscnt 0x0
	ds_store_b16 v3, v2
.LBB255_110:
	s_or_b32 exec_lo, exec_lo, s0
	s_delay_alu instid0(SALU_CYCLE_1)
	s_mov_b32 s0, exec_lo
	s_wait_dscnt 0x0
	s_barrier_signal -1
	s_barrier_wait -1
	v_cmpx_gt_u32_e32 32, v0
	s_cbranch_execz .LBB255_112
; %bb.111:
	v_and_b32_e32 v2, 7, v1
	s_delay_alu instid0(VALU_DEP_1) | instskip(SKIP_1) | instid1(VALU_DEP_1)
	v_cmp_ne_u32_e32 vcc_lo, 7, v2
	v_add_co_ci_u32_e64 v4, null, 0, v1, vcc_lo
	v_dual_lshlrev_b32 v4, 2, v4 :: v_dual_lshlrev_b32 v3, 1, v2
	v_cmp_gt_u32_e32 vcc_lo, 6, v2
	ds_load_u16 v3, v3
	v_cndmask_b32_e64 v2, 0, 2, vcc_lo
	s_delay_alu instid0(VALU_DEP_1) | instskip(SKIP_1) | instid1(VALU_DEP_1)
	v_add_lshl_u32 v2, v2, v1, 2
	v_lshlrev_b32_e32 v1, 2, v1
	v_or_b32_e32 v1, 16, v1
	s_wait_dscnt 0x0
	ds_bpermute_b32 v4, v4, v3
	s_wait_dscnt 0x0
	v_dual_lshlrev_b32 v3, 16, v3 :: v_dual_lshlrev_b32 v4, 16, v4
	s_delay_alu instid0(VALU_DEP_1) | instskip(NEXT) | instid1(VALU_DEP_1)
	v_add_f32_e32 v3, v4, v3
	v_bfe_u32 v4, v3, 16, 1
	v_cmp_o_f32_e32 vcc_lo, v3, v3
	s_delay_alu instid0(VALU_DEP_2) | instskip(NEXT) | instid1(VALU_DEP_1)
	v_add3_u32 v4, v3, v4, 0x7fff
	v_lshrrev_b32_e32 v4, 16, v4
	s_delay_alu instid0(VALU_DEP_1) | instskip(SKIP_3) | instid1(VALU_DEP_1)
	v_cndmask_b32_e32 v3, 0x7fc0, v4, vcc_lo
	ds_bpermute_b32 v2, v2, v3
	s_wait_dscnt 0x0
	v_dual_lshlrev_b32 v3, 16, v3 :: v_dual_lshlrev_b32 v2, 16, v2
	v_add_f32_e32 v2, v3, v2
	s_delay_alu instid0(VALU_DEP_1) | instskip(NEXT) | instid1(VALU_DEP_1)
	v_bfe_u32 v3, v2, 16, 1
	v_add3_u32 v3, v2, v3, 0x7fff
	s_delay_alu instid0(VALU_DEP_1) | instskip(SKIP_1) | instid1(VALU_DEP_2)
	v_lshrrev_b32_e32 v3, 16, v3
	v_cmp_o_f32_e32 vcc_lo, v2, v2
	v_cndmask_b32_e32 v2, 0x7fc0, v3, vcc_lo
	ds_bpermute_b32 v1, v1, v2
	s_wait_dscnt 0x0
	v_dual_lshlrev_b32 v1, 16, v1 :: v_dual_lshlrev_b32 v2, 16, v2
	s_delay_alu instid0(VALU_DEP_1) | instskip(NEXT) | instid1(VALU_DEP_1)
	v_add_f32_e32 v1, v2, v1
	v_bfe_u32 v2, v1, 16, 1
	v_cmp_o_f32_e32 vcc_lo, v1, v1
	s_delay_alu instid0(VALU_DEP_2) | instskip(NEXT) | instid1(VALU_DEP_1)
	v_add3_u32 v2, v1, v2, 0x7fff
	v_lshrrev_b32_e32 v2, 16, v2
	s_delay_alu instid0(VALU_DEP_1)
	v_cndmask_b32_e32 v2, 0x7fc0, v2, vcc_lo
.LBB255_112:
	s_or_b32 exec_lo, exec_lo, s0
.LBB255_113:
	s_delay_alu instid0(SALU_CYCLE_1)
	s_mov_b32 s0, exec_lo
	v_cmpx_eq_u32_e32 0, v0
	s_cbranch_execz .LBB255_115
; %bb.114:
	s_wait_loadcnt 0x0
	v_lshlrev_b32_e32 v0, 16, v6
	v_lshlrev_b32_e32 v1, 16, v2
	s_or_b32 s15, s15, exec_lo
	s_delay_alu instid0(VALU_DEP_1) | instskip(NEXT) | instid1(VALU_DEP_1)
	v_add_f32_e32 v0, v1, v0
	v_bfe_u32 v1, v0, 16, 1
	v_cmp_o_f32_e32 vcc_lo, v0, v0
	s_delay_alu instid0(VALU_DEP_2) | instskip(NEXT) | instid1(VALU_DEP_1)
	v_add3_u32 v1, v0, v1, 0x7fff
	v_lshrrev_b32_e32 v1, 16, v1
	s_delay_alu instid0(VALU_DEP_1)
	v_cndmask_b32_e32 v6, 0x7fc0, v1, vcc_lo
.LBB255_115:
	s_or_b32 exec_lo, exec_lo, s0
	s_and_saveexec_b32 s0, s15
	s_cbranch_execz .LBB255_3
.LBB255_116:
	s_lshl_b64 s[0:1], s[20:21], 1
	v_mov_b32_e32 v0, 0
	s_add_nc_u64 s[0:1], s[18:19], s[0:1]
	s_lshl_b64 s[2:3], s[22:23], 1
	s_delay_alu instid0(SALU_CYCLE_1)
	s_add_nc_u64 s[0:1], s[0:1], s[2:3]
	s_wait_loadcnt 0x0
	global_store_b16 v0, v6, s[0:1]
	s_endpgm
	.section	.rodata,"a",@progbits
	.p2align	6, 0x0
	.amdhsa_kernel _ZN7rocprim17ROCPRIM_400000_NS6detail17trampoline_kernelINS0_14default_configENS1_32segmented_reduce_config_selectorIN3c108BFloat16EEEZNS1_21segmented_reduce_implIS3_PKS6_PS6_PKlS6_N6hipcub16HIPCUB_304000_NS6detail27convert_result_type_wrapperISA_SB_N2at6native12_GLOBAL__N_19CustomSumEEEEE10hipError_tPvRmT0_T1_jT2_SS_T4_T3_P12ihipStream_tbEUlT_E_NS1_11comp_targetILNS1_3genE0ELNS1_11target_archE4294967295ELNS1_3gpuE0ELNS1_3repE0EEENS1_30default_config_static_selectorELNS0_4arch9wavefront6targetE0EEEvSR_
		.amdhsa_group_segment_fixed_size 16
		.amdhsa_private_segment_fixed_size 0
		.amdhsa_kernarg_size 48
		.amdhsa_user_sgpr_count 2
		.amdhsa_user_sgpr_dispatch_ptr 0
		.amdhsa_user_sgpr_queue_ptr 0
		.amdhsa_user_sgpr_kernarg_segment_ptr 1
		.amdhsa_user_sgpr_dispatch_id 0
		.amdhsa_user_sgpr_kernarg_preload_length 0
		.amdhsa_user_sgpr_kernarg_preload_offset 0
		.amdhsa_user_sgpr_private_segment_size 0
		.amdhsa_wavefront_size32 1
		.amdhsa_uses_dynamic_stack 0
		.amdhsa_enable_private_segment 0
		.amdhsa_system_sgpr_workgroup_id_x 1
		.amdhsa_system_sgpr_workgroup_id_y 0
		.amdhsa_system_sgpr_workgroup_id_z 0
		.amdhsa_system_sgpr_workgroup_info 0
		.amdhsa_system_vgpr_workitem_id 0
		.amdhsa_next_free_vgpr 23
		.amdhsa_next_free_sgpr 32
		.amdhsa_named_barrier_count 0
		.amdhsa_reserve_vcc 1
		.amdhsa_float_round_mode_32 0
		.amdhsa_float_round_mode_16_64 0
		.amdhsa_float_denorm_mode_32 3
		.amdhsa_float_denorm_mode_16_64 3
		.amdhsa_fp16_overflow 0
		.amdhsa_memory_ordered 1
		.amdhsa_forward_progress 1
		.amdhsa_inst_pref_size 64
		.amdhsa_round_robin_scheduling 0
		.amdhsa_exception_fp_ieee_invalid_op 0
		.amdhsa_exception_fp_denorm_src 0
		.amdhsa_exception_fp_ieee_div_zero 0
		.amdhsa_exception_fp_ieee_overflow 0
		.amdhsa_exception_fp_ieee_underflow 0
		.amdhsa_exception_fp_ieee_inexact 0
		.amdhsa_exception_int_div_zero 0
	.end_amdhsa_kernel
	.section	.text._ZN7rocprim17ROCPRIM_400000_NS6detail17trampoline_kernelINS0_14default_configENS1_32segmented_reduce_config_selectorIN3c108BFloat16EEEZNS1_21segmented_reduce_implIS3_PKS6_PS6_PKlS6_N6hipcub16HIPCUB_304000_NS6detail27convert_result_type_wrapperISA_SB_N2at6native12_GLOBAL__N_19CustomSumEEEEE10hipError_tPvRmT0_T1_jT2_SS_T4_T3_P12ihipStream_tbEUlT_E_NS1_11comp_targetILNS1_3genE0ELNS1_11target_archE4294967295ELNS1_3gpuE0ELNS1_3repE0EEENS1_30default_config_static_selectorELNS0_4arch9wavefront6targetE0EEEvSR_,"axG",@progbits,_ZN7rocprim17ROCPRIM_400000_NS6detail17trampoline_kernelINS0_14default_configENS1_32segmented_reduce_config_selectorIN3c108BFloat16EEEZNS1_21segmented_reduce_implIS3_PKS6_PS6_PKlS6_N6hipcub16HIPCUB_304000_NS6detail27convert_result_type_wrapperISA_SB_N2at6native12_GLOBAL__N_19CustomSumEEEEE10hipError_tPvRmT0_T1_jT2_SS_T4_T3_P12ihipStream_tbEUlT_E_NS1_11comp_targetILNS1_3genE0ELNS1_11target_archE4294967295ELNS1_3gpuE0ELNS1_3repE0EEENS1_30default_config_static_selectorELNS0_4arch9wavefront6targetE0EEEvSR_,comdat
.Lfunc_end255:
	.size	_ZN7rocprim17ROCPRIM_400000_NS6detail17trampoline_kernelINS0_14default_configENS1_32segmented_reduce_config_selectorIN3c108BFloat16EEEZNS1_21segmented_reduce_implIS3_PKS6_PS6_PKlS6_N6hipcub16HIPCUB_304000_NS6detail27convert_result_type_wrapperISA_SB_N2at6native12_GLOBAL__N_19CustomSumEEEEE10hipError_tPvRmT0_T1_jT2_SS_T4_T3_P12ihipStream_tbEUlT_E_NS1_11comp_targetILNS1_3genE0ELNS1_11target_archE4294967295ELNS1_3gpuE0ELNS1_3repE0EEENS1_30default_config_static_selectorELNS0_4arch9wavefront6targetE0EEEvSR_, .Lfunc_end255-_ZN7rocprim17ROCPRIM_400000_NS6detail17trampoline_kernelINS0_14default_configENS1_32segmented_reduce_config_selectorIN3c108BFloat16EEEZNS1_21segmented_reduce_implIS3_PKS6_PS6_PKlS6_N6hipcub16HIPCUB_304000_NS6detail27convert_result_type_wrapperISA_SB_N2at6native12_GLOBAL__N_19CustomSumEEEEE10hipError_tPvRmT0_T1_jT2_SS_T4_T3_P12ihipStream_tbEUlT_E_NS1_11comp_targetILNS1_3genE0ELNS1_11target_archE4294967295ELNS1_3gpuE0ELNS1_3repE0EEENS1_30default_config_static_selectorELNS0_4arch9wavefront6targetE0EEEvSR_
                                        ; -- End function
	.set _ZN7rocprim17ROCPRIM_400000_NS6detail17trampoline_kernelINS0_14default_configENS1_32segmented_reduce_config_selectorIN3c108BFloat16EEEZNS1_21segmented_reduce_implIS3_PKS6_PS6_PKlS6_N6hipcub16HIPCUB_304000_NS6detail27convert_result_type_wrapperISA_SB_N2at6native12_GLOBAL__N_19CustomSumEEEEE10hipError_tPvRmT0_T1_jT2_SS_T4_T3_P12ihipStream_tbEUlT_E_NS1_11comp_targetILNS1_3genE0ELNS1_11target_archE4294967295ELNS1_3gpuE0ELNS1_3repE0EEENS1_30default_config_static_selectorELNS0_4arch9wavefront6targetE0EEEvSR_.num_vgpr, 23
	.set _ZN7rocprim17ROCPRIM_400000_NS6detail17trampoline_kernelINS0_14default_configENS1_32segmented_reduce_config_selectorIN3c108BFloat16EEEZNS1_21segmented_reduce_implIS3_PKS6_PS6_PKlS6_N6hipcub16HIPCUB_304000_NS6detail27convert_result_type_wrapperISA_SB_N2at6native12_GLOBAL__N_19CustomSumEEEEE10hipError_tPvRmT0_T1_jT2_SS_T4_T3_P12ihipStream_tbEUlT_E_NS1_11comp_targetILNS1_3genE0ELNS1_11target_archE4294967295ELNS1_3gpuE0ELNS1_3repE0EEENS1_30default_config_static_selectorELNS0_4arch9wavefront6targetE0EEEvSR_.num_agpr, 0
	.set _ZN7rocprim17ROCPRIM_400000_NS6detail17trampoline_kernelINS0_14default_configENS1_32segmented_reduce_config_selectorIN3c108BFloat16EEEZNS1_21segmented_reduce_implIS3_PKS6_PS6_PKlS6_N6hipcub16HIPCUB_304000_NS6detail27convert_result_type_wrapperISA_SB_N2at6native12_GLOBAL__N_19CustomSumEEEEE10hipError_tPvRmT0_T1_jT2_SS_T4_T3_P12ihipStream_tbEUlT_E_NS1_11comp_targetILNS1_3genE0ELNS1_11target_archE4294967295ELNS1_3gpuE0ELNS1_3repE0EEENS1_30default_config_static_selectorELNS0_4arch9wavefront6targetE0EEEvSR_.numbered_sgpr, 32
	.set _ZN7rocprim17ROCPRIM_400000_NS6detail17trampoline_kernelINS0_14default_configENS1_32segmented_reduce_config_selectorIN3c108BFloat16EEEZNS1_21segmented_reduce_implIS3_PKS6_PS6_PKlS6_N6hipcub16HIPCUB_304000_NS6detail27convert_result_type_wrapperISA_SB_N2at6native12_GLOBAL__N_19CustomSumEEEEE10hipError_tPvRmT0_T1_jT2_SS_T4_T3_P12ihipStream_tbEUlT_E_NS1_11comp_targetILNS1_3genE0ELNS1_11target_archE4294967295ELNS1_3gpuE0ELNS1_3repE0EEENS1_30default_config_static_selectorELNS0_4arch9wavefront6targetE0EEEvSR_.num_named_barrier, 0
	.set _ZN7rocprim17ROCPRIM_400000_NS6detail17trampoline_kernelINS0_14default_configENS1_32segmented_reduce_config_selectorIN3c108BFloat16EEEZNS1_21segmented_reduce_implIS3_PKS6_PS6_PKlS6_N6hipcub16HIPCUB_304000_NS6detail27convert_result_type_wrapperISA_SB_N2at6native12_GLOBAL__N_19CustomSumEEEEE10hipError_tPvRmT0_T1_jT2_SS_T4_T3_P12ihipStream_tbEUlT_E_NS1_11comp_targetILNS1_3genE0ELNS1_11target_archE4294967295ELNS1_3gpuE0ELNS1_3repE0EEENS1_30default_config_static_selectorELNS0_4arch9wavefront6targetE0EEEvSR_.private_seg_size, 0
	.set _ZN7rocprim17ROCPRIM_400000_NS6detail17trampoline_kernelINS0_14default_configENS1_32segmented_reduce_config_selectorIN3c108BFloat16EEEZNS1_21segmented_reduce_implIS3_PKS6_PS6_PKlS6_N6hipcub16HIPCUB_304000_NS6detail27convert_result_type_wrapperISA_SB_N2at6native12_GLOBAL__N_19CustomSumEEEEE10hipError_tPvRmT0_T1_jT2_SS_T4_T3_P12ihipStream_tbEUlT_E_NS1_11comp_targetILNS1_3genE0ELNS1_11target_archE4294967295ELNS1_3gpuE0ELNS1_3repE0EEENS1_30default_config_static_selectorELNS0_4arch9wavefront6targetE0EEEvSR_.uses_vcc, 1
	.set _ZN7rocprim17ROCPRIM_400000_NS6detail17trampoline_kernelINS0_14default_configENS1_32segmented_reduce_config_selectorIN3c108BFloat16EEEZNS1_21segmented_reduce_implIS3_PKS6_PS6_PKlS6_N6hipcub16HIPCUB_304000_NS6detail27convert_result_type_wrapperISA_SB_N2at6native12_GLOBAL__N_19CustomSumEEEEE10hipError_tPvRmT0_T1_jT2_SS_T4_T3_P12ihipStream_tbEUlT_E_NS1_11comp_targetILNS1_3genE0ELNS1_11target_archE4294967295ELNS1_3gpuE0ELNS1_3repE0EEENS1_30default_config_static_selectorELNS0_4arch9wavefront6targetE0EEEvSR_.uses_flat_scratch, 0
	.set _ZN7rocprim17ROCPRIM_400000_NS6detail17trampoline_kernelINS0_14default_configENS1_32segmented_reduce_config_selectorIN3c108BFloat16EEEZNS1_21segmented_reduce_implIS3_PKS6_PS6_PKlS6_N6hipcub16HIPCUB_304000_NS6detail27convert_result_type_wrapperISA_SB_N2at6native12_GLOBAL__N_19CustomSumEEEEE10hipError_tPvRmT0_T1_jT2_SS_T4_T3_P12ihipStream_tbEUlT_E_NS1_11comp_targetILNS1_3genE0ELNS1_11target_archE4294967295ELNS1_3gpuE0ELNS1_3repE0EEENS1_30default_config_static_selectorELNS0_4arch9wavefront6targetE0EEEvSR_.has_dyn_sized_stack, 0
	.set _ZN7rocprim17ROCPRIM_400000_NS6detail17trampoline_kernelINS0_14default_configENS1_32segmented_reduce_config_selectorIN3c108BFloat16EEEZNS1_21segmented_reduce_implIS3_PKS6_PS6_PKlS6_N6hipcub16HIPCUB_304000_NS6detail27convert_result_type_wrapperISA_SB_N2at6native12_GLOBAL__N_19CustomSumEEEEE10hipError_tPvRmT0_T1_jT2_SS_T4_T3_P12ihipStream_tbEUlT_E_NS1_11comp_targetILNS1_3genE0ELNS1_11target_archE4294967295ELNS1_3gpuE0ELNS1_3repE0EEENS1_30default_config_static_selectorELNS0_4arch9wavefront6targetE0EEEvSR_.has_recursion, 0
	.set _ZN7rocprim17ROCPRIM_400000_NS6detail17trampoline_kernelINS0_14default_configENS1_32segmented_reduce_config_selectorIN3c108BFloat16EEEZNS1_21segmented_reduce_implIS3_PKS6_PS6_PKlS6_N6hipcub16HIPCUB_304000_NS6detail27convert_result_type_wrapperISA_SB_N2at6native12_GLOBAL__N_19CustomSumEEEEE10hipError_tPvRmT0_T1_jT2_SS_T4_T3_P12ihipStream_tbEUlT_E_NS1_11comp_targetILNS1_3genE0ELNS1_11target_archE4294967295ELNS1_3gpuE0ELNS1_3repE0EEENS1_30default_config_static_selectorELNS0_4arch9wavefront6targetE0EEEvSR_.has_indirect_call, 0
	.section	.AMDGPU.csdata,"",@progbits
; Kernel info:
; codeLenInByte = 8172
; TotalNumSgprs: 34
; NumVgprs: 23
; ScratchSize: 0
; MemoryBound: 0
; FloatMode: 240
; IeeeMode: 1
; LDSByteSize: 16 bytes/workgroup (compile time only)
; SGPRBlocks: 0
; VGPRBlocks: 1
; NumSGPRsForWavesPerEU: 34
; NumVGPRsForWavesPerEU: 23
; NamedBarCnt: 0
; Occupancy: 16
; WaveLimiterHint : 1
; COMPUTE_PGM_RSRC2:SCRATCH_EN: 0
; COMPUTE_PGM_RSRC2:USER_SGPR: 2
; COMPUTE_PGM_RSRC2:TRAP_HANDLER: 0
; COMPUTE_PGM_RSRC2:TGID_X_EN: 1
; COMPUTE_PGM_RSRC2:TGID_Y_EN: 0
; COMPUTE_PGM_RSRC2:TGID_Z_EN: 0
; COMPUTE_PGM_RSRC2:TIDIG_COMP_CNT: 0
	.section	.text._ZN7rocprim17ROCPRIM_400000_NS6detail17trampoline_kernelINS0_14default_configENS1_32segmented_reduce_config_selectorIN3c108BFloat16EEEZNS1_21segmented_reduce_implIS3_PKS6_PS6_PKlS6_N6hipcub16HIPCUB_304000_NS6detail27convert_result_type_wrapperISA_SB_N2at6native12_GLOBAL__N_19CustomSumEEEEE10hipError_tPvRmT0_T1_jT2_SS_T4_T3_P12ihipStream_tbEUlT_E_NS1_11comp_targetILNS1_3genE5ELNS1_11target_archE942ELNS1_3gpuE9ELNS1_3repE0EEENS1_30default_config_static_selectorELNS0_4arch9wavefront6targetE0EEEvSR_,"axG",@progbits,_ZN7rocprim17ROCPRIM_400000_NS6detail17trampoline_kernelINS0_14default_configENS1_32segmented_reduce_config_selectorIN3c108BFloat16EEEZNS1_21segmented_reduce_implIS3_PKS6_PS6_PKlS6_N6hipcub16HIPCUB_304000_NS6detail27convert_result_type_wrapperISA_SB_N2at6native12_GLOBAL__N_19CustomSumEEEEE10hipError_tPvRmT0_T1_jT2_SS_T4_T3_P12ihipStream_tbEUlT_E_NS1_11comp_targetILNS1_3genE5ELNS1_11target_archE942ELNS1_3gpuE9ELNS1_3repE0EEENS1_30default_config_static_selectorELNS0_4arch9wavefront6targetE0EEEvSR_,comdat
	.globl	_ZN7rocprim17ROCPRIM_400000_NS6detail17trampoline_kernelINS0_14default_configENS1_32segmented_reduce_config_selectorIN3c108BFloat16EEEZNS1_21segmented_reduce_implIS3_PKS6_PS6_PKlS6_N6hipcub16HIPCUB_304000_NS6detail27convert_result_type_wrapperISA_SB_N2at6native12_GLOBAL__N_19CustomSumEEEEE10hipError_tPvRmT0_T1_jT2_SS_T4_T3_P12ihipStream_tbEUlT_E_NS1_11comp_targetILNS1_3genE5ELNS1_11target_archE942ELNS1_3gpuE9ELNS1_3repE0EEENS1_30default_config_static_selectorELNS0_4arch9wavefront6targetE0EEEvSR_ ; -- Begin function _ZN7rocprim17ROCPRIM_400000_NS6detail17trampoline_kernelINS0_14default_configENS1_32segmented_reduce_config_selectorIN3c108BFloat16EEEZNS1_21segmented_reduce_implIS3_PKS6_PS6_PKlS6_N6hipcub16HIPCUB_304000_NS6detail27convert_result_type_wrapperISA_SB_N2at6native12_GLOBAL__N_19CustomSumEEEEE10hipError_tPvRmT0_T1_jT2_SS_T4_T3_P12ihipStream_tbEUlT_E_NS1_11comp_targetILNS1_3genE5ELNS1_11target_archE942ELNS1_3gpuE9ELNS1_3repE0EEENS1_30default_config_static_selectorELNS0_4arch9wavefront6targetE0EEEvSR_
	.p2align	8
	.type	_ZN7rocprim17ROCPRIM_400000_NS6detail17trampoline_kernelINS0_14default_configENS1_32segmented_reduce_config_selectorIN3c108BFloat16EEEZNS1_21segmented_reduce_implIS3_PKS6_PS6_PKlS6_N6hipcub16HIPCUB_304000_NS6detail27convert_result_type_wrapperISA_SB_N2at6native12_GLOBAL__N_19CustomSumEEEEE10hipError_tPvRmT0_T1_jT2_SS_T4_T3_P12ihipStream_tbEUlT_E_NS1_11comp_targetILNS1_3genE5ELNS1_11target_archE942ELNS1_3gpuE9ELNS1_3repE0EEENS1_30default_config_static_selectorELNS0_4arch9wavefront6targetE0EEEvSR_,@function
_ZN7rocprim17ROCPRIM_400000_NS6detail17trampoline_kernelINS0_14default_configENS1_32segmented_reduce_config_selectorIN3c108BFloat16EEEZNS1_21segmented_reduce_implIS3_PKS6_PS6_PKlS6_N6hipcub16HIPCUB_304000_NS6detail27convert_result_type_wrapperISA_SB_N2at6native12_GLOBAL__N_19CustomSumEEEEE10hipError_tPvRmT0_T1_jT2_SS_T4_T3_P12ihipStream_tbEUlT_E_NS1_11comp_targetILNS1_3genE5ELNS1_11target_archE942ELNS1_3gpuE9ELNS1_3repE0EEENS1_30default_config_static_selectorELNS0_4arch9wavefront6targetE0EEEvSR_: ; @_ZN7rocprim17ROCPRIM_400000_NS6detail17trampoline_kernelINS0_14default_configENS1_32segmented_reduce_config_selectorIN3c108BFloat16EEEZNS1_21segmented_reduce_implIS3_PKS6_PS6_PKlS6_N6hipcub16HIPCUB_304000_NS6detail27convert_result_type_wrapperISA_SB_N2at6native12_GLOBAL__N_19CustomSumEEEEE10hipError_tPvRmT0_T1_jT2_SS_T4_T3_P12ihipStream_tbEUlT_E_NS1_11comp_targetILNS1_3genE5ELNS1_11target_archE942ELNS1_3gpuE9ELNS1_3repE0EEENS1_30default_config_static_selectorELNS0_4arch9wavefront6targetE0EEEvSR_
; %bb.0:
	.section	.rodata,"a",@progbits
	.p2align	6, 0x0
	.amdhsa_kernel _ZN7rocprim17ROCPRIM_400000_NS6detail17trampoline_kernelINS0_14default_configENS1_32segmented_reduce_config_selectorIN3c108BFloat16EEEZNS1_21segmented_reduce_implIS3_PKS6_PS6_PKlS6_N6hipcub16HIPCUB_304000_NS6detail27convert_result_type_wrapperISA_SB_N2at6native12_GLOBAL__N_19CustomSumEEEEE10hipError_tPvRmT0_T1_jT2_SS_T4_T3_P12ihipStream_tbEUlT_E_NS1_11comp_targetILNS1_3genE5ELNS1_11target_archE942ELNS1_3gpuE9ELNS1_3repE0EEENS1_30default_config_static_selectorELNS0_4arch9wavefront6targetE0EEEvSR_
		.amdhsa_group_segment_fixed_size 0
		.amdhsa_private_segment_fixed_size 0
		.amdhsa_kernarg_size 48
		.amdhsa_user_sgpr_count 2
		.amdhsa_user_sgpr_dispatch_ptr 0
		.amdhsa_user_sgpr_queue_ptr 0
		.amdhsa_user_sgpr_kernarg_segment_ptr 1
		.amdhsa_user_sgpr_dispatch_id 0
		.amdhsa_user_sgpr_kernarg_preload_length 0
		.amdhsa_user_sgpr_kernarg_preload_offset 0
		.amdhsa_user_sgpr_private_segment_size 0
		.amdhsa_wavefront_size32 1
		.amdhsa_uses_dynamic_stack 0
		.amdhsa_enable_private_segment 0
		.amdhsa_system_sgpr_workgroup_id_x 1
		.amdhsa_system_sgpr_workgroup_id_y 0
		.amdhsa_system_sgpr_workgroup_id_z 0
		.amdhsa_system_sgpr_workgroup_info 0
		.amdhsa_system_vgpr_workitem_id 0
		.amdhsa_next_free_vgpr 1
		.amdhsa_next_free_sgpr 1
		.amdhsa_named_barrier_count 0
		.amdhsa_reserve_vcc 0
		.amdhsa_float_round_mode_32 0
		.amdhsa_float_round_mode_16_64 0
		.amdhsa_float_denorm_mode_32 3
		.amdhsa_float_denorm_mode_16_64 3
		.amdhsa_fp16_overflow 0
		.amdhsa_memory_ordered 1
		.amdhsa_forward_progress 1
		.amdhsa_inst_pref_size 0
		.amdhsa_round_robin_scheduling 0
		.amdhsa_exception_fp_ieee_invalid_op 0
		.amdhsa_exception_fp_denorm_src 0
		.amdhsa_exception_fp_ieee_div_zero 0
		.amdhsa_exception_fp_ieee_overflow 0
		.amdhsa_exception_fp_ieee_underflow 0
		.amdhsa_exception_fp_ieee_inexact 0
		.amdhsa_exception_int_div_zero 0
	.end_amdhsa_kernel
	.section	.text._ZN7rocprim17ROCPRIM_400000_NS6detail17trampoline_kernelINS0_14default_configENS1_32segmented_reduce_config_selectorIN3c108BFloat16EEEZNS1_21segmented_reduce_implIS3_PKS6_PS6_PKlS6_N6hipcub16HIPCUB_304000_NS6detail27convert_result_type_wrapperISA_SB_N2at6native12_GLOBAL__N_19CustomSumEEEEE10hipError_tPvRmT0_T1_jT2_SS_T4_T3_P12ihipStream_tbEUlT_E_NS1_11comp_targetILNS1_3genE5ELNS1_11target_archE942ELNS1_3gpuE9ELNS1_3repE0EEENS1_30default_config_static_selectorELNS0_4arch9wavefront6targetE0EEEvSR_,"axG",@progbits,_ZN7rocprim17ROCPRIM_400000_NS6detail17trampoline_kernelINS0_14default_configENS1_32segmented_reduce_config_selectorIN3c108BFloat16EEEZNS1_21segmented_reduce_implIS3_PKS6_PS6_PKlS6_N6hipcub16HIPCUB_304000_NS6detail27convert_result_type_wrapperISA_SB_N2at6native12_GLOBAL__N_19CustomSumEEEEE10hipError_tPvRmT0_T1_jT2_SS_T4_T3_P12ihipStream_tbEUlT_E_NS1_11comp_targetILNS1_3genE5ELNS1_11target_archE942ELNS1_3gpuE9ELNS1_3repE0EEENS1_30default_config_static_selectorELNS0_4arch9wavefront6targetE0EEEvSR_,comdat
.Lfunc_end256:
	.size	_ZN7rocprim17ROCPRIM_400000_NS6detail17trampoline_kernelINS0_14default_configENS1_32segmented_reduce_config_selectorIN3c108BFloat16EEEZNS1_21segmented_reduce_implIS3_PKS6_PS6_PKlS6_N6hipcub16HIPCUB_304000_NS6detail27convert_result_type_wrapperISA_SB_N2at6native12_GLOBAL__N_19CustomSumEEEEE10hipError_tPvRmT0_T1_jT2_SS_T4_T3_P12ihipStream_tbEUlT_E_NS1_11comp_targetILNS1_3genE5ELNS1_11target_archE942ELNS1_3gpuE9ELNS1_3repE0EEENS1_30default_config_static_selectorELNS0_4arch9wavefront6targetE0EEEvSR_, .Lfunc_end256-_ZN7rocprim17ROCPRIM_400000_NS6detail17trampoline_kernelINS0_14default_configENS1_32segmented_reduce_config_selectorIN3c108BFloat16EEEZNS1_21segmented_reduce_implIS3_PKS6_PS6_PKlS6_N6hipcub16HIPCUB_304000_NS6detail27convert_result_type_wrapperISA_SB_N2at6native12_GLOBAL__N_19CustomSumEEEEE10hipError_tPvRmT0_T1_jT2_SS_T4_T3_P12ihipStream_tbEUlT_E_NS1_11comp_targetILNS1_3genE5ELNS1_11target_archE942ELNS1_3gpuE9ELNS1_3repE0EEENS1_30default_config_static_selectorELNS0_4arch9wavefront6targetE0EEEvSR_
                                        ; -- End function
	.set _ZN7rocprim17ROCPRIM_400000_NS6detail17trampoline_kernelINS0_14default_configENS1_32segmented_reduce_config_selectorIN3c108BFloat16EEEZNS1_21segmented_reduce_implIS3_PKS6_PS6_PKlS6_N6hipcub16HIPCUB_304000_NS6detail27convert_result_type_wrapperISA_SB_N2at6native12_GLOBAL__N_19CustomSumEEEEE10hipError_tPvRmT0_T1_jT2_SS_T4_T3_P12ihipStream_tbEUlT_E_NS1_11comp_targetILNS1_3genE5ELNS1_11target_archE942ELNS1_3gpuE9ELNS1_3repE0EEENS1_30default_config_static_selectorELNS0_4arch9wavefront6targetE0EEEvSR_.num_vgpr, 0
	.set _ZN7rocprim17ROCPRIM_400000_NS6detail17trampoline_kernelINS0_14default_configENS1_32segmented_reduce_config_selectorIN3c108BFloat16EEEZNS1_21segmented_reduce_implIS3_PKS6_PS6_PKlS6_N6hipcub16HIPCUB_304000_NS6detail27convert_result_type_wrapperISA_SB_N2at6native12_GLOBAL__N_19CustomSumEEEEE10hipError_tPvRmT0_T1_jT2_SS_T4_T3_P12ihipStream_tbEUlT_E_NS1_11comp_targetILNS1_3genE5ELNS1_11target_archE942ELNS1_3gpuE9ELNS1_3repE0EEENS1_30default_config_static_selectorELNS0_4arch9wavefront6targetE0EEEvSR_.num_agpr, 0
	.set _ZN7rocprim17ROCPRIM_400000_NS6detail17trampoline_kernelINS0_14default_configENS1_32segmented_reduce_config_selectorIN3c108BFloat16EEEZNS1_21segmented_reduce_implIS3_PKS6_PS6_PKlS6_N6hipcub16HIPCUB_304000_NS6detail27convert_result_type_wrapperISA_SB_N2at6native12_GLOBAL__N_19CustomSumEEEEE10hipError_tPvRmT0_T1_jT2_SS_T4_T3_P12ihipStream_tbEUlT_E_NS1_11comp_targetILNS1_3genE5ELNS1_11target_archE942ELNS1_3gpuE9ELNS1_3repE0EEENS1_30default_config_static_selectorELNS0_4arch9wavefront6targetE0EEEvSR_.numbered_sgpr, 0
	.set _ZN7rocprim17ROCPRIM_400000_NS6detail17trampoline_kernelINS0_14default_configENS1_32segmented_reduce_config_selectorIN3c108BFloat16EEEZNS1_21segmented_reduce_implIS3_PKS6_PS6_PKlS6_N6hipcub16HIPCUB_304000_NS6detail27convert_result_type_wrapperISA_SB_N2at6native12_GLOBAL__N_19CustomSumEEEEE10hipError_tPvRmT0_T1_jT2_SS_T4_T3_P12ihipStream_tbEUlT_E_NS1_11comp_targetILNS1_3genE5ELNS1_11target_archE942ELNS1_3gpuE9ELNS1_3repE0EEENS1_30default_config_static_selectorELNS0_4arch9wavefront6targetE0EEEvSR_.num_named_barrier, 0
	.set _ZN7rocprim17ROCPRIM_400000_NS6detail17trampoline_kernelINS0_14default_configENS1_32segmented_reduce_config_selectorIN3c108BFloat16EEEZNS1_21segmented_reduce_implIS3_PKS6_PS6_PKlS6_N6hipcub16HIPCUB_304000_NS6detail27convert_result_type_wrapperISA_SB_N2at6native12_GLOBAL__N_19CustomSumEEEEE10hipError_tPvRmT0_T1_jT2_SS_T4_T3_P12ihipStream_tbEUlT_E_NS1_11comp_targetILNS1_3genE5ELNS1_11target_archE942ELNS1_3gpuE9ELNS1_3repE0EEENS1_30default_config_static_selectorELNS0_4arch9wavefront6targetE0EEEvSR_.private_seg_size, 0
	.set _ZN7rocprim17ROCPRIM_400000_NS6detail17trampoline_kernelINS0_14default_configENS1_32segmented_reduce_config_selectorIN3c108BFloat16EEEZNS1_21segmented_reduce_implIS3_PKS6_PS6_PKlS6_N6hipcub16HIPCUB_304000_NS6detail27convert_result_type_wrapperISA_SB_N2at6native12_GLOBAL__N_19CustomSumEEEEE10hipError_tPvRmT0_T1_jT2_SS_T4_T3_P12ihipStream_tbEUlT_E_NS1_11comp_targetILNS1_3genE5ELNS1_11target_archE942ELNS1_3gpuE9ELNS1_3repE0EEENS1_30default_config_static_selectorELNS0_4arch9wavefront6targetE0EEEvSR_.uses_vcc, 0
	.set _ZN7rocprim17ROCPRIM_400000_NS6detail17trampoline_kernelINS0_14default_configENS1_32segmented_reduce_config_selectorIN3c108BFloat16EEEZNS1_21segmented_reduce_implIS3_PKS6_PS6_PKlS6_N6hipcub16HIPCUB_304000_NS6detail27convert_result_type_wrapperISA_SB_N2at6native12_GLOBAL__N_19CustomSumEEEEE10hipError_tPvRmT0_T1_jT2_SS_T4_T3_P12ihipStream_tbEUlT_E_NS1_11comp_targetILNS1_3genE5ELNS1_11target_archE942ELNS1_3gpuE9ELNS1_3repE0EEENS1_30default_config_static_selectorELNS0_4arch9wavefront6targetE0EEEvSR_.uses_flat_scratch, 0
	.set _ZN7rocprim17ROCPRIM_400000_NS6detail17trampoline_kernelINS0_14default_configENS1_32segmented_reduce_config_selectorIN3c108BFloat16EEEZNS1_21segmented_reduce_implIS3_PKS6_PS6_PKlS6_N6hipcub16HIPCUB_304000_NS6detail27convert_result_type_wrapperISA_SB_N2at6native12_GLOBAL__N_19CustomSumEEEEE10hipError_tPvRmT0_T1_jT2_SS_T4_T3_P12ihipStream_tbEUlT_E_NS1_11comp_targetILNS1_3genE5ELNS1_11target_archE942ELNS1_3gpuE9ELNS1_3repE0EEENS1_30default_config_static_selectorELNS0_4arch9wavefront6targetE0EEEvSR_.has_dyn_sized_stack, 0
	.set _ZN7rocprim17ROCPRIM_400000_NS6detail17trampoline_kernelINS0_14default_configENS1_32segmented_reduce_config_selectorIN3c108BFloat16EEEZNS1_21segmented_reduce_implIS3_PKS6_PS6_PKlS6_N6hipcub16HIPCUB_304000_NS6detail27convert_result_type_wrapperISA_SB_N2at6native12_GLOBAL__N_19CustomSumEEEEE10hipError_tPvRmT0_T1_jT2_SS_T4_T3_P12ihipStream_tbEUlT_E_NS1_11comp_targetILNS1_3genE5ELNS1_11target_archE942ELNS1_3gpuE9ELNS1_3repE0EEENS1_30default_config_static_selectorELNS0_4arch9wavefront6targetE0EEEvSR_.has_recursion, 0
	.set _ZN7rocprim17ROCPRIM_400000_NS6detail17trampoline_kernelINS0_14default_configENS1_32segmented_reduce_config_selectorIN3c108BFloat16EEEZNS1_21segmented_reduce_implIS3_PKS6_PS6_PKlS6_N6hipcub16HIPCUB_304000_NS6detail27convert_result_type_wrapperISA_SB_N2at6native12_GLOBAL__N_19CustomSumEEEEE10hipError_tPvRmT0_T1_jT2_SS_T4_T3_P12ihipStream_tbEUlT_E_NS1_11comp_targetILNS1_3genE5ELNS1_11target_archE942ELNS1_3gpuE9ELNS1_3repE0EEENS1_30default_config_static_selectorELNS0_4arch9wavefront6targetE0EEEvSR_.has_indirect_call, 0
	.section	.AMDGPU.csdata,"",@progbits
; Kernel info:
; codeLenInByte = 0
; TotalNumSgprs: 0
; NumVgprs: 0
; ScratchSize: 0
; MemoryBound: 0
; FloatMode: 240
; IeeeMode: 1
; LDSByteSize: 0 bytes/workgroup (compile time only)
; SGPRBlocks: 0
; VGPRBlocks: 0
; NumSGPRsForWavesPerEU: 1
; NumVGPRsForWavesPerEU: 1
; NamedBarCnt: 0
; Occupancy: 16
; WaveLimiterHint : 0
; COMPUTE_PGM_RSRC2:SCRATCH_EN: 0
; COMPUTE_PGM_RSRC2:USER_SGPR: 2
; COMPUTE_PGM_RSRC2:TRAP_HANDLER: 0
; COMPUTE_PGM_RSRC2:TGID_X_EN: 1
; COMPUTE_PGM_RSRC2:TGID_Y_EN: 0
; COMPUTE_PGM_RSRC2:TGID_Z_EN: 0
; COMPUTE_PGM_RSRC2:TIDIG_COMP_CNT: 0
	.section	.text._ZN7rocprim17ROCPRIM_400000_NS6detail17trampoline_kernelINS0_14default_configENS1_32segmented_reduce_config_selectorIN3c108BFloat16EEEZNS1_21segmented_reduce_implIS3_PKS6_PS6_PKlS6_N6hipcub16HIPCUB_304000_NS6detail27convert_result_type_wrapperISA_SB_N2at6native12_GLOBAL__N_19CustomSumEEEEE10hipError_tPvRmT0_T1_jT2_SS_T4_T3_P12ihipStream_tbEUlT_E_NS1_11comp_targetILNS1_3genE10ELNS1_11target_archE1201ELNS1_3gpuE5ELNS1_3repE0EEENS1_30default_config_static_selectorELNS0_4arch9wavefront6targetE0EEEvSR_,"axG",@progbits,_ZN7rocprim17ROCPRIM_400000_NS6detail17trampoline_kernelINS0_14default_configENS1_32segmented_reduce_config_selectorIN3c108BFloat16EEEZNS1_21segmented_reduce_implIS3_PKS6_PS6_PKlS6_N6hipcub16HIPCUB_304000_NS6detail27convert_result_type_wrapperISA_SB_N2at6native12_GLOBAL__N_19CustomSumEEEEE10hipError_tPvRmT0_T1_jT2_SS_T4_T3_P12ihipStream_tbEUlT_E_NS1_11comp_targetILNS1_3genE10ELNS1_11target_archE1201ELNS1_3gpuE5ELNS1_3repE0EEENS1_30default_config_static_selectorELNS0_4arch9wavefront6targetE0EEEvSR_,comdat
	.globl	_ZN7rocprim17ROCPRIM_400000_NS6detail17trampoline_kernelINS0_14default_configENS1_32segmented_reduce_config_selectorIN3c108BFloat16EEEZNS1_21segmented_reduce_implIS3_PKS6_PS6_PKlS6_N6hipcub16HIPCUB_304000_NS6detail27convert_result_type_wrapperISA_SB_N2at6native12_GLOBAL__N_19CustomSumEEEEE10hipError_tPvRmT0_T1_jT2_SS_T4_T3_P12ihipStream_tbEUlT_E_NS1_11comp_targetILNS1_3genE10ELNS1_11target_archE1201ELNS1_3gpuE5ELNS1_3repE0EEENS1_30default_config_static_selectorELNS0_4arch9wavefront6targetE0EEEvSR_ ; -- Begin function _ZN7rocprim17ROCPRIM_400000_NS6detail17trampoline_kernelINS0_14default_configENS1_32segmented_reduce_config_selectorIN3c108BFloat16EEEZNS1_21segmented_reduce_implIS3_PKS6_PS6_PKlS6_N6hipcub16HIPCUB_304000_NS6detail27convert_result_type_wrapperISA_SB_N2at6native12_GLOBAL__N_19CustomSumEEEEE10hipError_tPvRmT0_T1_jT2_SS_T4_T3_P12ihipStream_tbEUlT_E_NS1_11comp_targetILNS1_3genE10ELNS1_11target_archE1201ELNS1_3gpuE5ELNS1_3repE0EEENS1_30default_config_static_selectorELNS0_4arch9wavefront6targetE0EEEvSR_
	.p2align	8
	.type	_ZN7rocprim17ROCPRIM_400000_NS6detail17trampoline_kernelINS0_14default_configENS1_32segmented_reduce_config_selectorIN3c108BFloat16EEEZNS1_21segmented_reduce_implIS3_PKS6_PS6_PKlS6_N6hipcub16HIPCUB_304000_NS6detail27convert_result_type_wrapperISA_SB_N2at6native12_GLOBAL__N_19CustomSumEEEEE10hipError_tPvRmT0_T1_jT2_SS_T4_T3_P12ihipStream_tbEUlT_E_NS1_11comp_targetILNS1_3genE10ELNS1_11target_archE1201ELNS1_3gpuE5ELNS1_3repE0EEENS1_30default_config_static_selectorELNS0_4arch9wavefront6targetE0EEEvSR_,@function
_ZN7rocprim17ROCPRIM_400000_NS6detail17trampoline_kernelINS0_14default_configENS1_32segmented_reduce_config_selectorIN3c108BFloat16EEEZNS1_21segmented_reduce_implIS3_PKS6_PS6_PKlS6_N6hipcub16HIPCUB_304000_NS6detail27convert_result_type_wrapperISA_SB_N2at6native12_GLOBAL__N_19CustomSumEEEEE10hipError_tPvRmT0_T1_jT2_SS_T4_T3_P12ihipStream_tbEUlT_E_NS1_11comp_targetILNS1_3genE10ELNS1_11target_archE1201ELNS1_3gpuE5ELNS1_3repE0EEENS1_30default_config_static_selectorELNS0_4arch9wavefront6targetE0EEEvSR_: ; @_ZN7rocprim17ROCPRIM_400000_NS6detail17trampoline_kernelINS0_14default_configENS1_32segmented_reduce_config_selectorIN3c108BFloat16EEEZNS1_21segmented_reduce_implIS3_PKS6_PS6_PKlS6_N6hipcub16HIPCUB_304000_NS6detail27convert_result_type_wrapperISA_SB_N2at6native12_GLOBAL__N_19CustomSumEEEEE10hipError_tPvRmT0_T1_jT2_SS_T4_T3_P12ihipStream_tbEUlT_E_NS1_11comp_targetILNS1_3genE10ELNS1_11target_archE1201ELNS1_3gpuE5ELNS1_3repE0EEENS1_30default_config_static_selectorELNS0_4arch9wavefront6targetE0EEEvSR_
; %bb.0:
	.section	.rodata,"a",@progbits
	.p2align	6, 0x0
	.amdhsa_kernel _ZN7rocprim17ROCPRIM_400000_NS6detail17trampoline_kernelINS0_14default_configENS1_32segmented_reduce_config_selectorIN3c108BFloat16EEEZNS1_21segmented_reduce_implIS3_PKS6_PS6_PKlS6_N6hipcub16HIPCUB_304000_NS6detail27convert_result_type_wrapperISA_SB_N2at6native12_GLOBAL__N_19CustomSumEEEEE10hipError_tPvRmT0_T1_jT2_SS_T4_T3_P12ihipStream_tbEUlT_E_NS1_11comp_targetILNS1_3genE10ELNS1_11target_archE1201ELNS1_3gpuE5ELNS1_3repE0EEENS1_30default_config_static_selectorELNS0_4arch9wavefront6targetE0EEEvSR_
		.amdhsa_group_segment_fixed_size 0
		.amdhsa_private_segment_fixed_size 0
		.amdhsa_kernarg_size 48
		.amdhsa_user_sgpr_count 2
		.amdhsa_user_sgpr_dispatch_ptr 0
		.amdhsa_user_sgpr_queue_ptr 0
		.amdhsa_user_sgpr_kernarg_segment_ptr 1
		.amdhsa_user_sgpr_dispatch_id 0
		.amdhsa_user_sgpr_kernarg_preload_length 0
		.amdhsa_user_sgpr_kernarg_preload_offset 0
		.amdhsa_user_sgpr_private_segment_size 0
		.amdhsa_wavefront_size32 1
		.amdhsa_uses_dynamic_stack 0
		.amdhsa_enable_private_segment 0
		.amdhsa_system_sgpr_workgroup_id_x 1
		.amdhsa_system_sgpr_workgroup_id_y 0
		.amdhsa_system_sgpr_workgroup_id_z 0
		.amdhsa_system_sgpr_workgroup_info 0
		.amdhsa_system_vgpr_workitem_id 0
		.amdhsa_next_free_vgpr 1
		.amdhsa_next_free_sgpr 1
		.amdhsa_named_barrier_count 0
		.amdhsa_reserve_vcc 0
		.amdhsa_float_round_mode_32 0
		.amdhsa_float_round_mode_16_64 0
		.amdhsa_float_denorm_mode_32 3
		.amdhsa_float_denorm_mode_16_64 3
		.amdhsa_fp16_overflow 0
		.amdhsa_memory_ordered 1
		.amdhsa_forward_progress 1
		.amdhsa_inst_pref_size 0
		.amdhsa_round_robin_scheduling 0
		.amdhsa_exception_fp_ieee_invalid_op 0
		.amdhsa_exception_fp_denorm_src 0
		.amdhsa_exception_fp_ieee_div_zero 0
		.amdhsa_exception_fp_ieee_overflow 0
		.amdhsa_exception_fp_ieee_underflow 0
		.amdhsa_exception_fp_ieee_inexact 0
		.amdhsa_exception_int_div_zero 0
	.end_amdhsa_kernel
	.section	.text._ZN7rocprim17ROCPRIM_400000_NS6detail17trampoline_kernelINS0_14default_configENS1_32segmented_reduce_config_selectorIN3c108BFloat16EEEZNS1_21segmented_reduce_implIS3_PKS6_PS6_PKlS6_N6hipcub16HIPCUB_304000_NS6detail27convert_result_type_wrapperISA_SB_N2at6native12_GLOBAL__N_19CustomSumEEEEE10hipError_tPvRmT0_T1_jT2_SS_T4_T3_P12ihipStream_tbEUlT_E_NS1_11comp_targetILNS1_3genE10ELNS1_11target_archE1201ELNS1_3gpuE5ELNS1_3repE0EEENS1_30default_config_static_selectorELNS0_4arch9wavefront6targetE0EEEvSR_,"axG",@progbits,_ZN7rocprim17ROCPRIM_400000_NS6detail17trampoline_kernelINS0_14default_configENS1_32segmented_reduce_config_selectorIN3c108BFloat16EEEZNS1_21segmented_reduce_implIS3_PKS6_PS6_PKlS6_N6hipcub16HIPCUB_304000_NS6detail27convert_result_type_wrapperISA_SB_N2at6native12_GLOBAL__N_19CustomSumEEEEE10hipError_tPvRmT0_T1_jT2_SS_T4_T3_P12ihipStream_tbEUlT_E_NS1_11comp_targetILNS1_3genE10ELNS1_11target_archE1201ELNS1_3gpuE5ELNS1_3repE0EEENS1_30default_config_static_selectorELNS0_4arch9wavefront6targetE0EEEvSR_,comdat
.Lfunc_end257:
	.size	_ZN7rocprim17ROCPRIM_400000_NS6detail17trampoline_kernelINS0_14default_configENS1_32segmented_reduce_config_selectorIN3c108BFloat16EEEZNS1_21segmented_reduce_implIS3_PKS6_PS6_PKlS6_N6hipcub16HIPCUB_304000_NS6detail27convert_result_type_wrapperISA_SB_N2at6native12_GLOBAL__N_19CustomSumEEEEE10hipError_tPvRmT0_T1_jT2_SS_T4_T3_P12ihipStream_tbEUlT_E_NS1_11comp_targetILNS1_3genE10ELNS1_11target_archE1201ELNS1_3gpuE5ELNS1_3repE0EEENS1_30default_config_static_selectorELNS0_4arch9wavefront6targetE0EEEvSR_, .Lfunc_end257-_ZN7rocprim17ROCPRIM_400000_NS6detail17trampoline_kernelINS0_14default_configENS1_32segmented_reduce_config_selectorIN3c108BFloat16EEEZNS1_21segmented_reduce_implIS3_PKS6_PS6_PKlS6_N6hipcub16HIPCUB_304000_NS6detail27convert_result_type_wrapperISA_SB_N2at6native12_GLOBAL__N_19CustomSumEEEEE10hipError_tPvRmT0_T1_jT2_SS_T4_T3_P12ihipStream_tbEUlT_E_NS1_11comp_targetILNS1_3genE10ELNS1_11target_archE1201ELNS1_3gpuE5ELNS1_3repE0EEENS1_30default_config_static_selectorELNS0_4arch9wavefront6targetE0EEEvSR_
                                        ; -- End function
	.set _ZN7rocprim17ROCPRIM_400000_NS6detail17trampoline_kernelINS0_14default_configENS1_32segmented_reduce_config_selectorIN3c108BFloat16EEEZNS1_21segmented_reduce_implIS3_PKS6_PS6_PKlS6_N6hipcub16HIPCUB_304000_NS6detail27convert_result_type_wrapperISA_SB_N2at6native12_GLOBAL__N_19CustomSumEEEEE10hipError_tPvRmT0_T1_jT2_SS_T4_T3_P12ihipStream_tbEUlT_E_NS1_11comp_targetILNS1_3genE10ELNS1_11target_archE1201ELNS1_3gpuE5ELNS1_3repE0EEENS1_30default_config_static_selectorELNS0_4arch9wavefront6targetE0EEEvSR_.num_vgpr, 0
	.set _ZN7rocprim17ROCPRIM_400000_NS6detail17trampoline_kernelINS0_14default_configENS1_32segmented_reduce_config_selectorIN3c108BFloat16EEEZNS1_21segmented_reduce_implIS3_PKS6_PS6_PKlS6_N6hipcub16HIPCUB_304000_NS6detail27convert_result_type_wrapperISA_SB_N2at6native12_GLOBAL__N_19CustomSumEEEEE10hipError_tPvRmT0_T1_jT2_SS_T4_T3_P12ihipStream_tbEUlT_E_NS1_11comp_targetILNS1_3genE10ELNS1_11target_archE1201ELNS1_3gpuE5ELNS1_3repE0EEENS1_30default_config_static_selectorELNS0_4arch9wavefront6targetE0EEEvSR_.num_agpr, 0
	.set _ZN7rocprim17ROCPRIM_400000_NS6detail17trampoline_kernelINS0_14default_configENS1_32segmented_reduce_config_selectorIN3c108BFloat16EEEZNS1_21segmented_reduce_implIS3_PKS6_PS6_PKlS6_N6hipcub16HIPCUB_304000_NS6detail27convert_result_type_wrapperISA_SB_N2at6native12_GLOBAL__N_19CustomSumEEEEE10hipError_tPvRmT0_T1_jT2_SS_T4_T3_P12ihipStream_tbEUlT_E_NS1_11comp_targetILNS1_3genE10ELNS1_11target_archE1201ELNS1_3gpuE5ELNS1_3repE0EEENS1_30default_config_static_selectorELNS0_4arch9wavefront6targetE0EEEvSR_.numbered_sgpr, 0
	.set _ZN7rocprim17ROCPRIM_400000_NS6detail17trampoline_kernelINS0_14default_configENS1_32segmented_reduce_config_selectorIN3c108BFloat16EEEZNS1_21segmented_reduce_implIS3_PKS6_PS6_PKlS6_N6hipcub16HIPCUB_304000_NS6detail27convert_result_type_wrapperISA_SB_N2at6native12_GLOBAL__N_19CustomSumEEEEE10hipError_tPvRmT0_T1_jT2_SS_T4_T3_P12ihipStream_tbEUlT_E_NS1_11comp_targetILNS1_3genE10ELNS1_11target_archE1201ELNS1_3gpuE5ELNS1_3repE0EEENS1_30default_config_static_selectorELNS0_4arch9wavefront6targetE0EEEvSR_.num_named_barrier, 0
	.set _ZN7rocprim17ROCPRIM_400000_NS6detail17trampoline_kernelINS0_14default_configENS1_32segmented_reduce_config_selectorIN3c108BFloat16EEEZNS1_21segmented_reduce_implIS3_PKS6_PS6_PKlS6_N6hipcub16HIPCUB_304000_NS6detail27convert_result_type_wrapperISA_SB_N2at6native12_GLOBAL__N_19CustomSumEEEEE10hipError_tPvRmT0_T1_jT2_SS_T4_T3_P12ihipStream_tbEUlT_E_NS1_11comp_targetILNS1_3genE10ELNS1_11target_archE1201ELNS1_3gpuE5ELNS1_3repE0EEENS1_30default_config_static_selectorELNS0_4arch9wavefront6targetE0EEEvSR_.private_seg_size, 0
	.set _ZN7rocprim17ROCPRIM_400000_NS6detail17trampoline_kernelINS0_14default_configENS1_32segmented_reduce_config_selectorIN3c108BFloat16EEEZNS1_21segmented_reduce_implIS3_PKS6_PS6_PKlS6_N6hipcub16HIPCUB_304000_NS6detail27convert_result_type_wrapperISA_SB_N2at6native12_GLOBAL__N_19CustomSumEEEEE10hipError_tPvRmT0_T1_jT2_SS_T4_T3_P12ihipStream_tbEUlT_E_NS1_11comp_targetILNS1_3genE10ELNS1_11target_archE1201ELNS1_3gpuE5ELNS1_3repE0EEENS1_30default_config_static_selectorELNS0_4arch9wavefront6targetE0EEEvSR_.uses_vcc, 0
	.set _ZN7rocprim17ROCPRIM_400000_NS6detail17trampoline_kernelINS0_14default_configENS1_32segmented_reduce_config_selectorIN3c108BFloat16EEEZNS1_21segmented_reduce_implIS3_PKS6_PS6_PKlS6_N6hipcub16HIPCUB_304000_NS6detail27convert_result_type_wrapperISA_SB_N2at6native12_GLOBAL__N_19CustomSumEEEEE10hipError_tPvRmT0_T1_jT2_SS_T4_T3_P12ihipStream_tbEUlT_E_NS1_11comp_targetILNS1_3genE10ELNS1_11target_archE1201ELNS1_3gpuE5ELNS1_3repE0EEENS1_30default_config_static_selectorELNS0_4arch9wavefront6targetE0EEEvSR_.uses_flat_scratch, 0
	.set _ZN7rocprim17ROCPRIM_400000_NS6detail17trampoline_kernelINS0_14default_configENS1_32segmented_reduce_config_selectorIN3c108BFloat16EEEZNS1_21segmented_reduce_implIS3_PKS6_PS6_PKlS6_N6hipcub16HIPCUB_304000_NS6detail27convert_result_type_wrapperISA_SB_N2at6native12_GLOBAL__N_19CustomSumEEEEE10hipError_tPvRmT0_T1_jT2_SS_T4_T3_P12ihipStream_tbEUlT_E_NS1_11comp_targetILNS1_3genE10ELNS1_11target_archE1201ELNS1_3gpuE5ELNS1_3repE0EEENS1_30default_config_static_selectorELNS0_4arch9wavefront6targetE0EEEvSR_.has_dyn_sized_stack, 0
	.set _ZN7rocprim17ROCPRIM_400000_NS6detail17trampoline_kernelINS0_14default_configENS1_32segmented_reduce_config_selectorIN3c108BFloat16EEEZNS1_21segmented_reduce_implIS3_PKS6_PS6_PKlS6_N6hipcub16HIPCUB_304000_NS6detail27convert_result_type_wrapperISA_SB_N2at6native12_GLOBAL__N_19CustomSumEEEEE10hipError_tPvRmT0_T1_jT2_SS_T4_T3_P12ihipStream_tbEUlT_E_NS1_11comp_targetILNS1_3genE10ELNS1_11target_archE1201ELNS1_3gpuE5ELNS1_3repE0EEENS1_30default_config_static_selectorELNS0_4arch9wavefront6targetE0EEEvSR_.has_recursion, 0
	.set _ZN7rocprim17ROCPRIM_400000_NS6detail17trampoline_kernelINS0_14default_configENS1_32segmented_reduce_config_selectorIN3c108BFloat16EEEZNS1_21segmented_reduce_implIS3_PKS6_PS6_PKlS6_N6hipcub16HIPCUB_304000_NS6detail27convert_result_type_wrapperISA_SB_N2at6native12_GLOBAL__N_19CustomSumEEEEE10hipError_tPvRmT0_T1_jT2_SS_T4_T3_P12ihipStream_tbEUlT_E_NS1_11comp_targetILNS1_3genE10ELNS1_11target_archE1201ELNS1_3gpuE5ELNS1_3repE0EEENS1_30default_config_static_selectorELNS0_4arch9wavefront6targetE0EEEvSR_.has_indirect_call, 0
	.section	.AMDGPU.csdata,"",@progbits
; Kernel info:
; codeLenInByte = 0
; TotalNumSgprs: 0
; NumVgprs: 0
; ScratchSize: 0
; MemoryBound: 0
; FloatMode: 240
; IeeeMode: 1
; LDSByteSize: 0 bytes/workgroup (compile time only)
; SGPRBlocks: 0
; VGPRBlocks: 0
; NumSGPRsForWavesPerEU: 1
; NumVGPRsForWavesPerEU: 1
; NamedBarCnt: 0
; Occupancy: 16
; WaveLimiterHint : 0
; COMPUTE_PGM_RSRC2:SCRATCH_EN: 0
; COMPUTE_PGM_RSRC2:USER_SGPR: 2
; COMPUTE_PGM_RSRC2:TRAP_HANDLER: 0
; COMPUTE_PGM_RSRC2:TGID_X_EN: 1
; COMPUTE_PGM_RSRC2:TGID_Y_EN: 0
; COMPUTE_PGM_RSRC2:TGID_Z_EN: 0
; COMPUTE_PGM_RSRC2:TIDIG_COMP_CNT: 0
	.section	.text._ZN7rocprim17ROCPRIM_400000_NS6detail17trampoline_kernelINS0_14default_configENS1_32segmented_reduce_config_selectorIN3c108BFloat16EEEZNS1_21segmented_reduce_implIS3_PKS6_PS6_PKlS6_N6hipcub16HIPCUB_304000_NS6detail27convert_result_type_wrapperISA_SB_N2at6native12_GLOBAL__N_19CustomSumEEEEE10hipError_tPvRmT0_T1_jT2_SS_T4_T3_P12ihipStream_tbEUlT_E_NS1_11comp_targetILNS1_3genE4ELNS1_11target_archE910ELNS1_3gpuE8ELNS1_3repE0EEENS1_30default_config_static_selectorELNS0_4arch9wavefront6targetE0EEEvSR_,"axG",@progbits,_ZN7rocprim17ROCPRIM_400000_NS6detail17trampoline_kernelINS0_14default_configENS1_32segmented_reduce_config_selectorIN3c108BFloat16EEEZNS1_21segmented_reduce_implIS3_PKS6_PS6_PKlS6_N6hipcub16HIPCUB_304000_NS6detail27convert_result_type_wrapperISA_SB_N2at6native12_GLOBAL__N_19CustomSumEEEEE10hipError_tPvRmT0_T1_jT2_SS_T4_T3_P12ihipStream_tbEUlT_E_NS1_11comp_targetILNS1_3genE4ELNS1_11target_archE910ELNS1_3gpuE8ELNS1_3repE0EEENS1_30default_config_static_selectorELNS0_4arch9wavefront6targetE0EEEvSR_,comdat
	.globl	_ZN7rocprim17ROCPRIM_400000_NS6detail17trampoline_kernelINS0_14default_configENS1_32segmented_reduce_config_selectorIN3c108BFloat16EEEZNS1_21segmented_reduce_implIS3_PKS6_PS6_PKlS6_N6hipcub16HIPCUB_304000_NS6detail27convert_result_type_wrapperISA_SB_N2at6native12_GLOBAL__N_19CustomSumEEEEE10hipError_tPvRmT0_T1_jT2_SS_T4_T3_P12ihipStream_tbEUlT_E_NS1_11comp_targetILNS1_3genE4ELNS1_11target_archE910ELNS1_3gpuE8ELNS1_3repE0EEENS1_30default_config_static_selectorELNS0_4arch9wavefront6targetE0EEEvSR_ ; -- Begin function _ZN7rocprim17ROCPRIM_400000_NS6detail17trampoline_kernelINS0_14default_configENS1_32segmented_reduce_config_selectorIN3c108BFloat16EEEZNS1_21segmented_reduce_implIS3_PKS6_PS6_PKlS6_N6hipcub16HIPCUB_304000_NS6detail27convert_result_type_wrapperISA_SB_N2at6native12_GLOBAL__N_19CustomSumEEEEE10hipError_tPvRmT0_T1_jT2_SS_T4_T3_P12ihipStream_tbEUlT_E_NS1_11comp_targetILNS1_3genE4ELNS1_11target_archE910ELNS1_3gpuE8ELNS1_3repE0EEENS1_30default_config_static_selectorELNS0_4arch9wavefront6targetE0EEEvSR_
	.p2align	8
	.type	_ZN7rocprim17ROCPRIM_400000_NS6detail17trampoline_kernelINS0_14default_configENS1_32segmented_reduce_config_selectorIN3c108BFloat16EEEZNS1_21segmented_reduce_implIS3_PKS6_PS6_PKlS6_N6hipcub16HIPCUB_304000_NS6detail27convert_result_type_wrapperISA_SB_N2at6native12_GLOBAL__N_19CustomSumEEEEE10hipError_tPvRmT0_T1_jT2_SS_T4_T3_P12ihipStream_tbEUlT_E_NS1_11comp_targetILNS1_3genE4ELNS1_11target_archE910ELNS1_3gpuE8ELNS1_3repE0EEENS1_30default_config_static_selectorELNS0_4arch9wavefront6targetE0EEEvSR_,@function
_ZN7rocprim17ROCPRIM_400000_NS6detail17trampoline_kernelINS0_14default_configENS1_32segmented_reduce_config_selectorIN3c108BFloat16EEEZNS1_21segmented_reduce_implIS3_PKS6_PS6_PKlS6_N6hipcub16HIPCUB_304000_NS6detail27convert_result_type_wrapperISA_SB_N2at6native12_GLOBAL__N_19CustomSumEEEEE10hipError_tPvRmT0_T1_jT2_SS_T4_T3_P12ihipStream_tbEUlT_E_NS1_11comp_targetILNS1_3genE4ELNS1_11target_archE910ELNS1_3gpuE8ELNS1_3repE0EEENS1_30default_config_static_selectorELNS0_4arch9wavefront6targetE0EEEvSR_: ; @_ZN7rocprim17ROCPRIM_400000_NS6detail17trampoline_kernelINS0_14default_configENS1_32segmented_reduce_config_selectorIN3c108BFloat16EEEZNS1_21segmented_reduce_implIS3_PKS6_PS6_PKlS6_N6hipcub16HIPCUB_304000_NS6detail27convert_result_type_wrapperISA_SB_N2at6native12_GLOBAL__N_19CustomSumEEEEE10hipError_tPvRmT0_T1_jT2_SS_T4_T3_P12ihipStream_tbEUlT_E_NS1_11comp_targetILNS1_3genE4ELNS1_11target_archE910ELNS1_3gpuE8ELNS1_3repE0EEENS1_30default_config_static_selectorELNS0_4arch9wavefront6targetE0EEEvSR_
; %bb.0:
	.section	.rodata,"a",@progbits
	.p2align	6, 0x0
	.amdhsa_kernel _ZN7rocprim17ROCPRIM_400000_NS6detail17trampoline_kernelINS0_14default_configENS1_32segmented_reduce_config_selectorIN3c108BFloat16EEEZNS1_21segmented_reduce_implIS3_PKS6_PS6_PKlS6_N6hipcub16HIPCUB_304000_NS6detail27convert_result_type_wrapperISA_SB_N2at6native12_GLOBAL__N_19CustomSumEEEEE10hipError_tPvRmT0_T1_jT2_SS_T4_T3_P12ihipStream_tbEUlT_E_NS1_11comp_targetILNS1_3genE4ELNS1_11target_archE910ELNS1_3gpuE8ELNS1_3repE0EEENS1_30default_config_static_selectorELNS0_4arch9wavefront6targetE0EEEvSR_
		.amdhsa_group_segment_fixed_size 0
		.amdhsa_private_segment_fixed_size 0
		.amdhsa_kernarg_size 48
		.amdhsa_user_sgpr_count 2
		.amdhsa_user_sgpr_dispatch_ptr 0
		.amdhsa_user_sgpr_queue_ptr 0
		.amdhsa_user_sgpr_kernarg_segment_ptr 1
		.amdhsa_user_sgpr_dispatch_id 0
		.amdhsa_user_sgpr_kernarg_preload_length 0
		.amdhsa_user_sgpr_kernarg_preload_offset 0
		.amdhsa_user_sgpr_private_segment_size 0
		.amdhsa_wavefront_size32 1
		.amdhsa_uses_dynamic_stack 0
		.amdhsa_enable_private_segment 0
		.amdhsa_system_sgpr_workgroup_id_x 1
		.amdhsa_system_sgpr_workgroup_id_y 0
		.amdhsa_system_sgpr_workgroup_id_z 0
		.amdhsa_system_sgpr_workgroup_info 0
		.amdhsa_system_vgpr_workitem_id 0
		.amdhsa_next_free_vgpr 1
		.amdhsa_next_free_sgpr 1
		.amdhsa_named_barrier_count 0
		.amdhsa_reserve_vcc 0
		.amdhsa_float_round_mode_32 0
		.amdhsa_float_round_mode_16_64 0
		.amdhsa_float_denorm_mode_32 3
		.amdhsa_float_denorm_mode_16_64 3
		.amdhsa_fp16_overflow 0
		.amdhsa_memory_ordered 1
		.amdhsa_forward_progress 1
		.amdhsa_inst_pref_size 0
		.amdhsa_round_robin_scheduling 0
		.amdhsa_exception_fp_ieee_invalid_op 0
		.amdhsa_exception_fp_denorm_src 0
		.amdhsa_exception_fp_ieee_div_zero 0
		.amdhsa_exception_fp_ieee_overflow 0
		.amdhsa_exception_fp_ieee_underflow 0
		.amdhsa_exception_fp_ieee_inexact 0
		.amdhsa_exception_int_div_zero 0
	.end_amdhsa_kernel
	.section	.text._ZN7rocprim17ROCPRIM_400000_NS6detail17trampoline_kernelINS0_14default_configENS1_32segmented_reduce_config_selectorIN3c108BFloat16EEEZNS1_21segmented_reduce_implIS3_PKS6_PS6_PKlS6_N6hipcub16HIPCUB_304000_NS6detail27convert_result_type_wrapperISA_SB_N2at6native12_GLOBAL__N_19CustomSumEEEEE10hipError_tPvRmT0_T1_jT2_SS_T4_T3_P12ihipStream_tbEUlT_E_NS1_11comp_targetILNS1_3genE4ELNS1_11target_archE910ELNS1_3gpuE8ELNS1_3repE0EEENS1_30default_config_static_selectorELNS0_4arch9wavefront6targetE0EEEvSR_,"axG",@progbits,_ZN7rocprim17ROCPRIM_400000_NS6detail17trampoline_kernelINS0_14default_configENS1_32segmented_reduce_config_selectorIN3c108BFloat16EEEZNS1_21segmented_reduce_implIS3_PKS6_PS6_PKlS6_N6hipcub16HIPCUB_304000_NS6detail27convert_result_type_wrapperISA_SB_N2at6native12_GLOBAL__N_19CustomSumEEEEE10hipError_tPvRmT0_T1_jT2_SS_T4_T3_P12ihipStream_tbEUlT_E_NS1_11comp_targetILNS1_3genE4ELNS1_11target_archE910ELNS1_3gpuE8ELNS1_3repE0EEENS1_30default_config_static_selectorELNS0_4arch9wavefront6targetE0EEEvSR_,comdat
.Lfunc_end258:
	.size	_ZN7rocprim17ROCPRIM_400000_NS6detail17trampoline_kernelINS0_14default_configENS1_32segmented_reduce_config_selectorIN3c108BFloat16EEEZNS1_21segmented_reduce_implIS3_PKS6_PS6_PKlS6_N6hipcub16HIPCUB_304000_NS6detail27convert_result_type_wrapperISA_SB_N2at6native12_GLOBAL__N_19CustomSumEEEEE10hipError_tPvRmT0_T1_jT2_SS_T4_T3_P12ihipStream_tbEUlT_E_NS1_11comp_targetILNS1_3genE4ELNS1_11target_archE910ELNS1_3gpuE8ELNS1_3repE0EEENS1_30default_config_static_selectorELNS0_4arch9wavefront6targetE0EEEvSR_, .Lfunc_end258-_ZN7rocprim17ROCPRIM_400000_NS6detail17trampoline_kernelINS0_14default_configENS1_32segmented_reduce_config_selectorIN3c108BFloat16EEEZNS1_21segmented_reduce_implIS3_PKS6_PS6_PKlS6_N6hipcub16HIPCUB_304000_NS6detail27convert_result_type_wrapperISA_SB_N2at6native12_GLOBAL__N_19CustomSumEEEEE10hipError_tPvRmT0_T1_jT2_SS_T4_T3_P12ihipStream_tbEUlT_E_NS1_11comp_targetILNS1_3genE4ELNS1_11target_archE910ELNS1_3gpuE8ELNS1_3repE0EEENS1_30default_config_static_selectorELNS0_4arch9wavefront6targetE0EEEvSR_
                                        ; -- End function
	.set _ZN7rocprim17ROCPRIM_400000_NS6detail17trampoline_kernelINS0_14default_configENS1_32segmented_reduce_config_selectorIN3c108BFloat16EEEZNS1_21segmented_reduce_implIS3_PKS6_PS6_PKlS6_N6hipcub16HIPCUB_304000_NS6detail27convert_result_type_wrapperISA_SB_N2at6native12_GLOBAL__N_19CustomSumEEEEE10hipError_tPvRmT0_T1_jT2_SS_T4_T3_P12ihipStream_tbEUlT_E_NS1_11comp_targetILNS1_3genE4ELNS1_11target_archE910ELNS1_3gpuE8ELNS1_3repE0EEENS1_30default_config_static_selectorELNS0_4arch9wavefront6targetE0EEEvSR_.num_vgpr, 0
	.set _ZN7rocprim17ROCPRIM_400000_NS6detail17trampoline_kernelINS0_14default_configENS1_32segmented_reduce_config_selectorIN3c108BFloat16EEEZNS1_21segmented_reduce_implIS3_PKS6_PS6_PKlS6_N6hipcub16HIPCUB_304000_NS6detail27convert_result_type_wrapperISA_SB_N2at6native12_GLOBAL__N_19CustomSumEEEEE10hipError_tPvRmT0_T1_jT2_SS_T4_T3_P12ihipStream_tbEUlT_E_NS1_11comp_targetILNS1_3genE4ELNS1_11target_archE910ELNS1_3gpuE8ELNS1_3repE0EEENS1_30default_config_static_selectorELNS0_4arch9wavefront6targetE0EEEvSR_.num_agpr, 0
	.set _ZN7rocprim17ROCPRIM_400000_NS6detail17trampoline_kernelINS0_14default_configENS1_32segmented_reduce_config_selectorIN3c108BFloat16EEEZNS1_21segmented_reduce_implIS3_PKS6_PS6_PKlS6_N6hipcub16HIPCUB_304000_NS6detail27convert_result_type_wrapperISA_SB_N2at6native12_GLOBAL__N_19CustomSumEEEEE10hipError_tPvRmT0_T1_jT2_SS_T4_T3_P12ihipStream_tbEUlT_E_NS1_11comp_targetILNS1_3genE4ELNS1_11target_archE910ELNS1_3gpuE8ELNS1_3repE0EEENS1_30default_config_static_selectorELNS0_4arch9wavefront6targetE0EEEvSR_.numbered_sgpr, 0
	.set _ZN7rocprim17ROCPRIM_400000_NS6detail17trampoline_kernelINS0_14default_configENS1_32segmented_reduce_config_selectorIN3c108BFloat16EEEZNS1_21segmented_reduce_implIS3_PKS6_PS6_PKlS6_N6hipcub16HIPCUB_304000_NS6detail27convert_result_type_wrapperISA_SB_N2at6native12_GLOBAL__N_19CustomSumEEEEE10hipError_tPvRmT0_T1_jT2_SS_T4_T3_P12ihipStream_tbEUlT_E_NS1_11comp_targetILNS1_3genE4ELNS1_11target_archE910ELNS1_3gpuE8ELNS1_3repE0EEENS1_30default_config_static_selectorELNS0_4arch9wavefront6targetE0EEEvSR_.num_named_barrier, 0
	.set _ZN7rocprim17ROCPRIM_400000_NS6detail17trampoline_kernelINS0_14default_configENS1_32segmented_reduce_config_selectorIN3c108BFloat16EEEZNS1_21segmented_reduce_implIS3_PKS6_PS6_PKlS6_N6hipcub16HIPCUB_304000_NS6detail27convert_result_type_wrapperISA_SB_N2at6native12_GLOBAL__N_19CustomSumEEEEE10hipError_tPvRmT0_T1_jT2_SS_T4_T3_P12ihipStream_tbEUlT_E_NS1_11comp_targetILNS1_3genE4ELNS1_11target_archE910ELNS1_3gpuE8ELNS1_3repE0EEENS1_30default_config_static_selectorELNS0_4arch9wavefront6targetE0EEEvSR_.private_seg_size, 0
	.set _ZN7rocprim17ROCPRIM_400000_NS6detail17trampoline_kernelINS0_14default_configENS1_32segmented_reduce_config_selectorIN3c108BFloat16EEEZNS1_21segmented_reduce_implIS3_PKS6_PS6_PKlS6_N6hipcub16HIPCUB_304000_NS6detail27convert_result_type_wrapperISA_SB_N2at6native12_GLOBAL__N_19CustomSumEEEEE10hipError_tPvRmT0_T1_jT2_SS_T4_T3_P12ihipStream_tbEUlT_E_NS1_11comp_targetILNS1_3genE4ELNS1_11target_archE910ELNS1_3gpuE8ELNS1_3repE0EEENS1_30default_config_static_selectorELNS0_4arch9wavefront6targetE0EEEvSR_.uses_vcc, 0
	.set _ZN7rocprim17ROCPRIM_400000_NS6detail17trampoline_kernelINS0_14default_configENS1_32segmented_reduce_config_selectorIN3c108BFloat16EEEZNS1_21segmented_reduce_implIS3_PKS6_PS6_PKlS6_N6hipcub16HIPCUB_304000_NS6detail27convert_result_type_wrapperISA_SB_N2at6native12_GLOBAL__N_19CustomSumEEEEE10hipError_tPvRmT0_T1_jT2_SS_T4_T3_P12ihipStream_tbEUlT_E_NS1_11comp_targetILNS1_3genE4ELNS1_11target_archE910ELNS1_3gpuE8ELNS1_3repE0EEENS1_30default_config_static_selectorELNS0_4arch9wavefront6targetE0EEEvSR_.uses_flat_scratch, 0
	.set _ZN7rocprim17ROCPRIM_400000_NS6detail17trampoline_kernelINS0_14default_configENS1_32segmented_reduce_config_selectorIN3c108BFloat16EEEZNS1_21segmented_reduce_implIS3_PKS6_PS6_PKlS6_N6hipcub16HIPCUB_304000_NS6detail27convert_result_type_wrapperISA_SB_N2at6native12_GLOBAL__N_19CustomSumEEEEE10hipError_tPvRmT0_T1_jT2_SS_T4_T3_P12ihipStream_tbEUlT_E_NS1_11comp_targetILNS1_3genE4ELNS1_11target_archE910ELNS1_3gpuE8ELNS1_3repE0EEENS1_30default_config_static_selectorELNS0_4arch9wavefront6targetE0EEEvSR_.has_dyn_sized_stack, 0
	.set _ZN7rocprim17ROCPRIM_400000_NS6detail17trampoline_kernelINS0_14default_configENS1_32segmented_reduce_config_selectorIN3c108BFloat16EEEZNS1_21segmented_reduce_implIS3_PKS6_PS6_PKlS6_N6hipcub16HIPCUB_304000_NS6detail27convert_result_type_wrapperISA_SB_N2at6native12_GLOBAL__N_19CustomSumEEEEE10hipError_tPvRmT0_T1_jT2_SS_T4_T3_P12ihipStream_tbEUlT_E_NS1_11comp_targetILNS1_3genE4ELNS1_11target_archE910ELNS1_3gpuE8ELNS1_3repE0EEENS1_30default_config_static_selectorELNS0_4arch9wavefront6targetE0EEEvSR_.has_recursion, 0
	.set _ZN7rocprim17ROCPRIM_400000_NS6detail17trampoline_kernelINS0_14default_configENS1_32segmented_reduce_config_selectorIN3c108BFloat16EEEZNS1_21segmented_reduce_implIS3_PKS6_PS6_PKlS6_N6hipcub16HIPCUB_304000_NS6detail27convert_result_type_wrapperISA_SB_N2at6native12_GLOBAL__N_19CustomSumEEEEE10hipError_tPvRmT0_T1_jT2_SS_T4_T3_P12ihipStream_tbEUlT_E_NS1_11comp_targetILNS1_3genE4ELNS1_11target_archE910ELNS1_3gpuE8ELNS1_3repE0EEENS1_30default_config_static_selectorELNS0_4arch9wavefront6targetE0EEEvSR_.has_indirect_call, 0
	.section	.AMDGPU.csdata,"",@progbits
; Kernel info:
; codeLenInByte = 0
; TotalNumSgprs: 0
; NumVgprs: 0
; ScratchSize: 0
; MemoryBound: 0
; FloatMode: 240
; IeeeMode: 1
; LDSByteSize: 0 bytes/workgroup (compile time only)
; SGPRBlocks: 0
; VGPRBlocks: 0
; NumSGPRsForWavesPerEU: 1
; NumVGPRsForWavesPerEU: 1
; NamedBarCnt: 0
; Occupancy: 16
; WaveLimiterHint : 0
; COMPUTE_PGM_RSRC2:SCRATCH_EN: 0
; COMPUTE_PGM_RSRC2:USER_SGPR: 2
; COMPUTE_PGM_RSRC2:TRAP_HANDLER: 0
; COMPUTE_PGM_RSRC2:TGID_X_EN: 1
; COMPUTE_PGM_RSRC2:TGID_Y_EN: 0
; COMPUTE_PGM_RSRC2:TGID_Z_EN: 0
; COMPUTE_PGM_RSRC2:TIDIG_COMP_CNT: 0
	.section	.text._ZN7rocprim17ROCPRIM_400000_NS6detail17trampoline_kernelINS0_14default_configENS1_32segmented_reduce_config_selectorIN3c108BFloat16EEEZNS1_21segmented_reduce_implIS3_PKS6_PS6_PKlS6_N6hipcub16HIPCUB_304000_NS6detail27convert_result_type_wrapperISA_SB_N2at6native12_GLOBAL__N_19CustomSumEEEEE10hipError_tPvRmT0_T1_jT2_SS_T4_T3_P12ihipStream_tbEUlT_E_NS1_11comp_targetILNS1_3genE3ELNS1_11target_archE908ELNS1_3gpuE7ELNS1_3repE0EEENS1_30default_config_static_selectorELNS0_4arch9wavefront6targetE0EEEvSR_,"axG",@progbits,_ZN7rocprim17ROCPRIM_400000_NS6detail17trampoline_kernelINS0_14default_configENS1_32segmented_reduce_config_selectorIN3c108BFloat16EEEZNS1_21segmented_reduce_implIS3_PKS6_PS6_PKlS6_N6hipcub16HIPCUB_304000_NS6detail27convert_result_type_wrapperISA_SB_N2at6native12_GLOBAL__N_19CustomSumEEEEE10hipError_tPvRmT0_T1_jT2_SS_T4_T3_P12ihipStream_tbEUlT_E_NS1_11comp_targetILNS1_3genE3ELNS1_11target_archE908ELNS1_3gpuE7ELNS1_3repE0EEENS1_30default_config_static_selectorELNS0_4arch9wavefront6targetE0EEEvSR_,comdat
	.globl	_ZN7rocprim17ROCPRIM_400000_NS6detail17trampoline_kernelINS0_14default_configENS1_32segmented_reduce_config_selectorIN3c108BFloat16EEEZNS1_21segmented_reduce_implIS3_PKS6_PS6_PKlS6_N6hipcub16HIPCUB_304000_NS6detail27convert_result_type_wrapperISA_SB_N2at6native12_GLOBAL__N_19CustomSumEEEEE10hipError_tPvRmT0_T1_jT2_SS_T4_T3_P12ihipStream_tbEUlT_E_NS1_11comp_targetILNS1_3genE3ELNS1_11target_archE908ELNS1_3gpuE7ELNS1_3repE0EEENS1_30default_config_static_selectorELNS0_4arch9wavefront6targetE0EEEvSR_ ; -- Begin function _ZN7rocprim17ROCPRIM_400000_NS6detail17trampoline_kernelINS0_14default_configENS1_32segmented_reduce_config_selectorIN3c108BFloat16EEEZNS1_21segmented_reduce_implIS3_PKS6_PS6_PKlS6_N6hipcub16HIPCUB_304000_NS6detail27convert_result_type_wrapperISA_SB_N2at6native12_GLOBAL__N_19CustomSumEEEEE10hipError_tPvRmT0_T1_jT2_SS_T4_T3_P12ihipStream_tbEUlT_E_NS1_11comp_targetILNS1_3genE3ELNS1_11target_archE908ELNS1_3gpuE7ELNS1_3repE0EEENS1_30default_config_static_selectorELNS0_4arch9wavefront6targetE0EEEvSR_
	.p2align	8
	.type	_ZN7rocprim17ROCPRIM_400000_NS6detail17trampoline_kernelINS0_14default_configENS1_32segmented_reduce_config_selectorIN3c108BFloat16EEEZNS1_21segmented_reduce_implIS3_PKS6_PS6_PKlS6_N6hipcub16HIPCUB_304000_NS6detail27convert_result_type_wrapperISA_SB_N2at6native12_GLOBAL__N_19CustomSumEEEEE10hipError_tPvRmT0_T1_jT2_SS_T4_T3_P12ihipStream_tbEUlT_E_NS1_11comp_targetILNS1_3genE3ELNS1_11target_archE908ELNS1_3gpuE7ELNS1_3repE0EEENS1_30default_config_static_selectorELNS0_4arch9wavefront6targetE0EEEvSR_,@function
_ZN7rocprim17ROCPRIM_400000_NS6detail17trampoline_kernelINS0_14default_configENS1_32segmented_reduce_config_selectorIN3c108BFloat16EEEZNS1_21segmented_reduce_implIS3_PKS6_PS6_PKlS6_N6hipcub16HIPCUB_304000_NS6detail27convert_result_type_wrapperISA_SB_N2at6native12_GLOBAL__N_19CustomSumEEEEE10hipError_tPvRmT0_T1_jT2_SS_T4_T3_P12ihipStream_tbEUlT_E_NS1_11comp_targetILNS1_3genE3ELNS1_11target_archE908ELNS1_3gpuE7ELNS1_3repE0EEENS1_30default_config_static_selectorELNS0_4arch9wavefront6targetE0EEEvSR_: ; @_ZN7rocprim17ROCPRIM_400000_NS6detail17trampoline_kernelINS0_14default_configENS1_32segmented_reduce_config_selectorIN3c108BFloat16EEEZNS1_21segmented_reduce_implIS3_PKS6_PS6_PKlS6_N6hipcub16HIPCUB_304000_NS6detail27convert_result_type_wrapperISA_SB_N2at6native12_GLOBAL__N_19CustomSumEEEEE10hipError_tPvRmT0_T1_jT2_SS_T4_T3_P12ihipStream_tbEUlT_E_NS1_11comp_targetILNS1_3genE3ELNS1_11target_archE908ELNS1_3gpuE7ELNS1_3repE0EEENS1_30default_config_static_selectorELNS0_4arch9wavefront6targetE0EEEvSR_
; %bb.0:
	.section	.rodata,"a",@progbits
	.p2align	6, 0x0
	.amdhsa_kernel _ZN7rocprim17ROCPRIM_400000_NS6detail17trampoline_kernelINS0_14default_configENS1_32segmented_reduce_config_selectorIN3c108BFloat16EEEZNS1_21segmented_reduce_implIS3_PKS6_PS6_PKlS6_N6hipcub16HIPCUB_304000_NS6detail27convert_result_type_wrapperISA_SB_N2at6native12_GLOBAL__N_19CustomSumEEEEE10hipError_tPvRmT0_T1_jT2_SS_T4_T3_P12ihipStream_tbEUlT_E_NS1_11comp_targetILNS1_3genE3ELNS1_11target_archE908ELNS1_3gpuE7ELNS1_3repE0EEENS1_30default_config_static_selectorELNS0_4arch9wavefront6targetE0EEEvSR_
		.amdhsa_group_segment_fixed_size 0
		.amdhsa_private_segment_fixed_size 0
		.amdhsa_kernarg_size 48
		.amdhsa_user_sgpr_count 2
		.amdhsa_user_sgpr_dispatch_ptr 0
		.amdhsa_user_sgpr_queue_ptr 0
		.amdhsa_user_sgpr_kernarg_segment_ptr 1
		.amdhsa_user_sgpr_dispatch_id 0
		.amdhsa_user_sgpr_kernarg_preload_length 0
		.amdhsa_user_sgpr_kernarg_preload_offset 0
		.amdhsa_user_sgpr_private_segment_size 0
		.amdhsa_wavefront_size32 1
		.amdhsa_uses_dynamic_stack 0
		.amdhsa_enable_private_segment 0
		.amdhsa_system_sgpr_workgroup_id_x 1
		.amdhsa_system_sgpr_workgroup_id_y 0
		.amdhsa_system_sgpr_workgroup_id_z 0
		.amdhsa_system_sgpr_workgroup_info 0
		.amdhsa_system_vgpr_workitem_id 0
		.amdhsa_next_free_vgpr 1
		.amdhsa_next_free_sgpr 1
		.amdhsa_named_barrier_count 0
		.amdhsa_reserve_vcc 0
		.amdhsa_float_round_mode_32 0
		.amdhsa_float_round_mode_16_64 0
		.amdhsa_float_denorm_mode_32 3
		.amdhsa_float_denorm_mode_16_64 3
		.amdhsa_fp16_overflow 0
		.amdhsa_memory_ordered 1
		.amdhsa_forward_progress 1
		.amdhsa_inst_pref_size 0
		.amdhsa_round_robin_scheduling 0
		.amdhsa_exception_fp_ieee_invalid_op 0
		.amdhsa_exception_fp_denorm_src 0
		.amdhsa_exception_fp_ieee_div_zero 0
		.amdhsa_exception_fp_ieee_overflow 0
		.amdhsa_exception_fp_ieee_underflow 0
		.amdhsa_exception_fp_ieee_inexact 0
		.amdhsa_exception_int_div_zero 0
	.end_amdhsa_kernel
	.section	.text._ZN7rocprim17ROCPRIM_400000_NS6detail17trampoline_kernelINS0_14default_configENS1_32segmented_reduce_config_selectorIN3c108BFloat16EEEZNS1_21segmented_reduce_implIS3_PKS6_PS6_PKlS6_N6hipcub16HIPCUB_304000_NS6detail27convert_result_type_wrapperISA_SB_N2at6native12_GLOBAL__N_19CustomSumEEEEE10hipError_tPvRmT0_T1_jT2_SS_T4_T3_P12ihipStream_tbEUlT_E_NS1_11comp_targetILNS1_3genE3ELNS1_11target_archE908ELNS1_3gpuE7ELNS1_3repE0EEENS1_30default_config_static_selectorELNS0_4arch9wavefront6targetE0EEEvSR_,"axG",@progbits,_ZN7rocprim17ROCPRIM_400000_NS6detail17trampoline_kernelINS0_14default_configENS1_32segmented_reduce_config_selectorIN3c108BFloat16EEEZNS1_21segmented_reduce_implIS3_PKS6_PS6_PKlS6_N6hipcub16HIPCUB_304000_NS6detail27convert_result_type_wrapperISA_SB_N2at6native12_GLOBAL__N_19CustomSumEEEEE10hipError_tPvRmT0_T1_jT2_SS_T4_T3_P12ihipStream_tbEUlT_E_NS1_11comp_targetILNS1_3genE3ELNS1_11target_archE908ELNS1_3gpuE7ELNS1_3repE0EEENS1_30default_config_static_selectorELNS0_4arch9wavefront6targetE0EEEvSR_,comdat
.Lfunc_end259:
	.size	_ZN7rocprim17ROCPRIM_400000_NS6detail17trampoline_kernelINS0_14default_configENS1_32segmented_reduce_config_selectorIN3c108BFloat16EEEZNS1_21segmented_reduce_implIS3_PKS6_PS6_PKlS6_N6hipcub16HIPCUB_304000_NS6detail27convert_result_type_wrapperISA_SB_N2at6native12_GLOBAL__N_19CustomSumEEEEE10hipError_tPvRmT0_T1_jT2_SS_T4_T3_P12ihipStream_tbEUlT_E_NS1_11comp_targetILNS1_3genE3ELNS1_11target_archE908ELNS1_3gpuE7ELNS1_3repE0EEENS1_30default_config_static_selectorELNS0_4arch9wavefront6targetE0EEEvSR_, .Lfunc_end259-_ZN7rocprim17ROCPRIM_400000_NS6detail17trampoline_kernelINS0_14default_configENS1_32segmented_reduce_config_selectorIN3c108BFloat16EEEZNS1_21segmented_reduce_implIS3_PKS6_PS6_PKlS6_N6hipcub16HIPCUB_304000_NS6detail27convert_result_type_wrapperISA_SB_N2at6native12_GLOBAL__N_19CustomSumEEEEE10hipError_tPvRmT0_T1_jT2_SS_T4_T3_P12ihipStream_tbEUlT_E_NS1_11comp_targetILNS1_3genE3ELNS1_11target_archE908ELNS1_3gpuE7ELNS1_3repE0EEENS1_30default_config_static_selectorELNS0_4arch9wavefront6targetE0EEEvSR_
                                        ; -- End function
	.set _ZN7rocprim17ROCPRIM_400000_NS6detail17trampoline_kernelINS0_14default_configENS1_32segmented_reduce_config_selectorIN3c108BFloat16EEEZNS1_21segmented_reduce_implIS3_PKS6_PS6_PKlS6_N6hipcub16HIPCUB_304000_NS6detail27convert_result_type_wrapperISA_SB_N2at6native12_GLOBAL__N_19CustomSumEEEEE10hipError_tPvRmT0_T1_jT2_SS_T4_T3_P12ihipStream_tbEUlT_E_NS1_11comp_targetILNS1_3genE3ELNS1_11target_archE908ELNS1_3gpuE7ELNS1_3repE0EEENS1_30default_config_static_selectorELNS0_4arch9wavefront6targetE0EEEvSR_.num_vgpr, 0
	.set _ZN7rocprim17ROCPRIM_400000_NS6detail17trampoline_kernelINS0_14default_configENS1_32segmented_reduce_config_selectorIN3c108BFloat16EEEZNS1_21segmented_reduce_implIS3_PKS6_PS6_PKlS6_N6hipcub16HIPCUB_304000_NS6detail27convert_result_type_wrapperISA_SB_N2at6native12_GLOBAL__N_19CustomSumEEEEE10hipError_tPvRmT0_T1_jT2_SS_T4_T3_P12ihipStream_tbEUlT_E_NS1_11comp_targetILNS1_3genE3ELNS1_11target_archE908ELNS1_3gpuE7ELNS1_3repE0EEENS1_30default_config_static_selectorELNS0_4arch9wavefront6targetE0EEEvSR_.num_agpr, 0
	.set _ZN7rocprim17ROCPRIM_400000_NS6detail17trampoline_kernelINS0_14default_configENS1_32segmented_reduce_config_selectorIN3c108BFloat16EEEZNS1_21segmented_reduce_implIS3_PKS6_PS6_PKlS6_N6hipcub16HIPCUB_304000_NS6detail27convert_result_type_wrapperISA_SB_N2at6native12_GLOBAL__N_19CustomSumEEEEE10hipError_tPvRmT0_T1_jT2_SS_T4_T3_P12ihipStream_tbEUlT_E_NS1_11comp_targetILNS1_3genE3ELNS1_11target_archE908ELNS1_3gpuE7ELNS1_3repE0EEENS1_30default_config_static_selectorELNS0_4arch9wavefront6targetE0EEEvSR_.numbered_sgpr, 0
	.set _ZN7rocprim17ROCPRIM_400000_NS6detail17trampoline_kernelINS0_14default_configENS1_32segmented_reduce_config_selectorIN3c108BFloat16EEEZNS1_21segmented_reduce_implIS3_PKS6_PS6_PKlS6_N6hipcub16HIPCUB_304000_NS6detail27convert_result_type_wrapperISA_SB_N2at6native12_GLOBAL__N_19CustomSumEEEEE10hipError_tPvRmT0_T1_jT2_SS_T4_T3_P12ihipStream_tbEUlT_E_NS1_11comp_targetILNS1_3genE3ELNS1_11target_archE908ELNS1_3gpuE7ELNS1_3repE0EEENS1_30default_config_static_selectorELNS0_4arch9wavefront6targetE0EEEvSR_.num_named_barrier, 0
	.set _ZN7rocprim17ROCPRIM_400000_NS6detail17trampoline_kernelINS0_14default_configENS1_32segmented_reduce_config_selectorIN3c108BFloat16EEEZNS1_21segmented_reduce_implIS3_PKS6_PS6_PKlS6_N6hipcub16HIPCUB_304000_NS6detail27convert_result_type_wrapperISA_SB_N2at6native12_GLOBAL__N_19CustomSumEEEEE10hipError_tPvRmT0_T1_jT2_SS_T4_T3_P12ihipStream_tbEUlT_E_NS1_11comp_targetILNS1_3genE3ELNS1_11target_archE908ELNS1_3gpuE7ELNS1_3repE0EEENS1_30default_config_static_selectorELNS0_4arch9wavefront6targetE0EEEvSR_.private_seg_size, 0
	.set _ZN7rocprim17ROCPRIM_400000_NS6detail17trampoline_kernelINS0_14default_configENS1_32segmented_reduce_config_selectorIN3c108BFloat16EEEZNS1_21segmented_reduce_implIS3_PKS6_PS6_PKlS6_N6hipcub16HIPCUB_304000_NS6detail27convert_result_type_wrapperISA_SB_N2at6native12_GLOBAL__N_19CustomSumEEEEE10hipError_tPvRmT0_T1_jT2_SS_T4_T3_P12ihipStream_tbEUlT_E_NS1_11comp_targetILNS1_3genE3ELNS1_11target_archE908ELNS1_3gpuE7ELNS1_3repE0EEENS1_30default_config_static_selectorELNS0_4arch9wavefront6targetE0EEEvSR_.uses_vcc, 0
	.set _ZN7rocprim17ROCPRIM_400000_NS6detail17trampoline_kernelINS0_14default_configENS1_32segmented_reduce_config_selectorIN3c108BFloat16EEEZNS1_21segmented_reduce_implIS3_PKS6_PS6_PKlS6_N6hipcub16HIPCUB_304000_NS6detail27convert_result_type_wrapperISA_SB_N2at6native12_GLOBAL__N_19CustomSumEEEEE10hipError_tPvRmT0_T1_jT2_SS_T4_T3_P12ihipStream_tbEUlT_E_NS1_11comp_targetILNS1_3genE3ELNS1_11target_archE908ELNS1_3gpuE7ELNS1_3repE0EEENS1_30default_config_static_selectorELNS0_4arch9wavefront6targetE0EEEvSR_.uses_flat_scratch, 0
	.set _ZN7rocprim17ROCPRIM_400000_NS6detail17trampoline_kernelINS0_14default_configENS1_32segmented_reduce_config_selectorIN3c108BFloat16EEEZNS1_21segmented_reduce_implIS3_PKS6_PS6_PKlS6_N6hipcub16HIPCUB_304000_NS6detail27convert_result_type_wrapperISA_SB_N2at6native12_GLOBAL__N_19CustomSumEEEEE10hipError_tPvRmT0_T1_jT2_SS_T4_T3_P12ihipStream_tbEUlT_E_NS1_11comp_targetILNS1_3genE3ELNS1_11target_archE908ELNS1_3gpuE7ELNS1_3repE0EEENS1_30default_config_static_selectorELNS0_4arch9wavefront6targetE0EEEvSR_.has_dyn_sized_stack, 0
	.set _ZN7rocprim17ROCPRIM_400000_NS6detail17trampoline_kernelINS0_14default_configENS1_32segmented_reduce_config_selectorIN3c108BFloat16EEEZNS1_21segmented_reduce_implIS3_PKS6_PS6_PKlS6_N6hipcub16HIPCUB_304000_NS6detail27convert_result_type_wrapperISA_SB_N2at6native12_GLOBAL__N_19CustomSumEEEEE10hipError_tPvRmT0_T1_jT2_SS_T4_T3_P12ihipStream_tbEUlT_E_NS1_11comp_targetILNS1_3genE3ELNS1_11target_archE908ELNS1_3gpuE7ELNS1_3repE0EEENS1_30default_config_static_selectorELNS0_4arch9wavefront6targetE0EEEvSR_.has_recursion, 0
	.set _ZN7rocprim17ROCPRIM_400000_NS6detail17trampoline_kernelINS0_14default_configENS1_32segmented_reduce_config_selectorIN3c108BFloat16EEEZNS1_21segmented_reduce_implIS3_PKS6_PS6_PKlS6_N6hipcub16HIPCUB_304000_NS6detail27convert_result_type_wrapperISA_SB_N2at6native12_GLOBAL__N_19CustomSumEEEEE10hipError_tPvRmT0_T1_jT2_SS_T4_T3_P12ihipStream_tbEUlT_E_NS1_11comp_targetILNS1_3genE3ELNS1_11target_archE908ELNS1_3gpuE7ELNS1_3repE0EEENS1_30default_config_static_selectorELNS0_4arch9wavefront6targetE0EEEvSR_.has_indirect_call, 0
	.section	.AMDGPU.csdata,"",@progbits
; Kernel info:
; codeLenInByte = 0
; TotalNumSgprs: 0
; NumVgprs: 0
; ScratchSize: 0
; MemoryBound: 0
; FloatMode: 240
; IeeeMode: 1
; LDSByteSize: 0 bytes/workgroup (compile time only)
; SGPRBlocks: 0
; VGPRBlocks: 0
; NumSGPRsForWavesPerEU: 1
; NumVGPRsForWavesPerEU: 1
; NamedBarCnt: 0
; Occupancy: 16
; WaveLimiterHint : 0
; COMPUTE_PGM_RSRC2:SCRATCH_EN: 0
; COMPUTE_PGM_RSRC2:USER_SGPR: 2
; COMPUTE_PGM_RSRC2:TRAP_HANDLER: 0
; COMPUTE_PGM_RSRC2:TGID_X_EN: 1
; COMPUTE_PGM_RSRC2:TGID_Y_EN: 0
; COMPUTE_PGM_RSRC2:TGID_Z_EN: 0
; COMPUTE_PGM_RSRC2:TIDIG_COMP_CNT: 0
	.section	.text._ZN7rocprim17ROCPRIM_400000_NS6detail17trampoline_kernelINS0_14default_configENS1_32segmented_reduce_config_selectorIN3c108BFloat16EEEZNS1_21segmented_reduce_implIS3_PKS6_PS6_PKlS6_N6hipcub16HIPCUB_304000_NS6detail27convert_result_type_wrapperISA_SB_N2at6native12_GLOBAL__N_19CustomSumEEEEE10hipError_tPvRmT0_T1_jT2_SS_T4_T3_P12ihipStream_tbEUlT_E_NS1_11comp_targetILNS1_3genE2ELNS1_11target_archE906ELNS1_3gpuE6ELNS1_3repE0EEENS1_30default_config_static_selectorELNS0_4arch9wavefront6targetE0EEEvSR_,"axG",@progbits,_ZN7rocprim17ROCPRIM_400000_NS6detail17trampoline_kernelINS0_14default_configENS1_32segmented_reduce_config_selectorIN3c108BFloat16EEEZNS1_21segmented_reduce_implIS3_PKS6_PS6_PKlS6_N6hipcub16HIPCUB_304000_NS6detail27convert_result_type_wrapperISA_SB_N2at6native12_GLOBAL__N_19CustomSumEEEEE10hipError_tPvRmT0_T1_jT2_SS_T4_T3_P12ihipStream_tbEUlT_E_NS1_11comp_targetILNS1_3genE2ELNS1_11target_archE906ELNS1_3gpuE6ELNS1_3repE0EEENS1_30default_config_static_selectorELNS0_4arch9wavefront6targetE0EEEvSR_,comdat
	.globl	_ZN7rocprim17ROCPRIM_400000_NS6detail17trampoline_kernelINS0_14default_configENS1_32segmented_reduce_config_selectorIN3c108BFloat16EEEZNS1_21segmented_reduce_implIS3_PKS6_PS6_PKlS6_N6hipcub16HIPCUB_304000_NS6detail27convert_result_type_wrapperISA_SB_N2at6native12_GLOBAL__N_19CustomSumEEEEE10hipError_tPvRmT0_T1_jT2_SS_T4_T3_P12ihipStream_tbEUlT_E_NS1_11comp_targetILNS1_3genE2ELNS1_11target_archE906ELNS1_3gpuE6ELNS1_3repE0EEENS1_30default_config_static_selectorELNS0_4arch9wavefront6targetE0EEEvSR_ ; -- Begin function _ZN7rocprim17ROCPRIM_400000_NS6detail17trampoline_kernelINS0_14default_configENS1_32segmented_reduce_config_selectorIN3c108BFloat16EEEZNS1_21segmented_reduce_implIS3_PKS6_PS6_PKlS6_N6hipcub16HIPCUB_304000_NS6detail27convert_result_type_wrapperISA_SB_N2at6native12_GLOBAL__N_19CustomSumEEEEE10hipError_tPvRmT0_T1_jT2_SS_T4_T3_P12ihipStream_tbEUlT_E_NS1_11comp_targetILNS1_3genE2ELNS1_11target_archE906ELNS1_3gpuE6ELNS1_3repE0EEENS1_30default_config_static_selectorELNS0_4arch9wavefront6targetE0EEEvSR_
	.p2align	8
	.type	_ZN7rocprim17ROCPRIM_400000_NS6detail17trampoline_kernelINS0_14default_configENS1_32segmented_reduce_config_selectorIN3c108BFloat16EEEZNS1_21segmented_reduce_implIS3_PKS6_PS6_PKlS6_N6hipcub16HIPCUB_304000_NS6detail27convert_result_type_wrapperISA_SB_N2at6native12_GLOBAL__N_19CustomSumEEEEE10hipError_tPvRmT0_T1_jT2_SS_T4_T3_P12ihipStream_tbEUlT_E_NS1_11comp_targetILNS1_3genE2ELNS1_11target_archE906ELNS1_3gpuE6ELNS1_3repE0EEENS1_30default_config_static_selectorELNS0_4arch9wavefront6targetE0EEEvSR_,@function
_ZN7rocprim17ROCPRIM_400000_NS6detail17trampoline_kernelINS0_14default_configENS1_32segmented_reduce_config_selectorIN3c108BFloat16EEEZNS1_21segmented_reduce_implIS3_PKS6_PS6_PKlS6_N6hipcub16HIPCUB_304000_NS6detail27convert_result_type_wrapperISA_SB_N2at6native12_GLOBAL__N_19CustomSumEEEEE10hipError_tPvRmT0_T1_jT2_SS_T4_T3_P12ihipStream_tbEUlT_E_NS1_11comp_targetILNS1_3genE2ELNS1_11target_archE906ELNS1_3gpuE6ELNS1_3repE0EEENS1_30default_config_static_selectorELNS0_4arch9wavefront6targetE0EEEvSR_: ; @_ZN7rocprim17ROCPRIM_400000_NS6detail17trampoline_kernelINS0_14default_configENS1_32segmented_reduce_config_selectorIN3c108BFloat16EEEZNS1_21segmented_reduce_implIS3_PKS6_PS6_PKlS6_N6hipcub16HIPCUB_304000_NS6detail27convert_result_type_wrapperISA_SB_N2at6native12_GLOBAL__N_19CustomSumEEEEE10hipError_tPvRmT0_T1_jT2_SS_T4_T3_P12ihipStream_tbEUlT_E_NS1_11comp_targetILNS1_3genE2ELNS1_11target_archE906ELNS1_3gpuE6ELNS1_3repE0EEENS1_30default_config_static_selectorELNS0_4arch9wavefront6targetE0EEEvSR_
; %bb.0:
	.section	.rodata,"a",@progbits
	.p2align	6, 0x0
	.amdhsa_kernel _ZN7rocprim17ROCPRIM_400000_NS6detail17trampoline_kernelINS0_14default_configENS1_32segmented_reduce_config_selectorIN3c108BFloat16EEEZNS1_21segmented_reduce_implIS3_PKS6_PS6_PKlS6_N6hipcub16HIPCUB_304000_NS6detail27convert_result_type_wrapperISA_SB_N2at6native12_GLOBAL__N_19CustomSumEEEEE10hipError_tPvRmT0_T1_jT2_SS_T4_T3_P12ihipStream_tbEUlT_E_NS1_11comp_targetILNS1_3genE2ELNS1_11target_archE906ELNS1_3gpuE6ELNS1_3repE0EEENS1_30default_config_static_selectorELNS0_4arch9wavefront6targetE0EEEvSR_
		.amdhsa_group_segment_fixed_size 0
		.amdhsa_private_segment_fixed_size 0
		.amdhsa_kernarg_size 48
		.amdhsa_user_sgpr_count 2
		.amdhsa_user_sgpr_dispatch_ptr 0
		.amdhsa_user_sgpr_queue_ptr 0
		.amdhsa_user_sgpr_kernarg_segment_ptr 1
		.amdhsa_user_sgpr_dispatch_id 0
		.amdhsa_user_sgpr_kernarg_preload_length 0
		.amdhsa_user_sgpr_kernarg_preload_offset 0
		.amdhsa_user_sgpr_private_segment_size 0
		.amdhsa_wavefront_size32 1
		.amdhsa_uses_dynamic_stack 0
		.amdhsa_enable_private_segment 0
		.amdhsa_system_sgpr_workgroup_id_x 1
		.amdhsa_system_sgpr_workgroup_id_y 0
		.amdhsa_system_sgpr_workgroup_id_z 0
		.amdhsa_system_sgpr_workgroup_info 0
		.amdhsa_system_vgpr_workitem_id 0
		.amdhsa_next_free_vgpr 1
		.amdhsa_next_free_sgpr 1
		.amdhsa_named_barrier_count 0
		.amdhsa_reserve_vcc 0
		.amdhsa_float_round_mode_32 0
		.amdhsa_float_round_mode_16_64 0
		.amdhsa_float_denorm_mode_32 3
		.amdhsa_float_denorm_mode_16_64 3
		.amdhsa_fp16_overflow 0
		.amdhsa_memory_ordered 1
		.amdhsa_forward_progress 1
		.amdhsa_inst_pref_size 0
		.amdhsa_round_robin_scheduling 0
		.amdhsa_exception_fp_ieee_invalid_op 0
		.amdhsa_exception_fp_denorm_src 0
		.amdhsa_exception_fp_ieee_div_zero 0
		.amdhsa_exception_fp_ieee_overflow 0
		.amdhsa_exception_fp_ieee_underflow 0
		.amdhsa_exception_fp_ieee_inexact 0
		.amdhsa_exception_int_div_zero 0
	.end_amdhsa_kernel
	.section	.text._ZN7rocprim17ROCPRIM_400000_NS6detail17trampoline_kernelINS0_14default_configENS1_32segmented_reduce_config_selectorIN3c108BFloat16EEEZNS1_21segmented_reduce_implIS3_PKS6_PS6_PKlS6_N6hipcub16HIPCUB_304000_NS6detail27convert_result_type_wrapperISA_SB_N2at6native12_GLOBAL__N_19CustomSumEEEEE10hipError_tPvRmT0_T1_jT2_SS_T4_T3_P12ihipStream_tbEUlT_E_NS1_11comp_targetILNS1_3genE2ELNS1_11target_archE906ELNS1_3gpuE6ELNS1_3repE0EEENS1_30default_config_static_selectorELNS0_4arch9wavefront6targetE0EEEvSR_,"axG",@progbits,_ZN7rocprim17ROCPRIM_400000_NS6detail17trampoline_kernelINS0_14default_configENS1_32segmented_reduce_config_selectorIN3c108BFloat16EEEZNS1_21segmented_reduce_implIS3_PKS6_PS6_PKlS6_N6hipcub16HIPCUB_304000_NS6detail27convert_result_type_wrapperISA_SB_N2at6native12_GLOBAL__N_19CustomSumEEEEE10hipError_tPvRmT0_T1_jT2_SS_T4_T3_P12ihipStream_tbEUlT_E_NS1_11comp_targetILNS1_3genE2ELNS1_11target_archE906ELNS1_3gpuE6ELNS1_3repE0EEENS1_30default_config_static_selectorELNS0_4arch9wavefront6targetE0EEEvSR_,comdat
.Lfunc_end260:
	.size	_ZN7rocprim17ROCPRIM_400000_NS6detail17trampoline_kernelINS0_14default_configENS1_32segmented_reduce_config_selectorIN3c108BFloat16EEEZNS1_21segmented_reduce_implIS3_PKS6_PS6_PKlS6_N6hipcub16HIPCUB_304000_NS6detail27convert_result_type_wrapperISA_SB_N2at6native12_GLOBAL__N_19CustomSumEEEEE10hipError_tPvRmT0_T1_jT2_SS_T4_T3_P12ihipStream_tbEUlT_E_NS1_11comp_targetILNS1_3genE2ELNS1_11target_archE906ELNS1_3gpuE6ELNS1_3repE0EEENS1_30default_config_static_selectorELNS0_4arch9wavefront6targetE0EEEvSR_, .Lfunc_end260-_ZN7rocprim17ROCPRIM_400000_NS6detail17trampoline_kernelINS0_14default_configENS1_32segmented_reduce_config_selectorIN3c108BFloat16EEEZNS1_21segmented_reduce_implIS3_PKS6_PS6_PKlS6_N6hipcub16HIPCUB_304000_NS6detail27convert_result_type_wrapperISA_SB_N2at6native12_GLOBAL__N_19CustomSumEEEEE10hipError_tPvRmT0_T1_jT2_SS_T4_T3_P12ihipStream_tbEUlT_E_NS1_11comp_targetILNS1_3genE2ELNS1_11target_archE906ELNS1_3gpuE6ELNS1_3repE0EEENS1_30default_config_static_selectorELNS0_4arch9wavefront6targetE0EEEvSR_
                                        ; -- End function
	.set _ZN7rocprim17ROCPRIM_400000_NS6detail17trampoline_kernelINS0_14default_configENS1_32segmented_reduce_config_selectorIN3c108BFloat16EEEZNS1_21segmented_reduce_implIS3_PKS6_PS6_PKlS6_N6hipcub16HIPCUB_304000_NS6detail27convert_result_type_wrapperISA_SB_N2at6native12_GLOBAL__N_19CustomSumEEEEE10hipError_tPvRmT0_T1_jT2_SS_T4_T3_P12ihipStream_tbEUlT_E_NS1_11comp_targetILNS1_3genE2ELNS1_11target_archE906ELNS1_3gpuE6ELNS1_3repE0EEENS1_30default_config_static_selectorELNS0_4arch9wavefront6targetE0EEEvSR_.num_vgpr, 0
	.set _ZN7rocprim17ROCPRIM_400000_NS6detail17trampoline_kernelINS0_14default_configENS1_32segmented_reduce_config_selectorIN3c108BFloat16EEEZNS1_21segmented_reduce_implIS3_PKS6_PS6_PKlS6_N6hipcub16HIPCUB_304000_NS6detail27convert_result_type_wrapperISA_SB_N2at6native12_GLOBAL__N_19CustomSumEEEEE10hipError_tPvRmT0_T1_jT2_SS_T4_T3_P12ihipStream_tbEUlT_E_NS1_11comp_targetILNS1_3genE2ELNS1_11target_archE906ELNS1_3gpuE6ELNS1_3repE0EEENS1_30default_config_static_selectorELNS0_4arch9wavefront6targetE0EEEvSR_.num_agpr, 0
	.set _ZN7rocprim17ROCPRIM_400000_NS6detail17trampoline_kernelINS0_14default_configENS1_32segmented_reduce_config_selectorIN3c108BFloat16EEEZNS1_21segmented_reduce_implIS3_PKS6_PS6_PKlS6_N6hipcub16HIPCUB_304000_NS6detail27convert_result_type_wrapperISA_SB_N2at6native12_GLOBAL__N_19CustomSumEEEEE10hipError_tPvRmT0_T1_jT2_SS_T4_T3_P12ihipStream_tbEUlT_E_NS1_11comp_targetILNS1_3genE2ELNS1_11target_archE906ELNS1_3gpuE6ELNS1_3repE0EEENS1_30default_config_static_selectorELNS0_4arch9wavefront6targetE0EEEvSR_.numbered_sgpr, 0
	.set _ZN7rocprim17ROCPRIM_400000_NS6detail17trampoline_kernelINS0_14default_configENS1_32segmented_reduce_config_selectorIN3c108BFloat16EEEZNS1_21segmented_reduce_implIS3_PKS6_PS6_PKlS6_N6hipcub16HIPCUB_304000_NS6detail27convert_result_type_wrapperISA_SB_N2at6native12_GLOBAL__N_19CustomSumEEEEE10hipError_tPvRmT0_T1_jT2_SS_T4_T3_P12ihipStream_tbEUlT_E_NS1_11comp_targetILNS1_3genE2ELNS1_11target_archE906ELNS1_3gpuE6ELNS1_3repE0EEENS1_30default_config_static_selectorELNS0_4arch9wavefront6targetE0EEEvSR_.num_named_barrier, 0
	.set _ZN7rocprim17ROCPRIM_400000_NS6detail17trampoline_kernelINS0_14default_configENS1_32segmented_reduce_config_selectorIN3c108BFloat16EEEZNS1_21segmented_reduce_implIS3_PKS6_PS6_PKlS6_N6hipcub16HIPCUB_304000_NS6detail27convert_result_type_wrapperISA_SB_N2at6native12_GLOBAL__N_19CustomSumEEEEE10hipError_tPvRmT0_T1_jT2_SS_T4_T3_P12ihipStream_tbEUlT_E_NS1_11comp_targetILNS1_3genE2ELNS1_11target_archE906ELNS1_3gpuE6ELNS1_3repE0EEENS1_30default_config_static_selectorELNS0_4arch9wavefront6targetE0EEEvSR_.private_seg_size, 0
	.set _ZN7rocprim17ROCPRIM_400000_NS6detail17trampoline_kernelINS0_14default_configENS1_32segmented_reduce_config_selectorIN3c108BFloat16EEEZNS1_21segmented_reduce_implIS3_PKS6_PS6_PKlS6_N6hipcub16HIPCUB_304000_NS6detail27convert_result_type_wrapperISA_SB_N2at6native12_GLOBAL__N_19CustomSumEEEEE10hipError_tPvRmT0_T1_jT2_SS_T4_T3_P12ihipStream_tbEUlT_E_NS1_11comp_targetILNS1_3genE2ELNS1_11target_archE906ELNS1_3gpuE6ELNS1_3repE0EEENS1_30default_config_static_selectorELNS0_4arch9wavefront6targetE0EEEvSR_.uses_vcc, 0
	.set _ZN7rocprim17ROCPRIM_400000_NS6detail17trampoline_kernelINS0_14default_configENS1_32segmented_reduce_config_selectorIN3c108BFloat16EEEZNS1_21segmented_reduce_implIS3_PKS6_PS6_PKlS6_N6hipcub16HIPCUB_304000_NS6detail27convert_result_type_wrapperISA_SB_N2at6native12_GLOBAL__N_19CustomSumEEEEE10hipError_tPvRmT0_T1_jT2_SS_T4_T3_P12ihipStream_tbEUlT_E_NS1_11comp_targetILNS1_3genE2ELNS1_11target_archE906ELNS1_3gpuE6ELNS1_3repE0EEENS1_30default_config_static_selectorELNS0_4arch9wavefront6targetE0EEEvSR_.uses_flat_scratch, 0
	.set _ZN7rocprim17ROCPRIM_400000_NS6detail17trampoline_kernelINS0_14default_configENS1_32segmented_reduce_config_selectorIN3c108BFloat16EEEZNS1_21segmented_reduce_implIS3_PKS6_PS6_PKlS6_N6hipcub16HIPCUB_304000_NS6detail27convert_result_type_wrapperISA_SB_N2at6native12_GLOBAL__N_19CustomSumEEEEE10hipError_tPvRmT0_T1_jT2_SS_T4_T3_P12ihipStream_tbEUlT_E_NS1_11comp_targetILNS1_3genE2ELNS1_11target_archE906ELNS1_3gpuE6ELNS1_3repE0EEENS1_30default_config_static_selectorELNS0_4arch9wavefront6targetE0EEEvSR_.has_dyn_sized_stack, 0
	.set _ZN7rocprim17ROCPRIM_400000_NS6detail17trampoline_kernelINS0_14default_configENS1_32segmented_reduce_config_selectorIN3c108BFloat16EEEZNS1_21segmented_reduce_implIS3_PKS6_PS6_PKlS6_N6hipcub16HIPCUB_304000_NS6detail27convert_result_type_wrapperISA_SB_N2at6native12_GLOBAL__N_19CustomSumEEEEE10hipError_tPvRmT0_T1_jT2_SS_T4_T3_P12ihipStream_tbEUlT_E_NS1_11comp_targetILNS1_3genE2ELNS1_11target_archE906ELNS1_3gpuE6ELNS1_3repE0EEENS1_30default_config_static_selectorELNS0_4arch9wavefront6targetE0EEEvSR_.has_recursion, 0
	.set _ZN7rocprim17ROCPRIM_400000_NS6detail17trampoline_kernelINS0_14default_configENS1_32segmented_reduce_config_selectorIN3c108BFloat16EEEZNS1_21segmented_reduce_implIS3_PKS6_PS6_PKlS6_N6hipcub16HIPCUB_304000_NS6detail27convert_result_type_wrapperISA_SB_N2at6native12_GLOBAL__N_19CustomSumEEEEE10hipError_tPvRmT0_T1_jT2_SS_T4_T3_P12ihipStream_tbEUlT_E_NS1_11comp_targetILNS1_3genE2ELNS1_11target_archE906ELNS1_3gpuE6ELNS1_3repE0EEENS1_30default_config_static_selectorELNS0_4arch9wavefront6targetE0EEEvSR_.has_indirect_call, 0
	.section	.AMDGPU.csdata,"",@progbits
; Kernel info:
; codeLenInByte = 0
; TotalNumSgprs: 0
; NumVgprs: 0
; ScratchSize: 0
; MemoryBound: 0
; FloatMode: 240
; IeeeMode: 1
; LDSByteSize: 0 bytes/workgroup (compile time only)
; SGPRBlocks: 0
; VGPRBlocks: 0
; NumSGPRsForWavesPerEU: 1
; NumVGPRsForWavesPerEU: 1
; NamedBarCnt: 0
; Occupancy: 16
; WaveLimiterHint : 0
; COMPUTE_PGM_RSRC2:SCRATCH_EN: 0
; COMPUTE_PGM_RSRC2:USER_SGPR: 2
; COMPUTE_PGM_RSRC2:TRAP_HANDLER: 0
; COMPUTE_PGM_RSRC2:TGID_X_EN: 1
; COMPUTE_PGM_RSRC2:TGID_Y_EN: 0
; COMPUTE_PGM_RSRC2:TGID_Z_EN: 0
; COMPUTE_PGM_RSRC2:TIDIG_COMP_CNT: 0
	.section	.text._ZN7rocprim17ROCPRIM_400000_NS6detail17trampoline_kernelINS0_14default_configENS1_32segmented_reduce_config_selectorIN3c108BFloat16EEEZNS1_21segmented_reduce_implIS3_PKS6_PS6_PKlS6_N6hipcub16HIPCUB_304000_NS6detail27convert_result_type_wrapperISA_SB_N2at6native12_GLOBAL__N_19CustomSumEEEEE10hipError_tPvRmT0_T1_jT2_SS_T4_T3_P12ihipStream_tbEUlT_E_NS1_11comp_targetILNS1_3genE9ELNS1_11target_archE1100ELNS1_3gpuE3ELNS1_3repE0EEENS1_30default_config_static_selectorELNS0_4arch9wavefront6targetE0EEEvSR_,"axG",@progbits,_ZN7rocprim17ROCPRIM_400000_NS6detail17trampoline_kernelINS0_14default_configENS1_32segmented_reduce_config_selectorIN3c108BFloat16EEEZNS1_21segmented_reduce_implIS3_PKS6_PS6_PKlS6_N6hipcub16HIPCUB_304000_NS6detail27convert_result_type_wrapperISA_SB_N2at6native12_GLOBAL__N_19CustomSumEEEEE10hipError_tPvRmT0_T1_jT2_SS_T4_T3_P12ihipStream_tbEUlT_E_NS1_11comp_targetILNS1_3genE9ELNS1_11target_archE1100ELNS1_3gpuE3ELNS1_3repE0EEENS1_30default_config_static_selectorELNS0_4arch9wavefront6targetE0EEEvSR_,comdat
	.globl	_ZN7rocprim17ROCPRIM_400000_NS6detail17trampoline_kernelINS0_14default_configENS1_32segmented_reduce_config_selectorIN3c108BFloat16EEEZNS1_21segmented_reduce_implIS3_PKS6_PS6_PKlS6_N6hipcub16HIPCUB_304000_NS6detail27convert_result_type_wrapperISA_SB_N2at6native12_GLOBAL__N_19CustomSumEEEEE10hipError_tPvRmT0_T1_jT2_SS_T4_T3_P12ihipStream_tbEUlT_E_NS1_11comp_targetILNS1_3genE9ELNS1_11target_archE1100ELNS1_3gpuE3ELNS1_3repE0EEENS1_30default_config_static_selectorELNS0_4arch9wavefront6targetE0EEEvSR_ ; -- Begin function _ZN7rocprim17ROCPRIM_400000_NS6detail17trampoline_kernelINS0_14default_configENS1_32segmented_reduce_config_selectorIN3c108BFloat16EEEZNS1_21segmented_reduce_implIS3_PKS6_PS6_PKlS6_N6hipcub16HIPCUB_304000_NS6detail27convert_result_type_wrapperISA_SB_N2at6native12_GLOBAL__N_19CustomSumEEEEE10hipError_tPvRmT0_T1_jT2_SS_T4_T3_P12ihipStream_tbEUlT_E_NS1_11comp_targetILNS1_3genE9ELNS1_11target_archE1100ELNS1_3gpuE3ELNS1_3repE0EEENS1_30default_config_static_selectorELNS0_4arch9wavefront6targetE0EEEvSR_
	.p2align	8
	.type	_ZN7rocprim17ROCPRIM_400000_NS6detail17trampoline_kernelINS0_14default_configENS1_32segmented_reduce_config_selectorIN3c108BFloat16EEEZNS1_21segmented_reduce_implIS3_PKS6_PS6_PKlS6_N6hipcub16HIPCUB_304000_NS6detail27convert_result_type_wrapperISA_SB_N2at6native12_GLOBAL__N_19CustomSumEEEEE10hipError_tPvRmT0_T1_jT2_SS_T4_T3_P12ihipStream_tbEUlT_E_NS1_11comp_targetILNS1_3genE9ELNS1_11target_archE1100ELNS1_3gpuE3ELNS1_3repE0EEENS1_30default_config_static_selectorELNS0_4arch9wavefront6targetE0EEEvSR_,@function
_ZN7rocprim17ROCPRIM_400000_NS6detail17trampoline_kernelINS0_14default_configENS1_32segmented_reduce_config_selectorIN3c108BFloat16EEEZNS1_21segmented_reduce_implIS3_PKS6_PS6_PKlS6_N6hipcub16HIPCUB_304000_NS6detail27convert_result_type_wrapperISA_SB_N2at6native12_GLOBAL__N_19CustomSumEEEEE10hipError_tPvRmT0_T1_jT2_SS_T4_T3_P12ihipStream_tbEUlT_E_NS1_11comp_targetILNS1_3genE9ELNS1_11target_archE1100ELNS1_3gpuE3ELNS1_3repE0EEENS1_30default_config_static_selectorELNS0_4arch9wavefront6targetE0EEEvSR_: ; @_ZN7rocprim17ROCPRIM_400000_NS6detail17trampoline_kernelINS0_14default_configENS1_32segmented_reduce_config_selectorIN3c108BFloat16EEEZNS1_21segmented_reduce_implIS3_PKS6_PS6_PKlS6_N6hipcub16HIPCUB_304000_NS6detail27convert_result_type_wrapperISA_SB_N2at6native12_GLOBAL__N_19CustomSumEEEEE10hipError_tPvRmT0_T1_jT2_SS_T4_T3_P12ihipStream_tbEUlT_E_NS1_11comp_targetILNS1_3genE9ELNS1_11target_archE1100ELNS1_3gpuE3ELNS1_3repE0EEENS1_30default_config_static_selectorELNS0_4arch9wavefront6targetE0EEEvSR_
; %bb.0:
	.section	.rodata,"a",@progbits
	.p2align	6, 0x0
	.amdhsa_kernel _ZN7rocprim17ROCPRIM_400000_NS6detail17trampoline_kernelINS0_14default_configENS1_32segmented_reduce_config_selectorIN3c108BFloat16EEEZNS1_21segmented_reduce_implIS3_PKS6_PS6_PKlS6_N6hipcub16HIPCUB_304000_NS6detail27convert_result_type_wrapperISA_SB_N2at6native12_GLOBAL__N_19CustomSumEEEEE10hipError_tPvRmT0_T1_jT2_SS_T4_T3_P12ihipStream_tbEUlT_E_NS1_11comp_targetILNS1_3genE9ELNS1_11target_archE1100ELNS1_3gpuE3ELNS1_3repE0EEENS1_30default_config_static_selectorELNS0_4arch9wavefront6targetE0EEEvSR_
		.amdhsa_group_segment_fixed_size 0
		.amdhsa_private_segment_fixed_size 0
		.amdhsa_kernarg_size 48
		.amdhsa_user_sgpr_count 2
		.amdhsa_user_sgpr_dispatch_ptr 0
		.amdhsa_user_sgpr_queue_ptr 0
		.amdhsa_user_sgpr_kernarg_segment_ptr 1
		.amdhsa_user_sgpr_dispatch_id 0
		.amdhsa_user_sgpr_kernarg_preload_length 0
		.amdhsa_user_sgpr_kernarg_preload_offset 0
		.amdhsa_user_sgpr_private_segment_size 0
		.amdhsa_wavefront_size32 1
		.amdhsa_uses_dynamic_stack 0
		.amdhsa_enable_private_segment 0
		.amdhsa_system_sgpr_workgroup_id_x 1
		.amdhsa_system_sgpr_workgroup_id_y 0
		.amdhsa_system_sgpr_workgroup_id_z 0
		.amdhsa_system_sgpr_workgroup_info 0
		.amdhsa_system_vgpr_workitem_id 0
		.amdhsa_next_free_vgpr 1
		.amdhsa_next_free_sgpr 1
		.amdhsa_named_barrier_count 0
		.amdhsa_reserve_vcc 0
		.amdhsa_float_round_mode_32 0
		.amdhsa_float_round_mode_16_64 0
		.amdhsa_float_denorm_mode_32 3
		.amdhsa_float_denorm_mode_16_64 3
		.amdhsa_fp16_overflow 0
		.amdhsa_memory_ordered 1
		.amdhsa_forward_progress 1
		.amdhsa_inst_pref_size 0
		.amdhsa_round_robin_scheduling 0
		.amdhsa_exception_fp_ieee_invalid_op 0
		.amdhsa_exception_fp_denorm_src 0
		.amdhsa_exception_fp_ieee_div_zero 0
		.amdhsa_exception_fp_ieee_overflow 0
		.amdhsa_exception_fp_ieee_underflow 0
		.amdhsa_exception_fp_ieee_inexact 0
		.amdhsa_exception_int_div_zero 0
	.end_amdhsa_kernel
	.section	.text._ZN7rocprim17ROCPRIM_400000_NS6detail17trampoline_kernelINS0_14default_configENS1_32segmented_reduce_config_selectorIN3c108BFloat16EEEZNS1_21segmented_reduce_implIS3_PKS6_PS6_PKlS6_N6hipcub16HIPCUB_304000_NS6detail27convert_result_type_wrapperISA_SB_N2at6native12_GLOBAL__N_19CustomSumEEEEE10hipError_tPvRmT0_T1_jT2_SS_T4_T3_P12ihipStream_tbEUlT_E_NS1_11comp_targetILNS1_3genE9ELNS1_11target_archE1100ELNS1_3gpuE3ELNS1_3repE0EEENS1_30default_config_static_selectorELNS0_4arch9wavefront6targetE0EEEvSR_,"axG",@progbits,_ZN7rocprim17ROCPRIM_400000_NS6detail17trampoline_kernelINS0_14default_configENS1_32segmented_reduce_config_selectorIN3c108BFloat16EEEZNS1_21segmented_reduce_implIS3_PKS6_PS6_PKlS6_N6hipcub16HIPCUB_304000_NS6detail27convert_result_type_wrapperISA_SB_N2at6native12_GLOBAL__N_19CustomSumEEEEE10hipError_tPvRmT0_T1_jT2_SS_T4_T3_P12ihipStream_tbEUlT_E_NS1_11comp_targetILNS1_3genE9ELNS1_11target_archE1100ELNS1_3gpuE3ELNS1_3repE0EEENS1_30default_config_static_selectorELNS0_4arch9wavefront6targetE0EEEvSR_,comdat
.Lfunc_end261:
	.size	_ZN7rocprim17ROCPRIM_400000_NS6detail17trampoline_kernelINS0_14default_configENS1_32segmented_reduce_config_selectorIN3c108BFloat16EEEZNS1_21segmented_reduce_implIS3_PKS6_PS6_PKlS6_N6hipcub16HIPCUB_304000_NS6detail27convert_result_type_wrapperISA_SB_N2at6native12_GLOBAL__N_19CustomSumEEEEE10hipError_tPvRmT0_T1_jT2_SS_T4_T3_P12ihipStream_tbEUlT_E_NS1_11comp_targetILNS1_3genE9ELNS1_11target_archE1100ELNS1_3gpuE3ELNS1_3repE0EEENS1_30default_config_static_selectorELNS0_4arch9wavefront6targetE0EEEvSR_, .Lfunc_end261-_ZN7rocprim17ROCPRIM_400000_NS6detail17trampoline_kernelINS0_14default_configENS1_32segmented_reduce_config_selectorIN3c108BFloat16EEEZNS1_21segmented_reduce_implIS3_PKS6_PS6_PKlS6_N6hipcub16HIPCUB_304000_NS6detail27convert_result_type_wrapperISA_SB_N2at6native12_GLOBAL__N_19CustomSumEEEEE10hipError_tPvRmT0_T1_jT2_SS_T4_T3_P12ihipStream_tbEUlT_E_NS1_11comp_targetILNS1_3genE9ELNS1_11target_archE1100ELNS1_3gpuE3ELNS1_3repE0EEENS1_30default_config_static_selectorELNS0_4arch9wavefront6targetE0EEEvSR_
                                        ; -- End function
	.set _ZN7rocprim17ROCPRIM_400000_NS6detail17trampoline_kernelINS0_14default_configENS1_32segmented_reduce_config_selectorIN3c108BFloat16EEEZNS1_21segmented_reduce_implIS3_PKS6_PS6_PKlS6_N6hipcub16HIPCUB_304000_NS6detail27convert_result_type_wrapperISA_SB_N2at6native12_GLOBAL__N_19CustomSumEEEEE10hipError_tPvRmT0_T1_jT2_SS_T4_T3_P12ihipStream_tbEUlT_E_NS1_11comp_targetILNS1_3genE9ELNS1_11target_archE1100ELNS1_3gpuE3ELNS1_3repE0EEENS1_30default_config_static_selectorELNS0_4arch9wavefront6targetE0EEEvSR_.num_vgpr, 0
	.set _ZN7rocprim17ROCPRIM_400000_NS6detail17trampoline_kernelINS0_14default_configENS1_32segmented_reduce_config_selectorIN3c108BFloat16EEEZNS1_21segmented_reduce_implIS3_PKS6_PS6_PKlS6_N6hipcub16HIPCUB_304000_NS6detail27convert_result_type_wrapperISA_SB_N2at6native12_GLOBAL__N_19CustomSumEEEEE10hipError_tPvRmT0_T1_jT2_SS_T4_T3_P12ihipStream_tbEUlT_E_NS1_11comp_targetILNS1_3genE9ELNS1_11target_archE1100ELNS1_3gpuE3ELNS1_3repE0EEENS1_30default_config_static_selectorELNS0_4arch9wavefront6targetE0EEEvSR_.num_agpr, 0
	.set _ZN7rocprim17ROCPRIM_400000_NS6detail17trampoline_kernelINS0_14default_configENS1_32segmented_reduce_config_selectorIN3c108BFloat16EEEZNS1_21segmented_reduce_implIS3_PKS6_PS6_PKlS6_N6hipcub16HIPCUB_304000_NS6detail27convert_result_type_wrapperISA_SB_N2at6native12_GLOBAL__N_19CustomSumEEEEE10hipError_tPvRmT0_T1_jT2_SS_T4_T3_P12ihipStream_tbEUlT_E_NS1_11comp_targetILNS1_3genE9ELNS1_11target_archE1100ELNS1_3gpuE3ELNS1_3repE0EEENS1_30default_config_static_selectorELNS0_4arch9wavefront6targetE0EEEvSR_.numbered_sgpr, 0
	.set _ZN7rocprim17ROCPRIM_400000_NS6detail17trampoline_kernelINS0_14default_configENS1_32segmented_reduce_config_selectorIN3c108BFloat16EEEZNS1_21segmented_reduce_implIS3_PKS6_PS6_PKlS6_N6hipcub16HIPCUB_304000_NS6detail27convert_result_type_wrapperISA_SB_N2at6native12_GLOBAL__N_19CustomSumEEEEE10hipError_tPvRmT0_T1_jT2_SS_T4_T3_P12ihipStream_tbEUlT_E_NS1_11comp_targetILNS1_3genE9ELNS1_11target_archE1100ELNS1_3gpuE3ELNS1_3repE0EEENS1_30default_config_static_selectorELNS0_4arch9wavefront6targetE0EEEvSR_.num_named_barrier, 0
	.set _ZN7rocprim17ROCPRIM_400000_NS6detail17trampoline_kernelINS0_14default_configENS1_32segmented_reduce_config_selectorIN3c108BFloat16EEEZNS1_21segmented_reduce_implIS3_PKS6_PS6_PKlS6_N6hipcub16HIPCUB_304000_NS6detail27convert_result_type_wrapperISA_SB_N2at6native12_GLOBAL__N_19CustomSumEEEEE10hipError_tPvRmT0_T1_jT2_SS_T4_T3_P12ihipStream_tbEUlT_E_NS1_11comp_targetILNS1_3genE9ELNS1_11target_archE1100ELNS1_3gpuE3ELNS1_3repE0EEENS1_30default_config_static_selectorELNS0_4arch9wavefront6targetE0EEEvSR_.private_seg_size, 0
	.set _ZN7rocprim17ROCPRIM_400000_NS6detail17trampoline_kernelINS0_14default_configENS1_32segmented_reduce_config_selectorIN3c108BFloat16EEEZNS1_21segmented_reduce_implIS3_PKS6_PS6_PKlS6_N6hipcub16HIPCUB_304000_NS6detail27convert_result_type_wrapperISA_SB_N2at6native12_GLOBAL__N_19CustomSumEEEEE10hipError_tPvRmT0_T1_jT2_SS_T4_T3_P12ihipStream_tbEUlT_E_NS1_11comp_targetILNS1_3genE9ELNS1_11target_archE1100ELNS1_3gpuE3ELNS1_3repE0EEENS1_30default_config_static_selectorELNS0_4arch9wavefront6targetE0EEEvSR_.uses_vcc, 0
	.set _ZN7rocprim17ROCPRIM_400000_NS6detail17trampoline_kernelINS0_14default_configENS1_32segmented_reduce_config_selectorIN3c108BFloat16EEEZNS1_21segmented_reduce_implIS3_PKS6_PS6_PKlS6_N6hipcub16HIPCUB_304000_NS6detail27convert_result_type_wrapperISA_SB_N2at6native12_GLOBAL__N_19CustomSumEEEEE10hipError_tPvRmT0_T1_jT2_SS_T4_T3_P12ihipStream_tbEUlT_E_NS1_11comp_targetILNS1_3genE9ELNS1_11target_archE1100ELNS1_3gpuE3ELNS1_3repE0EEENS1_30default_config_static_selectorELNS0_4arch9wavefront6targetE0EEEvSR_.uses_flat_scratch, 0
	.set _ZN7rocprim17ROCPRIM_400000_NS6detail17trampoline_kernelINS0_14default_configENS1_32segmented_reduce_config_selectorIN3c108BFloat16EEEZNS1_21segmented_reduce_implIS3_PKS6_PS6_PKlS6_N6hipcub16HIPCUB_304000_NS6detail27convert_result_type_wrapperISA_SB_N2at6native12_GLOBAL__N_19CustomSumEEEEE10hipError_tPvRmT0_T1_jT2_SS_T4_T3_P12ihipStream_tbEUlT_E_NS1_11comp_targetILNS1_3genE9ELNS1_11target_archE1100ELNS1_3gpuE3ELNS1_3repE0EEENS1_30default_config_static_selectorELNS0_4arch9wavefront6targetE0EEEvSR_.has_dyn_sized_stack, 0
	.set _ZN7rocprim17ROCPRIM_400000_NS6detail17trampoline_kernelINS0_14default_configENS1_32segmented_reduce_config_selectorIN3c108BFloat16EEEZNS1_21segmented_reduce_implIS3_PKS6_PS6_PKlS6_N6hipcub16HIPCUB_304000_NS6detail27convert_result_type_wrapperISA_SB_N2at6native12_GLOBAL__N_19CustomSumEEEEE10hipError_tPvRmT0_T1_jT2_SS_T4_T3_P12ihipStream_tbEUlT_E_NS1_11comp_targetILNS1_3genE9ELNS1_11target_archE1100ELNS1_3gpuE3ELNS1_3repE0EEENS1_30default_config_static_selectorELNS0_4arch9wavefront6targetE0EEEvSR_.has_recursion, 0
	.set _ZN7rocprim17ROCPRIM_400000_NS6detail17trampoline_kernelINS0_14default_configENS1_32segmented_reduce_config_selectorIN3c108BFloat16EEEZNS1_21segmented_reduce_implIS3_PKS6_PS6_PKlS6_N6hipcub16HIPCUB_304000_NS6detail27convert_result_type_wrapperISA_SB_N2at6native12_GLOBAL__N_19CustomSumEEEEE10hipError_tPvRmT0_T1_jT2_SS_T4_T3_P12ihipStream_tbEUlT_E_NS1_11comp_targetILNS1_3genE9ELNS1_11target_archE1100ELNS1_3gpuE3ELNS1_3repE0EEENS1_30default_config_static_selectorELNS0_4arch9wavefront6targetE0EEEvSR_.has_indirect_call, 0
	.section	.AMDGPU.csdata,"",@progbits
; Kernel info:
; codeLenInByte = 0
; TotalNumSgprs: 0
; NumVgprs: 0
; ScratchSize: 0
; MemoryBound: 0
; FloatMode: 240
; IeeeMode: 1
; LDSByteSize: 0 bytes/workgroup (compile time only)
; SGPRBlocks: 0
; VGPRBlocks: 0
; NumSGPRsForWavesPerEU: 1
; NumVGPRsForWavesPerEU: 1
; NamedBarCnt: 0
; Occupancy: 16
; WaveLimiterHint : 0
; COMPUTE_PGM_RSRC2:SCRATCH_EN: 0
; COMPUTE_PGM_RSRC2:USER_SGPR: 2
; COMPUTE_PGM_RSRC2:TRAP_HANDLER: 0
; COMPUTE_PGM_RSRC2:TGID_X_EN: 1
; COMPUTE_PGM_RSRC2:TGID_Y_EN: 0
; COMPUTE_PGM_RSRC2:TGID_Z_EN: 0
; COMPUTE_PGM_RSRC2:TIDIG_COMP_CNT: 0
	.section	.text._ZN7rocprim17ROCPRIM_400000_NS6detail17trampoline_kernelINS0_14default_configENS1_32segmented_reduce_config_selectorIN3c108BFloat16EEEZNS1_21segmented_reduce_implIS3_PKS6_PS6_PKlS6_N6hipcub16HIPCUB_304000_NS6detail27convert_result_type_wrapperISA_SB_N2at6native12_GLOBAL__N_19CustomSumEEEEE10hipError_tPvRmT0_T1_jT2_SS_T4_T3_P12ihipStream_tbEUlT_E_NS1_11comp_targetILNS1_3genE8ELNS1_11target_archE1030ELNS1_3gpuE2ELNS1_3repE0EEENS1_30default_config_static_selectorELNS0_4arch9wavefront6targetE0EEEvSR_,"axG",@progbits,_ZN7rocprim17ROCPRIM_400000_NS6detail17trampoline_kernelINS0_14default_configENS1_32segmented_reduce_config_selectorIN3c108BFloat16EEEZNS1_21segmented_reduce_implIS3_PKS6_PS6_PKlS6_N6hipcub16HIPCUB_304000_NS6detail27convert_result_type_wrapperISA_SB_N2at6native12_GLOBAL__N_19CustomSumEEEEE10hipError_tPvRmT0_T1_jT2_SS_T4_T3_P12ihipStream_tbEUlT_E_NS1_11comp_targetILNS1_3genE8ELNS1_11target_archE1030ELNS1_3gpuE2ELNS1_3repE0EEENS1_30default_config_static_selectorELNS0_4arch9wavefront6targetE0EEEvSR_,comdat
	.globl	_ZN7rocprim17ROCPRIM_400000_NS6detail17trampoline_kernelINS0_14default_configENS1_32segmented_reduce_config_selectorIN3c108BFloat16EEEZNS1_21segmented_reduce_implIS3_PKS6_PS6_PKlS6_N6hipcub16HIPCUB_304000_NS6detail27convert_result_type_wrapperISA_SB_N2at6native12_GLOBAL__N_19CustomSumEEEEE10hipError_tPvRmT0_T1_jT2_SS_T4_T3_P12ihipStream_tbEUlT_E_NS1_11comp_targetILNS1_3genE8ELNS1_11target_archE1030ELNS1_3gpuE2ELNS1_3repE0EEENS1_30default_config_static_selectorELNS0_4arch9wavefront6targetE0EEEvSR_ ; -- Begin function _ZN7rocprim17ROCPRIM_400000_NS6detail17trampoline_kernelINS0_14default_configENS1_32segmented_reduce_config_selectorIN3c108BFloat16EEEZNS1_21segmented_reduce_implIS3_PKS6_PS6_PKlS6_N6hipcub16HIPCUB_304000_NS6detail27convert_result_type_wrapperISA_SB_N2at6native12_GLOBAL__N_19CustomSumEEEEE10hipError_tPvRmT0_T1_jT2_SS_T4_T3_P12ihipStream_tbEUlT_E_NS1_11comp_targetILNS1_3genE8ELNS1_11target_archE1030ELNS1_3gpuE2ELNS1_3repE0EEENS1_30default_config_static_selectorELNS0_4arch9wavefront6targetE0EEEvSR_
	.p2align	8
	.type	_ZN7rocprim17ROCPRIM_400000_NS6detail17trampoline_kernelINS0_14default_configENS1_32segmented_reduce_config_selectorIN3c108BFloat16EEEZNS1_21segmented_reduce_implIS3_PKS6_PS6_PKlS6_N6hipcub16HIPCUB_304000_NS6detail27convert_result_type_wrapperISA_SB_N2at6native12_GLOBAL__N_19CustomSumEEEEE10hipError_tPvRmT0_T1_jT2_SS_T4_T3_P12ihipStream_tbEUlT_E_NS1_11comp_targetILNS1_3genE8ELNS1_11target_archE1030ELNS1_3gpuE2ELNS1_3repE0EEENS1_30default_config_static_selectorELNS0_4arch9wavefront6targetE0EEEvSR_,@function
_ZN7rocprim17ROCPRIM_400000_NS6detail17trampoline_kernelINS0_14default_configENS1_32segmented_reduce_config_selectorIN3c108BFloat16EEEZNS1_21segmented_reduce_implIS3_PKS6_PS6_PKlS6_N6hipcub16HIPCUB_304000_NS6detail27convert_result_type_wrapperISA_SB_N2at6native12_GLOBAL__N_19CustomSumEEEEE10hipError_tPvRmT0_T1_jT2_SS_T4_T3_P12ihipStream_tbEUlT_E_NS1_11comp_targetILNS1_3genE8ELNS1_11target_archE1030ELNS1_3gpuE2ELNS1_3repE0EEENS1_30default_config_static_selectorELNS0_4arch9wavefront6targetE0EEEvSR_: ; @_ZN7rocprim17ROCPRIM_400000_NS6detail17trampoline_kernelINS0_14default_configENS1_32segmented_reduce_config_selectorIN3c108BFloat16EEEZNS1_21segmented_reduce_implIS3_PKS6_PS6_PKlS6_N6hipcub16HIPCUB_304000_NS6detail27convert_result_type_wrapperISA_SB_N2at6native12_GLOBAL__N_19CustomSumEEEEE10hipError_tPvRmT0_T1_jT2_SS_T4_T3_P12ihipStream_tbEUlT_E_NS1_11comp_targetILNS1_3genE8ELNS1_11target_archE1030ELNS1_3gpuE2ELNS1_3repE0EEENS1_30default_config_static_selectorELNS0_4arch9wavefront6targetE0EEEvSR_
; %bb.0:
	.section	.rodata,"a",@progbits
	.p2align	6, 0x0
	.amdhsa_kernel _ZN7rocprim17ROCPRIM_400000_NS6detail17trampoline_kernelINS0_14default_configENS1_32segmented_reduce_config_selectorIN3c108BFloat16EEEZNS1_21segmented_reduce_implIS3_PKS6_PS6_PKlS6_N6hipcub16HIPCUB_304000_NS6detail27convert_result_type_wrapperISA_SB_N2at6native12_GLOBAL__N_19CustomSumEEEEE10hipError_tPvRmT0_T1_jT2_SS_T4_T3_P12ihipStream_tbEUlT_E_NS1_11comp_targetILNS1_3genE8ELNS1_11target_archE1030ELNS1_3gpuE2ELNS1_3repE0EEENS1_30default_config_static_selectorELNS0_4arch9wavefront6targetE0EEEvSR_
		.amdhsa_group_segment_fixed_size 0
		.amdhsa_private_segment_fixed_size 0
		.amdhsa_kernarg_size 48
		.amdhsa_user_sgpr_count 2
		.amdhsa_user_sgpr_dispatch_ptr 0
		.amdhsa_user_sgpr_queue_ptr 0
		.amdhsa_user_sgpr_kernarg_segment_ptr 1
		.amdhsa_user_sgpr_dispatch_id 0
		.amdhsa_user_sgpr_kernarg_preload_length 0
		.amdhsa_user_sgpr_kernarg_preload_offset 0
		.amdhsa_user_sgpr_private_segment_size 0
		.amdhsa_wavefront_size32 1
		.amdhsa_uses_dynamic_stack 0
		.amdhsa_enable_private_segment 0
		.amdhsa_system_sgpr_workgroup_id_x 1
		.amdhsa_system_sgpr_workgroup_id_y 0
		.amdhsa_system_sgpr_workgroup_id_z 0
		.amdhsa_system_sgpr_workgroup_info 0
		.amdhsa_system_vgpr_workitem_id 0
		.amdhsa_next_free_vgpr 1
		.amdhsa_next_free_sgpr 1
		.amdhsa_named_barrier_count 0
		.amdhsa_reserve_vcc 0
		.amdhsa_float_round_mode_32 0
		.amdhsa_float_round_mode_16_64 0
		.amdhsa_float_denorm_mode_32 3
		.amdhsa_float_denorm_mode_16_64 3
		.amdhsa_fp16_overflow 0
		.amdhsa_memory_ordered 1
		.amdhsa_forward_progress 1
		.amdhsa_inst_pref_size 0
		.amdhsa_round_robin_scheduling 0
		.amdhsa_exception_fp_ieee_invalid_op 0
		.amdhsa_exception_fp_denorm_src 0
		.amdhsa_exception_fp_ieee_div_zero 0
		.amdhsa_exception_fp_ieee_overflow 0
		.amdhsa_exception_fp_ieee_underflow 0
		.amdhsa_exception_fp_ieee_inexact 0
		.amdhsa_exception_int_div_zero 0
	.end_amdhsa_kernel
	.section	.text._ZN7rocprim17ROCPRIM_400000_NS6detail17trampoline_kernelINS0_14default_configENS1_32segmented_reduce_config_selectorIN3c108BFloat16EEEZNS1_21segmented_reduce_implIS3_PKS6_PS6_PKlS6_N6hipcub16HIPCUB_304000_NS6detail27convert_result_type_wrapperISA_SB_N2at6native12_GLOBAL__N_19CustomSumEEEEE10hipError_tPvRmT0_T1_jT2_SS_T4_T3_P12ihipStream_tbEUlT_E_NS1_11comp_targetILNS1_3genE8ELNS1_11target_archE1030ELNS1_3gpuE2ELNS1_3repE0EEENS1_30default_config_static_selectorELNS0_4arch9wavefront6targetE0EEEvSR_,"axG",@progbits,_ZN7rocprim17ROCPRIM_400000_NS6detail17trampoline_kernelINS0_14default_configENS1_32segmented_reduce_config_selectorIN3c108BFloat16EEEZNS1_21segmented_reduce_implIS3_PKS6_PS6_PKlS6_N6hipcub16HIPCUB_304000_NS6detail27convert_result_type_wrapperISA_SB_N2at6native12_GLOBAL__N_19CustomSumEEEEE10hipError_tPvRmT0_T1_jT2_SS_T4_T3_P12ihipStream_tbEUlT_E_NS1_11comp_targetILNS1_3genE8ELNS1_11target_archE1030ELNS1_3gpuE2ELNS1_3repE0EEENS1_30default_config_static_selectorELNS0_4arch9wavefront6targetE0EEEvSR_,comdat
.Lfunc_end262:
	.size	_ZN7rocprim17ROCPRIM_400000_NS6detail17trampoline_kernelINS0_14default_configENS1_32segmented_reduce_config_selectorIN3c108BFloat16EEEZNS1_21segmented_reduce_implIS3_PKS6_PS6_PKlS6_N6hipcub16HIPCUB_304000_NS6detail27convert_result_type_wrapperISA_SB_N2at6native12_GLOBAL__N_19CustomSumEEEEE10hipError_tPvRmT0_T1_jT2_SS_T4_T3_P12ihipStream_tbEUlT_E_NS1_11comp_targetILNS1_3genE8ELNS1_11target_archE1030ELNS1_3gpuE2ELNS1_3repE0EEENS1_30default_config_static_selectorELNS0_4arch9wavefront6targetE0EEEvSR_, .Lfunc_end262-_ZN7rocprim17ROCPRIM_400000_NS6detail17trampoline_kernelINS0_14default_configENS1_32segmented_reduce_config_selectorIN3c108BFloat16EEEZNS1_21segmented_reduce_implIS3_PKS6_PS6_PKlS6_N6hipcub16HIPCUB_304000_NS6detail27convert_result_type_wrapperISA_SB_N2at6native12_GLOBAL__N_19CustomSumEEEEE10hipError_tPvRmT0_T1_jT2_SS_T4_T3_P12ihipStream_tbEUlT_E_NS1_11comp_targetILNS1_3genE8ELNS1_11target_archE1030ELNS1_3gpuE2ELNS1_3repE0EEENS1_30default_config_static_selectorELNS0_4arch9wavefront6targetE0EEEvSR_
                                        ; -- End function
	.set _ZN7rocprim17ROCPRIM_400000_NS6detail17trampoline_kernelINS0_14default_configENS1_32segmented_reduce_config_selectorIN3c108BFloat16EEEZNS1_21segmented_reduce_implIS3_PKS6_PS6_PKlS6_N6hipcub16HIPCUB_304000_NS6detail27convert_result_type_wrapperISA_SB_N2at6native12_GLOBAL__N_19CustomSumEEEEE10hipError_tPvRmT0_T1_jT2_SS_T4_T3_P12ihipStream_tbEUlT_E_NS1_11comp_targetILNS1_3genE8ELNS1_11target_archE1030ELNS1_3gpuE2ELNS1_3repE0EEENS1_30default_config_static_selectorELNS0_4arch9wavefront6targetE0EEEvSR_.num_vgpr, 0
	.set _ZN7rocprim17ROCPRIM_400000_NS6detail17trampoline_kernelINS0_14default_configENS1_32segmented_reduce_config_selectorIN3c108BFloat16EEEZNS1_21segmented_reduce_implIS3_PKS6_PS6_PKlS6_N6hipcub16HIPCUB_304000_NS6detail27convert_result_type_wrapperISA_SB_N2at6native12_GLOBAL__N_19CustomSumEEEEE10hipError_tPvRmT0_T1_jT2_SS_T4_T3_P12ihipStream_tbEUlT_E_NS1_11comp_targetILNS1_3genE8ELNS1_11target_archE1030ELNS1_3gpuE2ELNS1_3repE0EEENS1_30default_config_static_selectorELNS0_4arch9wavefront6targetE0EEEvSR_.num_agpr, 0
	.set _ZN7rocprim17ROCPRIM_400000_NS6detail17trampoline_kernelINS0_14default_configENS1_32segmented_reduce_config_selectorIN3c108BFloat16EEEZNS1_21segmented_reduce_implIS3_PKS6_PS6_PKlS6_N6hipcub16HIPCUB_304000_NS6detail27convert_result_type_wrapperISA_SB_N2at6native12_GLOBAL__N_19CustomSumEEEEE10hipError_tPvRmT0_T1_jT2_SS_T4_T3_P12ihipStream_tbEUlT_E_NS1_11comp_targetILNS1_3genE8ELNS1_11target_archE1030ELNS1_3gpuE2ELNS1_3repE0EEENS1_30default_config_static_selectorELNS0_4arch9wavefront6targetE0EEEvSR_.numbered_sgpr, 0
	.set _ZN7rocprim17ROCPRIM_400000_NS6detail17trampoline_kernelINS0_14default_configENS1_32segmented_reduce_config_selectorIN3c108BFloat16EEEZNS1_21segmented_reduce_implIS3_PKS6_PS6_PKlS6_N6hipcub16HIPCUB_304000_NS6detail27convert_result_type_wrapperISA_SB_N2at6native12_GLOBAL__N_19CustomSumEEEEE10hipError_tPvRmT0_T1_jT2_SS_T4_T3_P12ihipStream_tbEUlT_E_NS1_11comp_targetILNS1_3genE8ELNS1_11target_archE1030ELNS1_3gpuE2ELNS1_3repE0EEENS1_30default_config_static_selectorELNS0_4arch9wavefront6targetE0EEEvSR_.num_named_barrier, 0
	.set _ZN7rocprim17ROCPRIM_400000_NS6detail17trampoline_kernelINS0_14default_configENS1_32segmented_reduce_config_selectorIN3c108BFloat16EEEZNS1_21segmented_reduce_implIS3_PKS6_PS6_PKlS6_N6hipcub16HIPCUB_304000_NS6detail27convert_result_type_wrapperISA_SB_N2at6native12_GLOBAL__N_19CustomSumEEEEE10hipError_tPvRmT0_T1_jT2_SS_T4_T3_P12ihipStream_tbEUlT_E_NS1_11comp_targetILNS1_3genE8ELNS1_11target_archE1030ELNS1_3gpuE2ELNS1_3repE0EEENS1_30default_config_static_selectorELNS0_4arch9wavefront6targetE0EEEvSR_.private_seg_size, 0
	.set _ZN7rocprim17ROCPRIM_400000_NS6detail17trampoline_kernelINS0_14default_configENS1_32segmented_reduce_config_selectorIN3c108BFloat16EEEZNS1_21segmented_reduce_implIS3_PKS6_PS6_PKlS6_N6hipcub16HIPCUB_304000_NS6detail27convert_result_type_wrapperISA_SB_N2at6native12_GLOBAL__N_19CustomSumEEEEE10hipError_tPvRmT0_T1_jT2_SS_T4_T3_P12ihipStream_tbEUlT_E_NS1_11comp_targetILNS1_3genE8ELNS1_11target_archE1030ELNS1_3gpuE2ELNS1_3repE0EEENS1_30default_config_static_selectorELNS0_4arch9wavefront6targetE0EEEvSR_.uses_vcc, 0
	.set _ZN7rocprim17ROCPRIM_400000_NS6detail17trampoline_kernelINS0_14default_configENS1_32segmented_reduce_config_selectorIN3c108BFloat16EEEZNS1_21segmented_reduce_implIS3_PKS6_PS6_PKlS6_N6hipcub16HIPCUB_304000_NS6detail27convert_result_type_wrapperISA_SB_N2at6native12_GLOBAL__N_19CustomSumEEEEE10hipError_tPvRmT0_T1_jT2_SS_T4_T3_P12ihipStream_tbEUlT_E_NS1_11comp_targetILNS1_3genE8ELNS1_11target_archE1030ELNS1_3gpuE2ELNS1_3repE0EEENS1_30default_config_static_selectorELNS0_4arch9wavefront6targetE0EEEvSR_.uses_flat_scratch, 0
	.set _ZN7rocprim17ROCPRIM_400000_NS6detail17trampoline_kernelINS0_14default_configENS1_32segmented_reduce_config_selectorIN3c108BFloat16EEEZNS1_21segmented_reduce_implIS3_PKS6_PS6_PKlS6_N6hipcub16HIPCUB_304000_NS6detail27convert_result_type_wrapperISA_SB_N2at6native12_GLOBAL__N_19CustomSumEEEEE10hipError_tPvRmT0_T1_jT2_SS_T4_T3_P12ihipStream_tbEUlT_E_NS1_11comp_targetILNS1_3genE8ELNS1_11target_archE1030ELNS1_3gpuE2ELNS1_3repE0EEENS1_30default_config_static_selectorELNS0_4arch9wavefront6targetE0EEEvSR_.has_dyn_sized_stack, 0
	.set _ZN7rocprim17ROCPRIM_400000_NS6detail17trampoline_kernelINS0_14default_configENS1_32segmented_reduce_config_selectorIN3c108BFloat16EEEZNS1_21segmented_reduce_implIS3_PKS6_PS6_PKlS6_N6hipcub16HIPCUB_304000_NS6detail27convert_result_type_wrapperISA_SB_N2at6native12_GLOBAL__N_19CustomSumEEEEE10hipError_tPvRmT0_T1_jT2_SS_T4_T3_P12ihipStream_tbEUlT_E_NS1_11comp_targetILNS1_3genE8ELNS1_11target_archE1030ELNS1_3gpuE2ELNS1_3repE0EEENS1_30default_config_static_selectorELNS0_4arch9wavefront6targetE0EEEvSR_.has_recursion, 0
	.set _ZN7rocprim17ROCPRIM_400000_NS6detail17trampoline_kernelINS0_14default_configENS1_32segmented_reduce_config_selectorIN3c108BFloat16EEEZNS1_21segmented_reduce_implIS3_PKS6_PS6_PKlS6_N6hipcub16HIPCUB_304000_NS6detail27convert_result_type_wrapperISA_SB_N2at6native12_GLOBAL__N_19CustomSumEEEEE10hipError_tPvRmT0_T1_jT2_SS_T4_T3_P12ihipStream_tbEUlT_E_NS1_11comp_targetILNS1_3genE8ELNS1_11target_archE1030ELNS1_3gpuE2ELNS1_3repE0EEENS1_30default_config_static_selectorELNS0_4arch9wavefront6targetE0EEEvSR_.has_indirect_call, 0
	.section	.AMDGPU.csdata,"",@progbits
; Kernel info:
; codeLenInByte = 0
; TotalNumSgprs: 0
; NumVgprs: 0
; ScratchSize: 0
; MemoryBound: 0
; FloatMode: 240
; IeeeMode: 1
; LDSByteSize: 0 bytes/workgroup (compile time only)
; SGPRBlocks: 0
; VGPRBlocks: 0
; NumSGPRsForWavesPerEU: 1
; NumVGPRsForWavesPerEU: 1
; NamedBarCnt: 0
; Occupancy: 16
; WaveLimiterHint : 0
; COMPUTE_PGM_RSRC2:SCRATCH_EN: 0
; COMPUTE_PGM_RSRC2:USER_SGPR: 2
; COMPUTE_PGM_RSRC2:TRAP_HANDLER: 0
; COMPUTE_PGM_RSRC2:TGID_X_EN: 1
; COMPUTE_PGM_RSRC2:TGID_Y_EN: 0
; COMPUTE_PGM_RSRC2:TGID_Z_EN: 0
; COMPUTE_PGM_RSRC2:TIDIG_COMP_CNT: 0
	.section	.text._ZN2at6native12_GLOBAL__N_119post_sum_div_kernelIN3c108BFloat16ElEEvPT_PKT0_lbS5_,"axG",@progbits,_ZN2at6native12_GLOBAL__N_119post_sum_div_kernelIN3c108BFloat16ElEEvPT_PKT0_lbS5_,comdat
	.globl	_ZN2at6native12_GLOBAL__N_119post_sum_div_kernelIN3c108BFloat16ElEEvPT_PKT0_lbS5_ ; -- Begin function _ZN2at6native12_GLOBAL__N_119post_sum_div_kernelIN3c108BFloat16ElEEvPT_PKT0_lbS5_
	.p2align	8
	.type	_ZN2at6native12_GLOBAL__N_119post_sum_div_kernelIN3c108BFloat16ElEEvPT_PKT0_lbS5_,@function
_ZN2at6native12_GLOBAL__N_119post_sum_div_kernelIN3c108BFloat16ElEEvPT_PKT0_lbS5_: ; @_ZN2at6native12_GLOBAL__N_119post_sum_div_kernelIN3c108BFloat16ElEEvPT_PKT0_lbS5_
; %bb.0:
	s_clause 0x1
	s_load_b32 s4, s[0:1], 0x2c
	s_load_b64 s[2:3], s[0:1], 0x10
	s_bfe_u32 s5, ttmp6, 0x4000c
	s_and_b32 s6, ttmp6, 15
	s_add_co_i32 s5, s5, 1
	s_getreg_b32 s7, hwreg(HW_REG_IB_STS2, 6, 4)
	s_mul_i32 s5, ttmp9, s5
	v_mov_b32_e32 v1, 0
	s_add_co_i32 s6, s6, s5
	s_mov_b32 s9, 0
	s_wait_kmcnt 0x0
	s_and_b32 s8, s4, 0xffff
	s_cmp_eq_u32 s7, 0
	s_cselect_b32 s4, ttmp9, s6
	s_delay_alu instid0(SALU_CYCLE_1) | instskip(SKIP_1) | instid1(VALU_DEP_1)
	v_mad_nc_u64_u32 v[2:3], s8, s4, v[0:1]
	s_mov_b32 s4, exec_lo
	v_cmpx_gt_i64_e64 s[2:3], v[2:3]
	s_cbranch_execz .LBB263_12
; %bb.1:
	s_load_b32 s12, s[0:1], 0x18
	s_add_nc_u64 s[10:11], s[0:1], 32
	s_load_b32 s13, s[10:11], 0x0
	s_load_b128 s[4:7], s[0:1], 0x0
	v_dual_mov_b32 v0, v1 :: v_dual_mov_b32 v1, v2
	s_wait_xcnt 0x0
	s_mov_b32 s0, s9
	s_mov_b32 s11, s9
                                        ; implicit-def: $sgpr14
	s_wait_kmcnt 0x0
	s_and_b32 s1, 1, s12
	s_lshr_b32 s10, s12, 16
	s_cmp_eq_u32 s1, 1
	s_mul_i32 s8, s13, s8
	s_cselect_b32 s10, s10, 0x7fc0
	s_mov_b32 s1, s8
                                        ; implicit-def: $sgpr12
                                        ; implicit-def: $sgpr13
.LBB263_2:                              ; =>This Inner Loop Header: Depth=1
	v_ashrrev_i64 v[4:5], 29, v[0:1]
	s_or_b32 s13, s13, exec_lo
	s_or_b32 s14, s14, exec_lo
	s_mov_b32 s15, exec_lo
	s_delay_alu instid0(VALU_DEP_1)
	v_add_nc_u64_e32 v[4:5], s[6:7], v[4:5]
	global_load_b64 v[6:7], v[4:5], off
	s_wait_loadcnt 0x0
	s_wait_xcnt 0x0
	v_cmpx_lt_i64_e32 -1, v[6:7]
	s_cbranch_execz .LBB263_10
; %bb.3:                                ;   in Loop: Header=BB263_2 Depth=1
	v_dual_mov_b32 v4, v1 :: v_dual_ashrrev_i32 v5, 31, v1
	v_mov_b32_e32 v9, s10
	s_mov_b32 s17, -1
	s_mov_b32 s16, exec_lo
	s_delay_alu instid0(VALU_DEP_2)
	v_lshl_add_u64 v[4:5], v[4:5], 1, s[4:5]
	v_cmpx_ne_u64_e32 0, v[6:7]
	s_cbranch_execz .LBB263_7
; %bb.4:                                ;   in Loop: Header=BB263_2 Depth=1
	global_load_u16 v8, v[4:5], off
	s_mov_b32 s17, 0
	s_mov_b32 s18, exec_lo
                                        ; implicit-def: $vgpr9
	s_wait_loadcnt 0x0
	v_lshlrev_b32_e32 v8, 16, v8
	s_wait_xcnt 0x0
	s_delay_alu instid0(VALU_DEP_1)
	v_cmpx_o_f32_e32 v8, v8
	s_cbranch_execz .LBB263_6
; %bb.5:                                ;   in Loop: Header=BB263_2 Depth=1
	v_clz_i32_u32_e32 v9, v7
	s_mov_b32 s17, exec_lo
	s_delay_alu instid0(VALU_DEP_1) | instskip(NEXT) | instid1(VALU_DEP_1)
	v_min_u32_e32 v9, 32, v9
	v_lshlrev_b64_e32 v[6:7], v9, v[6:7]
	s_delay_alu instid0(VALU_DEP_1) | instskip(NEXT) | instid1(VALU_DEP_1)
	v_min_u32_e32 v6, 1, v6
	v_dual_sub_nc_u32 v7, 32, v9 :: v_dual_bitop2_b32 v6, v7, v6 bitop3:0x54
	s_delay_alu instid0(VALU_DEP_1) | instskip(NEXT) | instid1(VALU_DEP_1)
	v_cvt_f32_u32_e32 v6, v6
	v_ldexp_f32 v6, v6, v7
	s_delay_alu instid0(VALU_DEP_1) | instskip(NEXT) | instid1(VALU_DEP_1)
	v_bfe_u32 v7, v6, 16, 1
	v_add3_u32 v6, v6, v7, 0x7fff
	s_delay_alu instid0(VALU_DEP_1) | instskip(NEXT) | instid1(VALU_DEP_1)
	v_and_b32_e32 v6, 0xffff0000, v6
	v_div_scale_f32 v7, null, v6, v6, v8
	s_delay_alu instid0(VALU_DEP_1) | instskip(SKIP_1) | instid1(TRANS32_DEP_1)
	v_rcp_f32_e32 v9, v7
	v_nop
	v_fma_f32 v10, -v7, v9, 1.0
	s_delay_alu instid0(VALU_DEP_1) | instskip(SKIP_1) | instid1(VALU_DEP_1)
	v_fmac_f32_e32 v9, v10, v9
	v_div_scale_f32 v10, vcc_lo, v8, v6, v8
	v_mul_f32_e32 v11, v10, v9
	s_delay_alu instid0(VALU_DEP_1) | instskip(NEXT) | instid1(VALU_DEP_1)
	v_fma_f32 v12, -v7, v11, v10
	v_fmac_f32_e32 v11, v12, v9
	s_delay_alu instid0(VALU_DEP_1) | instskip(NEXT) | instid1(VALU_DEP_1)
	v_fma_f32 v7, -v7, v11, v10
	v_div_fmas_f32 v7, v7, v9, v11
	s_delay_alu instid0(VALU_DEP_1) | instskip(NEXT) | instid1(VALU_DEP_1)
	v_div_fixup_f32 v6, v7, v6, v8
	v_bfe_u32 v7, v6, 16, 1
	v_cmp_o_f32_e32 vcc_lo, v6, v6
	s_delay_alu instid0(VALU_DEP_2) | instskip(NEXT) | instid1(VALU_DEP_1)
	v_add3_u32 v7, v6, v7, 0x7fff
	v_lshrrev_b32_e32 v7, 16, v7
	s_delay_alu instid0(VALU_DEP_1)
	v_cndmask_b32_e32 v9, 0x7fc0, v7, vcc_lo
.LBB263_6:                              ;   in Loop: Header=BB263_2 Depth=1
	s_or_b32 exec_lo, exec_lo, s18
	s_delay_alu instid0(SALU_CYCLE_1)
	s_or_not1_b32 s17, s17, exec_lo
.LBB263_7:                              ;   in Loop: Header=BB263_2 Depth=1
	s_or_b32 exec_lo, exec_lo, s16
	s_and_saveexec_b32 s16, s17
	s_cbranch_execz .LBB263_9
; %bb.8:                                ;   in Loop: Header=BB263_2 Depth=1
	global_store_b16 v[4:5], v9, off
.LBB263_9:                              ;   in Loop: Header=BB263_2 Depth=1
	s_wait_xcnt 0x0
	s_or_b32 exec_lo, exec_lo, s16
	v_add_nc_u64_e32 v[2:3], s[8:9], v[2:3]
	v_add_nc_u64_e32 v[0:1], s[0:1], v[0:1]
	s_and_not1_b32 s14, s14, exec_lo
	s_and_not1_b32 s13, s13, exec_lo
	s_delay_alu instid0(VALU_DEP_2) | instskip(SKIP_1) | instid1(SALU_CYCLE_1)
	v_cmp_le_i64_e32 vcc_lo, s[2:3], v[2:3]
	s_and_b32 s16, vcc_lo, exec_lo
	s_or_b32 s14, s14, s16
.LBB263_10:                             ;   in Loop: Header=BB263_2 Depth=1
	s_or_b32 exec_lo, exec_lo, s15
	s_delay_alu instid0(SALU_CYCLE_1) | instskip(NEXT) | instid1(SALU_CYCLE_1)
	s_and_b32 s15, exec_lo, s14
	s_or_b32 s11, s15, s11
	s_and_not1_b32 s12, s12, exec_lo
	s_and_b32 s15, s13, exec_lo
	s_delay_alu instid0(SALU_CYCLE_1)
	s_or_b32 s12, s12, s15
	s_and_not1_b32 exec_lo, exec_lo, s11
	s_cbranch_execnz .LBB263_2
; %bb.11:
	s_or_b32 exec_lo, exec_lo, s11
	s_and_saveexec_b32 s0, s12
	s_delay_alu instid0(SALU_CYCLE_1)
	s_xor_b32 s0, exec_lo, s0
	s_cbranch_execnz .LBB263_13
.LBB263_12:
	s_endpgm
.LBB263_13:
	s_trap 2
	; divergent unreachable
	s_endpgm
	.section	.rodata,"a",@progbits
	.p2align	6, 0x0
	.amdhsa_kernel _ZN2at6native12_GLOBAL__N_119post_sum_div_kernelIN3c108BFloat16ElEEvPT_PKT0_lbS5_
		.amdhsa_group_segment_fixed_size 0
		.amdhsa_private_segment_fixed_size 0
		.amdhsa_kernarg_size 288
		.amdhsa_user_sgpr_count 2
		.amdhsa_user_sgpr_dispatch_ptr 0
		.amdhsa_user_sgpr_queue_ptr 0
		.amdhsa_user_sgpr_kernarg_segment_ptr 1
		.amdhsa_user_sgpr_dispatch_id 0
		.amdhsa_user_sgpr_kernarg_preload_length 0
		.amdhsa_user_sgpr_kernarg_preload_offset 0
		.amdhsa_user_sgpr_private_segment_size 0
		.amdhsa_wavefront_size32 1
		.amdhsa_uses_dynamic_stack 0
		.amdhsa_enable_private_segment 0
		.amdhsa_system_sgpr_workgroup_id_x 1
		.amdhsa_system_sgpr_workgroup_id_y 0
		.amdhsa_system_sgpr_workgroup_id_z 0
		.amdhsa_system_sgpr_workgroup_info 0
		.amdhsa_system_vgpr_workitem_id 0
		.amdhsa_next_free_vgpr 13
		.amdhsa_next_free_sgpr 19
		.amdhsa_named_barrier_count 0
		.amdhsa_reserve_vcc 1
		.amdhsa_float_round_mode_32 0
		.amdhsa_float_round_mode_16_64 0
		.amdhsa_float_denorm_mode_32 3
		.amdhsa_float_denorm_mode_16_64 3
		.amdhsa_fp16_overflow 0
		.amdhsa_memory_ordered 1
		.amdhsa_forward_progress 1
		.amdhsa_inst_pref_size 6
		.amdhsa_round_robin_scheduling 0
		.amdhsa_exception_fp_ieee_invalid_op 0
		.amdhsa_exception_fp_denorm_src 0
		.amdhsa_exception_fp_ieee_div_zero 0
		.amdhsa_exception_fp_ieee_overflow 0
		.amdhsa_exception_fp_ieee_underflow 0
		.amdhsa_exception_fp_ieee_inexact 0
		.amdhsa_exception_int_div_zero 0
	.end_amdhsa_kernel
	.section	.text._ZN2at6native12_GLOBAL__N_119post_sum_div_kernelIN3c108BFloat16ElEEvPT_PKT0_lbS5_,"axG",@progbits,_ZN2at6native12_GLOBAL__N_119post_sum_div_kernelIN3c108BFloat16ElEEvPT_PKT0_lbS5_,comdat
.Lfunc_end263:
	.size	_ZN2at6native12_GLOBAL__N_119post_sum_div_kernelIN3c108BFloat16ElEEvPT_PKT0_lbS5_, .Lfunc_end263-_ZN2at6native12_GLOBAL__N_119post_sum_div_kernelIN3c108BFloat16ElEEvPT_PKT0_lbS5_
                                        ; -- End function
	.set _ZN2at6native12_GLOBAL__N_119post_sum_div_kernelIN3c108BFloat16ElEEvPT_PKT0_lbS5_.num_vgpr, 13
	.set _ZN2at6native12_GLOBAL__N_119post_sum_div_kernelIN3c108BFloat16ElEEvPT_PKT0_lbS5_.num_agpr, 0
	.set _ZN2at6native12_GLOBAL__N_119post_sum_div_kernelIN3c108BFloat16ElEEvPT_PKT0_lbS5_.numbered_sgpr, 19
	.set _ZN2at6native12_GLOBAL__N_119post_sum_div_kernelIN3c108BFloat16ElEEvPT_PKT0_lbS5_.num_named_barrier, 0
	.set _ZN2at6native12_GLOBAL__N_119post_sum_div_kernelIN3c108BFloat16ElEEvPT_PKT0_lbS5_.private_seg_size, 0
	.set _ZN2at6native12_GLOBAL__N_119post_sum_div_kernelIN3c108BFloat16ElEEvPT_PKT0_lbS5_.uses_vcc, 1
	.set _ZN2at6native12_GLOBAL__N_119post_sum_div_kernelIN3c108BFloat16ElEEvPT_PKT0_lbS5_.uses_flat_scratch, 0
	.set _ZN2at6native12_GLOBAL__N_119post_sum_div_kernelIN3c108BFloat16ElEEvPT_PKT0_lbS5_.has_dyn_sized_stack, 0
	.set _ZN2at6native12_GLOBAL__N_119post_sum_div_kernelIN3c108BFloat16ElEEvPT_PKT0_lbS5_.has_recursion, 0
	.set _ZN2at6native12_GLOBAL__N_119post_sum_div_kernelIN3c108BFloat16ElEEvPT_PKT0_lbS5_.has_indirect_call, 0
	.section	.AMDGPU.csdata,"",@progbits
; Kernel info:
; codeLenInByte = 704
; TotalNumSgprs: 21
; NumVgprs: 13
; ScratchSize: 0
; MemoryBound: 0
; FloatMode: 240
; IeeeMode: 1
; LDSByteSize: 0 bytes/workgroup (compile time only)
; SGPRBlocks: 0
; VGPRBlocks: 0
; NumSGPRsForWavesPerEU: 21
; NumVGPRsForWavesPerEU: 13
; NamedBarCnt: 0
; Occupancy: 16
; WaveLimiterHint : 0
; COMPUTE_PGM_RSRC2:SCRATCH_EN: 0
; COMPUTE_PGM_RSRC2:USER_SGPR: 2
; COMPUTE_PGM_RSRC2:TRAP_HANDLER: 0
; COMPUTE_PGM_RSRC2:TGID_X_EN: 1
; COMPUTE_PGM_RSRC2:TGID_Y_EN: 0
; COMPUTE_PGM_RSRC2:TGID_Z_EN: 0
; COMPUTE_PGM_RSRC2:TIDIG_COMP_CNT: 0
	.section	.text._ZN7rocprim17ROCPRIM_400000_NS6detail17trampoline_kernelINS0_14default_configENS1_32segmented_reduce_config_selectorIN3c108BFloat16EEEZNS1_21segmented_reduce_implIS3_PKS6_PS6_PKlS6_N6hipcub16HIPCUB_304000_NS6detail27convert_result_type_wrapperISA_SB_N2at6native12_GLOBAL__N_19CustomMinEEEEE10hipError_tPvRmT0_T1_jT2_SS_T4_T3_P12ihipStream_tbEUlT_E_NS1_11comp_targetILNS1_3genE0ELNS1_11target_archE4294967295ELNS1_3gpuE0ELNS1_3repE0EEENS1_30default_config_static_selectorELNS0_4arch9wavefront6targetE0EEEvSR_,"axG",@progbits,_ZN7rocprim17ROCPRIM_400000_NS6detail17trampoline_kernelINS0_14default_configENS1_32segmented_reduce_config_selectorIN3c108BFloat16EEEZNS1_21segmented_reduce_implIS3_PKS6_PS6_PKlS6_N6hipcub16HIPCUB_304000_NS6detail27convert_result_type_wrapperISA_SB_N2at6native12_GLOBAL__N_19CustomMinEEEEE10hipError_tPvRmT0_T1_jT2_SS_T4_T3_P12ihipStream_tbEUlT_E_NS1_11comp_targetILNS1_3genE0ELNS1_11target_archE4294967295ELNS1_3gpuE0ELNS1_3repE0EEENS1_30default_config_static_selectorELNS0_4arch9wavefront6targetE0EEEvSR_,comdat
	.globl	_ZN7rocprim17ROCPRIM_400000_NS6detail17trampoline_kernelINS0_14default_configENS1_32segmented_reduce_config_selectorIN3c108BFloat16EEEZNS1_21segmented_reduce_implIS3_PKS6_PS6_PKlS6_N6hipcub16HIPCUB_304000_NS6detail27convert_result_type_wrapperISA_SB_N2at6native12_GLOBAL__N_19CustomMinEEEEE10hipError_tPvRmT0_T1_jT2_SS_T4_T3_P12ihipStream_tbEUlT_E_NS1_11comp_targetILNS1_3genE0ELNS1_11target_archE4294967295ELNS1_3gpuE0ELNS1_3repE0EEENS1_30default_config_static_selectorELNS0_4arch9wavefront6targetE0EEEvSR_ ; -- Begin function _ZN7rocprim17ROCPRIM_400000_NS6detail17trampoline_kernelINS0_14default_configENS1_32segmented_reduce_config_selectorIN3c108BFloat16EEEZNS1_21segmented_reduce_implIS3_PKS6_PS6_PKlS6_N6hipcub16HIPCUB_304000_NS6detail27convert_result_type_wrapperISA_SB_N2at6native12_GLOBAL__N_19CustomMinEEEEE10hipError_tPvRmT0_T1_jT2_SS_T4_T3_P12ihipStream_tbEUlT_E_NS1_11comp_targetILNS1_3genE0ELNS1_11target_archE4294967295ELNS1_3gpuE0ELNS1_3repE0EEENS1_30default_config_static_selectorELNS0_4arch9wavefront6targetE0EEEvSR_
	.p2align	8
	.type	_ZN7rocprim17ROCPRIM_400000_NS6detail17trampoline_kernelINS0_14default_configENS1_32segmented_reduce_config_selectorIN3c108BFloat16EEEZNS1_21segmented_reduce_implIS3_PKS6_PS6_PKlS6_N6hipcub16HIPCUB_304000_NS6detail27convert_result_type_wrapperISA_SB_N2at6native12_GLOBAL__N_19CustomMinEEEEE10hipError_tPvRmT0_T1_jT2_SS_T4_T3_P12ihipStream_tbEUlT_E_NS1_11comp_targetILNS1_3genE0ELNS1_11target_archE4294967295ELNS1_3gpuE0ELNS1_3repE0EEENS1_30default_config_static_selectorELNS0_4arch9wavefront6targetE0EEEvSR_,@function
_ZN7rocprim17ROCPRIM_400000_NS6detail17trampoline_kernelINS0_14default_configENS1_32segmented_reduce_config_selectorIN3c108BFloat16EEEZNS1_21segmented_reduce_implIS3_PKS6_PS6_PKlS6_N6hipcub16HIPCUB_304000_NS6detail27convert_result_type_wrapperISA_SB_N2at6native12_GLOBAL__N_19CustomMinEEEEE10hipError_tPvRmT0_T1_jT2_SS_T4_T3_P12ihipStream_tbEUlT_E_NS1_11comp_targetILNS1_3genE0ELNS1_11target_archE4294967295ELNS1_3gpuE0ELNS1_3repE0EEENS1_30default_config_static_selectorELNS0_4arch9wavefront6targetE0EEEvSR_: ; @_ZN7rocprim17ROCPRIM_400000_NS6detail17trampoline_kernelINS0_14default_configENS1_32segmented_reduce_config_selectorIN3c108BFloat16EEEZNS1_21segmented_reduce_implIS3_PKS6_PS6_PKlS6_N6hipcub16HIPCUB_304000_NS6detail27convert_result_type_wrapperISA_SB_N2at6native12_GLOBAL__N_19CustomMinEEEEE10hipError_tPvRmT0_T1_jT2_SS_T4_T3_P12ihipStream_tbEUlT_E_NS1_11comp_targetILNS1_3genE0ELNS1_11target_archE4294967295ELNS1_3gpuE0ELNS1_3repE0EEENS1_30default_config_static_selectorELNS0_4arch9wavefront6targetE0EEEvSR_
; %bb.0:
	v_mov_b32_e32 v1, 0
	s_clause 0x1
	s_load_b256 s[16:23], s[0:1], 0x0
	s_load_b64 s[2:3], s[0:1], 0x20
	s_bfe_u32 s4, ttmp6, 0x4000c
	s_and_b32 s5, ttmp6, 15
	s_add_co_i32 s4, s4, 1
	global_load_u16 v6, v1, s[0:1] offset:42
	s_mul_i32 s4, ttmp9, s4
	s_getreg_b32 s6, hwreg(HW_REG_IB_STS2, 6, 4)
	s_add_co_i32 s7, s5, s4
	s_mov_b32 s15, 0
	s_wait_kmcnt 0x0
	s_lshl_b64 s[0:1], s[20:21], 3
	s_cmp_eq_u32 s6, 0
	s_add_nc_u64 s[4:5], s[22:23], s[0:1]
	s_cselect_b32 s22, ttmp9, s7
	s_add_nc_u64 s[0:1], s[2:3], s[0:1]
	s_load_b64 s[26:27], s[4:5], s22 offset:0x0 scale_offset
	s_load_b64 s[24:25], s[0:1], s22 offset:0x0 scale_offset
	s_mov_b32 s23, 0
	s_wait_xcnt 0x0
	s_mov_b32 s1, -1
	s_wait_kmcnt 0x0
	v_cmp_gt_i64_e64 s0, s[24:25], s[26:27]
	s_and_b32 vcc_lo, exec_lo, s0
	v_cmp_eq_u32_e64 s0, 0, v0
	s_cbranch_vccz .LBB264_4
; %bb.1:
	s_and_not1_b32 vcc_lo, exec_lo, s1
	s_cbranch_vccz .LBB264_5
.LBB264_2:
	s_and_saveexec_b32 s0, s15
	s_cbranch_execnz .LBB264_408
.LBB264_3:
	s_endpgm
.LBB264_4:
	s_and_b32 s15, s0, exec_lo
	s_cbranch_execnz .LBB264_2
.LBB264_5:
	s_add_nc_u64 s[0:1], s[26:27], 0x1000
	s_delay_alu instid0(SALU_CYCLE_1)
	v_cmp_le_i64_e64 s2, s[0:1], s[24:25]
	s_and_b32 vcc_lo, exec_lo, s2
	s_cbranch_vccz .LBB264_133
; %bb.6:
	s_lshl_b64 s[2:3], s[26:27], 1
	s_mov_b32 s4, exec_lo
	s_add_nc_u64 s[2:3], s[16:17], s[2:3]
	s_clause 0xf
	global_load_u16 v20, v0, s[2:3] scale_offset
	global_load_u16 v19, v0, s[2:3] offset:512 scale_offset
	global_load_u16 v18, v0, s[2:3] offset:1024 scale_offset
	;; [unrolled: 1-line block ×15, first 2 shown]
	s_wait_loadcnt 0xf
	v_dual_lshlrev_b32 v2, 16, v20 :: v_dual_mov_b32 v12, v20
	s_wait_xcnt 0x0
	s_delay_alu instid0(VALU_DEP_1)
	v_cmpx_o_f32_e32 v2, v2
	s_cbranch_execz .LBB264_10
; %bb.7:
	s_wait_loadcnt 0xe
	v_dual_mov_b32 v12, v19 :: v_dual_lshlrev_b32 v3, 16, v19
	s_mov_b32 s5, exec_lo
	s_delay_alu instid0(VALU_DEP_1)
	v_cmpx_o_f32_e32 v3, v3
; %bb.8:
	v_cmp_lt_f32_e32 vcc_lo, v3, v2
	v_cndmask_b32_e32 v12, v20, v19, vcc_lo
	s_delay_alu instid0(VALU_DEP_1)
	v_lshlrev_b32_e32 v3, 16, v12
; %bb.9:
	s_or_b32 exec_lo, exec_lo, s5
	s_delay_alu instid0(VALU_DEP_1)
	v_mov_b32_e32 v2, v3
.LBB264_10:
	s_or_b32 exec_lo, exec_lo, s4
	s_delay_alu instid0(SALU_CYCLE_1) | instskip(NEXT) | instid1(VALU_DEP_1)
	s_mov_b32 s4, exec_lo
	v_cmpx_o_f32_e32 v2, v2
	s_cbranch_execz .LBB264_14
; %bb.11:
	s_wait_loadcnt 0xd
	v_dual_lshlrev_b32 v3, 16, v18 :: v_dual_mov_b32 v21, v18
	s_mov_b32 s5, exec_lo
	s_delay_alu instid0(VALU_DEP_1)
	v_cmpx_o_f32_e32 v3, v3
; %bb.12:
	v_cmp_gt_f32_e32 vcc_lo, v2, v3
	v_cndmask_b32_e32 v21, v12, v18, vcc_lo
	s_delay_alu instid0(VALU_DEP_1)
	v_lshlrev_b32_e32 v3, 16, v21
; %bb.13:
	s_or_b32 exec_lo, exec_lo, s5
	s_delay_alu instid0(VALU_DEP_1)
	v_dual_mov_b32 v2, v3 :: v_dual_mov_b32 v12, v21
.LBB264_14:
	s_or_b32 exec_lo, exec_lo, s4
	s_delay_alu instid0(SALU_CYCLE_1) | instskip(NEXT) | instid1(VALU_DEP_1)
	s_mov_b32 s4, exec_lo
	v_cmpx_o_f32_e32 v2, v2
	s_cbranch_execz .LBB264_18
; %bb.15:
	s_wait_loadcnt 0xc
	v_dual_lshlrev_b32 v3, 16, v17 :: v_dual_mov_b32 v21, v17
	s_mov_b32 s5, exec_lo
	s_delay_alu instid0(VALU_DEP_1)
	v_cmpx_o_f32_e32 v3, v3
; %bb.16:
	v_cmp_gt_f32_e32 vcc_lo, v2, v3
	v_cndmask_b32_e32 v21, v12, v17, vcc_lo
	s_delay_alu instid0(VALU_DEP_1)
	v_lshlrev_b32_e32 v3, 16, v21
; %bb.17:
	s_or_b32 exec_lo, exec_lo, s5
	s_delay_alu instid0(VALU_DEP_1)
	v_dual_mov_b32 v2, v3 :: v_dual_mov_b32 v12, v21
.LBB264_18:
	;; [unrolled: 21-line block ×13, first 2 shown]
	s_or_b32 exec_lo, exec_lo, s4
	s_delay_alu instid0(SALU_CYCLE_1) | instskip(NEXT) | instid1(VALU_DEP_1)
	s_mov_b32 s4, exec_lo
	v_cmpx_o_f32_e32 v2, v2
	s_cbranch_execz .LBB264_66
; %bb.63:
	s_wait_loadcnt 0x0
	v_dual_lshlrev_b32 v21, 16, v1 :: v_dual_mov_b32 v3, v1
	s_mov_b32 s5, exec_lo
	s_delay_alu instid0(VALU_DEP_1)
	v_cmpx_o_f32_e32 v21, v21
; %bb.64:
	v_cmp_gt_f32_e32 vcc_lo, v2, v21
	v_cndmask_b32_e32 v3, v12, v1, vcc_lo
; %bb.65:
	s_or_b32 exec_lo, exec_lo, s5
	s_delay_alu instid0(VALU_DEP_1)
	v_mov_b32_e32 v12, v3
.LBB264_66:
	s_or_b32 exec_lo, exec_lo, s4
	s_add_nc_u64 s[4:5], s[26:27], 0x2000
	s_delay_alu instid0(SALU_CYCLE_1)
	v_cmp_ge_i64_e64 s4, s[4:5], s[24:25]
	s_and_b32 vcc_lo, exec_lo, s4
	s_cbranch_vccnz .LBB264_134
; %bb.67:
	v_dual_mov_b32 v3, 0 :: v_dual_lshlrev_b32 v2, 1, v0
	s_delay_alu instid0(VALU_DEP_1) | instskip(NEXT) | instid1(VALU_DEP_1)
	v_add_nc_u64_e32 v[2:3], s[2:3], v[2:3]
	v_add_nc_u64_e32 v[2:3], 0x2000, v[2:3]
	s_branch .LBB264_70
.LBB264_68:                             ;   in Loop: Header=BB264_70 Depth=1
	s_or_b32 exec_lo, exec_lo, s3
	s_delay_alu instid0(VALU_DEP_1)
	v_mov_b32_e32 v12, v22
.LBB264_69:                             ;   in Loop: Header=BB264_70 Depth=1
	s_or_b32 exec_lo, exec_lo, s2
	s_add_nc_u64 s[2:3], s[0:1], 0x2000
	v_add_nc_u64_e32 v[2:3], 0x2000, v[2:3]
	v_cmp_lt_i64_e64 s2, s[2:3], s[24:25]
	s_add_nc_u64 s[0:1], s[0:1], 0x1000
	s_and_b32 vcc_lo, exec_lo, s2
	s_cbranch_vccz .LBB264_134
.LBB264_70:                             ; =>This Inner Loop Header: Depth=1
	s_wait_loadcnt 0xf
	global_load_u16 v20, v[2:3], off
	s_wait_loadcnt 0xf
	global_load_u16 v19, v[2:3], off offset:512
	s_wait_loadcnt 0xf
	global_load_u16 v18, v[2:3], off offset:1024
	;; [unrolled: 2-line block ×15, first 2 shown]
	v_lshlrev_b32_e32 v21, 16, v12
	s_mov_b32 s2, exec_lo
	s_wait_xcnt 0x0
	s_delay_alu instid0(VALU_DEP_1)
	v_cmpx_o_f32_e32 v21, v21
	s_cbranch_execz .LBB264_74
; %bb.71:                               ;   in Loop: Header=BB264_70 Depth=1
	s_wait_loadcnt 0xf
	v_dual_mov_b32 v23, v20 :: v_dual_lshlrev_b32 v22, 16, v20
	s_mov_b32 s3, exec_lo
	s_delay_alu instid0(VALU_DEP_1)
	v_cmpx_o_f32_e32 v22, v22
; %bb.72:                               ;   in Loop: Header=BB264_70 Depth=1
	v_cmp_lt_f32_e32 vcc_lo, v22, v21
	v_cndmask_b32_e32 v23, v12, v20, vcc_lo
	s_delay_alu instid0(VALU_DEP_1)
	v_lshlrev_b32_e32 v22, 16, v23
; %bb.73:                               ;   in Loop: Header=BB264_70 Depth=1
	s_or_b32 exec_lo, exec_lo, s3
	s_delay_alu instid0(VALU_DEP_1)
	v_dual_mov_b32 v21, v22 :: v_dual_mov_b32 v12, v23
.LBB264_74:                             ;   in Loop: Header=BB264_70 Depth=1
	s_or_b32 exec_lo, exec_lo, s2
	s_delay_alu instid0(SALU_CYCLE_1) | instskip(NEXT) | instid1(VALU_DEP_1)
	s_mov_b32 s2, exec_lo
	v_cmpx_o_f32_e32 v21, v21
	s_cbranch_execz .LBB264_78
; %bb.75:                               ;   in Loop: Header=BB264_70 Depth=1
	s_wait_loadcnt 0xe
	v_dual_mov_b32 v23, v19 :: v_dual_lshlrev_b32 v22, 16, v19
	s_mov_b32 s3, exec_lo
	s_delay_alu instid0(VALU_DEP_1)
	v_cmpx_o_f32_e32 v22, v22
; %bb.76:                               ;   in Loop: Header=BB264_70 Depth=1
	v_cmp_gt_f32_e32 vcc_lo, v21, v22
	v_cndmask_b32_e32 v23, v12, v19, vcc_lo
	s_delay_alu instid0(VALU_DEP_1)
	v_lshlrev_b32_e32 v22, 16, v23
; %bb.77:                               ;   in Loop: Header=BB264_70 Depth=1
	s_or_b32 exec_lo, exec_lo, s3
	s_delay_alu instid0(VALU_DEP_1)
	v_dual_mov_b32 v21, v22 :: v_dual_mov_b32 v12, v23
.LBB264_78:                             ;   in Loop: Header=BB264_70 Depth=1
	s_or_b32 exec_lo, exec_lo, s2
	s_delay_alu instid0(SALU_CYCLE_1) | instskip(NEXT) | instid1(VALU_DEP_1)
	s_mov_b32 s2, exec_lo
	v_cmpx_o_f32_e32 v21, v21
	s_cbranch_execz .LBB264_82
; %bb.79:                               ;   in Loop: Header=BB264_70 Depth=1
	s_wait_loadcnt 0xd
	v_dual_mov_b32 v23, v18 :: v_dual_lshlrev_b32 v22, 16, v18
	s_mov_b32 s3, exec_lo
	s_delay_alu instid0(VALU_DEP_1)
	v_cmpx_o_f32_e32 v22, v22
; %bb.80:                               ;   in Loop: Header=BB264_70 Depth=1
	v_cmp_gt_f32_e32 vcc_lo, v21, v22
	v_cndmask_b32_e32 v23, v12, v18, vcc_lo
	s_delay_alu instid0(VALU_DEP_1)
	v_lshlrev_b32_e32 v22, 16, v23
; %bb.81:                               ;   in Loop: Header=BB264_70 Depth=1
	s_or_b32 exec_lo, exec_lo, s3
	s_delay_alu instid0(VALU_DEP_1)
	v_dual_mov_b32 v21, v22 :: v_dual_mov_b32 v12, v23
.LBB264_82:                             ;   in Loop: Header=BB264_70 Depth=1
	;; [unrolled: 21-line block ×6, first 2 shown]
	s_or_b32 exec_lo, exec_lo, s2
	s_delay_alu instid0(SALU_CYCLE_1) | instskip(NEXT) | instid1(VALU_DEP_1)
	s_mov_b32 s2, exec_lo
	v_cmpx_o_f32_e32 v21, v21
	s_cbranch_execz .LBB264_102
; %bb.99:                               ;   in Loop: Header=BB264_70 Depth=1
	s_wait_loadcnt 0x8
	v_dual_mov_b32 v23, v13 :: v_dual_lshlrev_b32 v22, 16, v13
	s_mov_b32 s3, exec_lo
	s_delay_alu instid0(VALU_DEP_1)
	v_cmpx_o_f32_e32 v22, v22
; %bb.100:                              ;   in Loop: Header=BB264_70 Depth=1
	v_cmp_gt_f32_e32 vcc_lo, v21, v22
	v_cndmask_b32_e32 v23, v12, v13, vcc_lo
	s_delay_alu instid0(VALU_DEP_1)
	v_lshlrev_b32_e32 v22, 16, v23
; %bb.101:                              ;   in Loop: Header=BB264_70 Depth=1
	s_or_b32 exec_lo, exec_lo, s3
	s_delay_alu instid0(VALU_DEP_1)
	v_dual_mov_b32 v21, v22 :: v_dual_mov_b32 v12, v23
.LBB264_102:                            ;   in Loop: Header=BB264_70 Depth=1
	s_or_b32 exec_lo, exec_lo, s2
	s_delay_alu instid0(SALU_CYCLE_1) | instskip(NEXT) | instid1(VALU_DEP_1)
	s_mov_b32 s2, exec_lo
	v_cmpx_o_f32_e32 v21, v21
	s_cbranch_execz .LBB264_106
; %bb.103:                              ;   in Loop: Header=BB264_70 Depth=1
	s_wait_loadcnt 0x7
	v_dual_mov_b32 v23, v11 :: v_dual_lshlrev_b32 v22, 16, v11
	s_mov_b32 s3, exec_lo
	s_delay_alu instid0(VALU_DEP_1)
	v_cmpx_o_f32_e32 v22, v22
; %bb.104:                              ;   in Loop: Header=BB264_70 Depth=1
	v_cmp_gt_f32_e32 vcc_lo, v21, v22
	v_cndmask_b32_e32 v23, v12, v11, vcc_lo
	s_delay_alu instid0(VALU_DEP_1)
	v_lshlrev_b32_e32 v22, 16, v23
; %bb.105:                              ;   in Loop: Header=BB264_70 Depth=1
	s_or_b32 exec_lo, exec_lo, s3
	s_delay_alu instid0(VALU_DEP_1)
	v_dual_mov_b32 v21, v22 :: v_dual_mov_b32 v12, v23
.LBB264_106:                            ;   in Loop: Header=BB264_70 Depth=1
	s_or_b32 exec_lo, exec_lo, s2
	s_delay_alu instid0(SALU_CYCLE_1) | instskip(NEXT) | instid1(VALU_DEP_1)
	s_mov_b32 s2, exec_lo
	v_cmpx_o_f32_e32 v21, v21
	s_cbranch_execz .LBB264_110
; %bb.107:                              ;   in Loop: Header=BB264_70 Depth=1
	s_wait_loadcnt 0x6
	v_dual_mov_b32 v23, v10 :: v_dual_lshlrev_b32 v22, 16, v10
	s_mov_b32 s3, exec_lo
	s_delay_alu instid0(VALU_DEP_1)
	v_cmpx_o_f32_e32 v22, v22
; %bb.108:                              ;   in Loop: Header=BB264_70 Depth=1
	v_cmp_gt_f32_e32 vcc_lo, v21, v22
	v_cndmask_b32_e32 v23, v12, v10, vcc_lo
	s_delay_alu instid0(VALU_DEP_1)
	v_lshlrev_b32_e32 v22, 16, v23
; %bb.109:                              ;   in Loop: Header=BB264_70 Depth=1
	s_or_b32 exec_lo, exec_lo, s3
	s_delay_alu instid0(VALU_DEP_1)
	v_dual_mov_b32 v21, v22 :: v_dual_mov_b32 v12, v23
.LBB264_110:                            ;   in Loop: Header=BB264_70 Depth=1
	;; [unrolled: 21-line block ×7, first 2 shown]
	s_or_b32 exec_lo, exec_lo, s2
	s_delay_alu instid0(SALU_CYCLE_1) | instskip(NEXT) | instid1(VALU_DEP_1)
	s_mov_b32 s2, exec_lo
	v_cmpx_o_f32_e32 v21, v21
	s_cbranch_execz .LBB264_69
; %bb.131:                              ;   in Loop: Header=BB264_70 Depth=1
	s_wait_loadcnt 0x0
	v_dual_mov_b32 v22, v1 :: v_dual_lshlrev_b32 v23, 16, v1
	s_mov_b32 s3, exec_lo
	s_delay_alu instid0(VALU_DEP_1)
	v_cmpx_o_f32_e32 v23, v23
	s_cbranch_execz .LBB264_68
; %bb.132:                              ;   in Loop: Header=BB264_70 Depth=1
	v_cmp_gt_f32_e32 vcc_lo, v21, v23
	v_cndmask_b32_e32 v22, v12, v1, vcc_lo
	s_branch .LBB264_68
.LBB264_133:
                                        ; implicit-def: $vgpr2
	s_cbranch_execnz .LBB264_299
	s_branch .LBB264_401
.LBB264_134:
	s_sub_co_i32 s30, s24, s0
	s_lshl_b64 s[0:1], s[0:1], 1
	v_cmp_gt_u32_e64 s14, s30, v0
	s_add_nc_u64 s[28:29], s[16:17], s[0:1]
	s_and_saveexec_b32 s0, s14
	s_cbranch_execz .LBB264_136
; %bb.135:
	s_wait_loadcnt 0xf
	global_load_u16 v20, v0, s[28:29] scale_offset
.LBB264_136:
	s_wait_xcnt 0x0
	s_or_b32 exec_lo, exec_lo, s0
	v_or_b32_e32 v2, 0x100, v0
	s_delay_alu instid0(VALU_DEP_1)
	v_cmp_gt_u32_e64 s13, s30, v2
	s_and_saveexec_b32 s0, s13
	s_cbranch_execz .LBB264_138
; %bb.137:
	s_wait_loadcnt 0xe
	global_load_u16 v19, v0, s[28:29] offset:512 scale_offset
.LBB264_138:
	s_wait_xcnt 0x0
	s_or_b32 exec_lo, exec_lo, s0
	v_or_b32_e32 v2, 0x200, v0
	s_delay_alu instid0(VALU_DEP_1)
	v_cmp_gt_u32_e64 s12, s30, v2
	s_and_saveexec_b32 s0, s12
	s_cbranch_execz .LBB264_140
; %bb.139:
	s_wait_loadcnt 0xd
	global_load_u16 v18, v0, s[28:29] offset:1024 scale_offset
.LBB264_140:
	;; [unrolled: 11-line block ×14, first 2 shown]
	s_wait_xcnt 0x0
	s_or_b32 exec_lo, exec_lo, s31
	v_or_b32_e32 v2, 0xf00, v0
	s_delay_alu instid0(VALU_DEP_1)
	v_cmp_gt_u32_e32 vcc_lo, s30, v2
	s_and_saveexec_b32 s30, vcc_lo
	s_cbranch_execnz .LBB264_181
; %bb.165:
	s_or_b32 exec_lo, exec_lo, s30
	s_and_saveexec_b32 s28, s14
	s_cbranch_execnz .LBB264_182
.LBB264_166:
	s_or_b32 exec_lo, exec_lo, s28
	s_and_saveexec_b32 s14, s13
	s_cbranch_execnz .LBB264_187
.LBB264_167:
	s_or_b32 exec_lo, exec_lo, s14
	s_and_saveexec_b32 s13, s12
	s_cbranch_execnz .LBB264_192
.LBB264_168:
	s_or_b32 exec_lo, exec_lo, s13
	s_and_saveexec_b32 s12, s11
	s_cbranch_execnz .LBB264_197
.LBB264_169:
	s_or_b32 exec_lo, exec_lo, s12
	s_and_saveexec_b32 s11, s10
	s_cbranch_execnz .LBB264_202
.LBB264_170:
	s_or_b32 exec_lo, exec_lo, s11
	s_and_saveexec_b32 s10, s9
	s_cbranch_execnz .LBB264_207
.LBB264_171:
	s_or_b32 exec_lo, exec_lo, s10
	s_and_saveexec_b32 s9, s8
	s_cbranch_execnz .LBB264_212
.LBB264_172:
	s_or_b32 exec_lo, exec_lo, s9
	s_and_saveexec_b32 s8, s7
	s_cbranch_execnz .LBB264_217
.LBB264_173:
	s_or_b32 exec_lo, exec_lo, s8
	s_and_saveexec_b32 s7, s6
	s_cbranch_execnz .LBB264_222
.LBB264_174:
	s_or_b32 exec_lo, exec_lo, s7
	s_and_saveexec_b32 s6, s5
	s_cbranch_execnz .LBB264_227
.LBB264_175:
	s_or_b32 exec_lo, exec_lo, s6
	s_and_saveexec_b32 s5, s4
	s_cbranch_execnz .LBB264_232
.LBB264_176:
	s_or_b32 exec_lo, exec_lo, s5
	s_and_saveexec_b32 s4, s3
	s_cbranch_execnz .LBB264_237
.LBB264_177:
	s_or_b32 exec_lo, exec_lo, s4
	s_and_saveexec_b32 s3, s2
	s_cbranch_execnz .LBB264_242
.LBB264_178:
	s_or_b32 exec_lo, exec_lo, s3
	s_and_saveexec_b32 s2, s1
	s_cbranch_execnz .LBB264_247
.LBB264_179:
	s_or_b32 exec_lo, exec_lo, s2
	s_and_saveexec_b32 s1, s0
	s_cbranch_execnz .LBB264_252
.LBB264_180:
	s_or_b32 exec_lo, exec_lo, s1
	s_and_saveexec_b32 s0, vcc_lo
	s_cbranch_execnz .LBB264_257
	s_branch .LBB264_262
.LBB264_181:
	s_wait_loadcnt 0x0
	global_load_u16 v1, v0, s[28:29] offset:7680 scale_offset
	s_wait_xcnt 0x0
	s_or_b32 exec_lo, exec_lo, s30
	s_and_saveexec_b32 s28, s14
	s_cbranch_execz .LBB264_166
.LBB264_182:
	v_lshlrev_b32_e32 v2, 16, v12
	s_mov_b32 s29, exec_lo
	s_delay_alu instid0(VALU_DEP_1)
	v_cmpx_o_f32_e32 v2, v2
	s_cbranch_execz .LBB264_186
; %bb.183:
	s_wait_loadcnt 0x0
	v_lshlrev_b32_e32 v3, 16, v20
	s_mov_b32 s30, exec_lo
	s_delay_alu instid0(VALU_DEP_1)
	v_cmpx_o_f32_e32 v3, v3
; %bb.184:
	v_cmp_lt_f32_e64 s14, v3, v2
	s_delay_alu instid0(VALU_DEP_1)
	v_cndmask_b32_e64 v20, v12, v20, s14
; %bb.185:
	s_or_b32 exec_lo, exec_lo, s30
	s_delay_alu instid0(VALU_DEP_1)
	v_mov_b32_e32 v12, v20
.LBB264_186:
	s_or_b32 exec_lo, exec_lo, s29
	s_delay_alu instid0(SALU_CYCLE_1)
	s_or_b32 exec_lo, exec_lo, s28
	s_and_saveexec_b32 s14, s13
	s_cbranch_execz .LBB264_167
.LBB264_187:
	v_lshlrev_b32_e32 v2, 16, v12
	s_mov_b32 s28, exec_lo
	s_delay_alu instid0(VALU_DEP_1)
	v_cmpx_o_f32_e32 v2, v2
	s_cbranch_execz .LBB264_191
; %bb.188:
	s_wait_loadcnt 0x0
	v_lshlrev_b32_e32 v3, 16, v19
	s_mov_b32 s29, exec_lo
	s_delay_alu instid0(VALU_DEP_1)
	v_cmpx_o_f32_e32 v3, v3
; %bb.189:
	v_cmp_lt_f32_e64 s13, v3, v2
	s_delay_alu instid0(VALU_DEP_1)
	v_cndmask_b32_e64 v19, v12, v19, s13
; %bb.190:
	s_or_b32 exec_lo, exec_lo, s29
	s_delay_alu instid0(VALU_DEP_1)
	v_mov_b32_e32 v12, v19
.LBB264_191:
	s_or_b32 exec_lo, exec_lo, s28
	s_delay_alu instid0(SALU_CYCLE_1)
	s_or_b32 exec_lo, exec_lo, s14
	s_and_saveexec_b32 s13, s12
	s_cbranch_execz .LBB264_168
.LBB264_192:
	v_lshlrev_b32_e32 v2, 16, v12
	s_mov_b32 s14, exec_lo
	s_delay_alu instid0(VALU_DEP_1)
	v_cmpx_o_f32_e32 v2, v2
	s_cbranch_execz .LBB264_196
; %bb.193:
	s_wait_loadcnt 0x0
	v_lshlrev_b32_e32 v3, 16, v18
	s_mov_b32 s28, exec_lo
	s_delay_alu instid0(VALU_DEP_1)
	v_cmpx_o_f32_e32 v3, v3
; %bb.194:
	v_cmp_lt_f32_e64 s12, v3, v2
	s_delay_alu instid0(VALU_DEP_1)
	v_cndmask_b32_e64 v18, v12, v18, s12
; %bb.195:
	s_or_b32 exec_lo, exec_lo, s28
	s_delay_alu instid0(VALU_DEP_1)
	v_mov_b32_e32 v12, v18
.LBB264_196:
	s_or_b32 exec_lo, exec_lo, s14
	s_delay_alu instid0(SALU_CYCLE_1)
	s_or_b32 exec_lo, exec_lo, s13
	s_and_saveexec_b32 s12, s11
	s_cbranch_execz .LBB264_169
.LBB264_197:
	v_lshlrev_b32_e32 v2, 16, v12
	s_mov_b32 s13, exec_lo
	s_delay_alu instid0(VALU_DEP_1)
	v_cmpx_o_f32_e32 v2, v2
	s_cbranch_execz .LBB264_201
; %bb.198:
	s_wait_loadcnt 0x0
	v_lshlrev_b32_e32 v3, 16, v17
	s_mov_b32 s14, exec_lo
	s_delay_alu instid0(VALU_DEP_1)
	v_cmpx_o_f32_e32 v3, v3
; %bb.199:
	v_cmp_lt_f32_e64 s11, v3, v2
	s_delay_alu instid0(VALU_DEP_1)
	v_cndmask_b32_e64 v17, v12, v17, s11
; %bb.200:
	s_or_b32 exec_lo, exec_lo, s14
	s_delay_alu instid0(VALU_DEP_1)
	v_mov_b32_e32 v12, v17
.LBB264_201:
	s_or_b32 exec_lo, exec_lo, s13
	s_delay_alu instid0(SALU_CYCLE_1)
	s_or_b32 exec_lo, exec_lo, s12
	s_and_saveexec_b32 s11, s10
	s_cbranch_execz .LBB264_170
.LBB264_202:
	v_lshlrev_b32_e32 v2, 16, v12
	s_mov_b32 s12, exec_lo
	s_delay_alu instid0(VALU_DEP_1)
	v_cmpx_o_f32_e32 v2, v2
	s_cbranch_execz .LBB264_206
; %bb.203:
	s_wait_loadcnt 0x0
	v_lshlrev_b32_e32 v3, 16, v16
	s_mov_b32 s13, exec_lo
	s_delay_alu instid0(VALU_DEP_1)
	v_cmpx_o_f32_e32 v3, v3
; %bb.204:
	v_cmp_lt_f32_e64 s10, v3, v2
	s_delay_alu instid0(VALU_DEP_1)
	v_cndmask_b32_e64 v16, v12, v16, s10
; %bb.205:
	s_or_b32 exec_lo, exec_lo, s13
	s_delay_alu instid0(VALU_DEP_1)
	v_mov_b32_e32 v12, v16
.LBB264_206:
	s_or_b32 exec_lo, exec_lo, s12
	s_delay_alu instid0(SALU_CYCLE_1)
	s_or_b32 exec_lo, exec_lo, s11
	s_and_saveexec_b32 s10, s9
	s_cbranch_execz .LBB264_171
.LBB264_207:
	v_lshlrev_b32_e32 v2, 16, v12
	s_mov_b32 s11, exec_lo
	s_delay_alu instid0(VALU_DEP_1)
	v_cmpx_o_f32_e32 v2, v2
	s_cbranch_execz .LBB264_211
; %bb.208:
	s_wait_loadcnt 0x0
	v_lshlrev_b32_e32 v3, 16, v15
	s_mov_b32 s12, exec_lo
	s_delay_alu instid0(VALU_DEP_1)
	v_cmpx_o_f32_e32 v3, v3
; %bb.209:
	v_cmp_lt_f32_e64 s9, v3, v2
	s_delay_alu instid0(VALU_DEP_1)
	v_cndmask_b32_e64 v15, v12, v15, s9
; %bb.210:
	s_or_b32 exec_lo, exec_lo, s12
	s_delay_alu instid0(VALU_DEP_1)
	v_mov_b32_e32 v12, v15
.LBB264_211:
	s_or_b32 exec_lo, exec_lo, s11
	s_delay_alu instid0(SALU_CYCLE_1)
	s_or_b32 exec_lo, exec_lo, s10
	s_and_saveexec_b32 s9, s8
	s_cbranch_execz .LBB264_172
.LBB264_212:
	v_lshlrev_b32_e32 v2, 16, v12
	s_mov_b32 s10, exec_lo
	s_delay_alu instid0(VALU_DEP_1)
	v_cmpx_o_f32_e32 v2, v2
	s_cbranch_execz .LBB264_216
; %bb.213:
	s_wait_loadcnt 0x0
	v_lshlrev_b32_e32 v3, 16, v14
	s_mov_b32 s11, exec_lo
	s_delay_alu instid0(VALU_DEP_1)
	v_cmpx_o_f32_e32 v3, v3
; %bb.214:
	v_cmp_lt_f32_e64 s8, v3, v2
	s_delay_alu instid0(VALU_DEP_1)
	v_cndmask_b32_e64 v14, v12, v14, s8
; %bb.215:
	s_or_b32 exec_lo, exec_lo, s11
	s_delay_alu instid0(VALU_DEP_1)
	v_mov_b32_e32 v12, v14
.LBB264_216:
	s_or_b32 exec_lo, exec_lo, s10
	s_delay_alu instid0(SALU_CYCLE_1)
	s_or_b32 exec_lo, exec_lo, s9
	s_and_saveexec_b32 s8, s7
	s_cbranch_execz .LBB264_173
.LBB264_217:
	v_lshlrev_b32_e32 v2, 16, v12
	s_mov_b32 s9, exec_lo
	s_delay_alu instid0(VALU_DEP_1)
	v_cmpx_o_f32_e32 v2, v2
	s_cbranch_execz .LBB264_221
; %bb.218:
	s_wait_loadcnt 0x0
	v_lshlrev_b32_e32 v3, 16, v13
	s_mov_b32 s10, exec_lo
	s_delay_alu instid0(VALU_DEP_1)
	v_cmpx_o_f32_e32 v3, v3
; %bb.219:
	v_cmp_lt_f32_e64 s7, v3, v2
	s_delay_alu instid0(VALU_DEP_1)
	v_cndmask_b32_e64 v13, v12, v13, s7
; %bb.220:
	s_or_b32 exec_lo, exec_lo, s10
	s_delay_alu instid0(VALU_DEP_1)
	v_mov_b32_e32 v12, v13
.LBB264_221:
	s_or_b32 exec_lo, exec_lo, s9
	s_delay_alu instid0(SALU_CYCLE_1)
	s_or_b32 exec_lo, exec_lo, s8
	s_and_saveexec_b32 s7, s6
	s_cbranch_execz .LBB264_174
.LBB264_222:
	v_lshlrev_b32_e32 v2, 16, v12
	s_mov_b32 s8, exec_lo
	s_delay_alu instid0(VALU_DEP_1)
	v_cmpx_o_f32_e32 v2, v2
	s_cbranch_execz .LBB264_226
; %bb.223:
	s_wait_loadcnt 0x0
	v_lshlrev_b32_e32 v3, 16, v11
	s_mov_b32 s9, exec_lo
	s_delay_alu instid0(VALU_DEP_1)
	v_cmpx_o_f32_e32 v3, v3
; %bb.224:
	v_cmp_lt_f32_e64 s6, v3, v2
	s_delay_alu instid0(VALU_DEP_1)
	v_cndmask_b32_e64 v11, v12, v11, s6
; %bb.225:
	s_or_b32 exec_lo, exec_lo, s9
	s_delay_alu instid0(VALU_DEP_1)
	v_mov_b32_e32 v12, v11
.LBB264_226:
	s_or_b32 exec_lo, exec_lo, s8
	s_delay_alu instid0(SALU_CYCLE_1)
	s_or_b32 exec_lo, exec_lo, s7
	s_and_saveexec_b32 s6, s5
	s_cbranch_execz .LBB264_175
.LBB264_227:
	v_lshlrev_b32_e32 v2, 16, v12
	s_mov_b32 s7, exec_lo
	s_delay_alu instid0(VALU_DEP_1)
	v_cmpx_o_f32_e32 v2, v2
	s_cbranch_execz .LBB264_231
; %bb.228:
	s_wait_loadcnt 0x0
	v_lshlrev_b32_e32 v3, 16, v10
	s_mov_b32 s8, exec_lo
	s_delay_alu instid0(VALU_DEP_1)
	v_cmpx_o_f32_e32 v3, v3
; %bb.229:
	v_cmp_lt_f32_e64 s5, v3, v2
	s_delay_alu instid0(VALU_DEP_1)
	v_cndmask_b32_e64 v10, v12, v10, s5
; %bb.230:
	s_or_b32 exec_lo, exec_lo, s8
	s_delay_alu instid0(VALU_DEP_1)
	v_mov_b32_e32 v12, v10
.LBB264_231:
	s_or_b32 exec_lo, exec_lo, s7
	s_delay_alu instid0(SALU_CYCLE_1)
	s_or_b32 exec_lo, exec_lo, s6
	s_and_saveexec_b32 s5, s4
	s_cbranch_execz .LBB264_176
.LBB264_232:
	v_lshlrev_b32_e32 v2, 16, v12
	s_mov_b32 s6, exec_lo
	s_delay_alu instid0(VALU_DEP_1)
	v_cmpx_o_f32_e32 v2, v2
	s_cbranch_execz .LBB264_236
; %bb.233:
	s_wait_loadcnt 0x0
	v_lshlrev_b32_e32 v3, 16, v9
	s_mov_b32 s7, exec_lo
	s_delay_alu instid0(VALU_DEP_1)
	v_cmpx_o_f32_e32 v3, v3
; %bb.234:
	v_cmp_lt_f32_e64 s4, v3, v2
	s_delay_alu instid0(VALU_DEP_1)
	v_cndmask_b32_e64 v9, v12, v9, s4
; %bb.235:
	s_or_b32 exec_lo, exec_lo, s7
	s_delay_alu instid0(VALU_DEP_1)
	v_mov_b32_e32 v12, v9
.LBB264_236:
	s_or_b32 exec_lo, exec_lo, s6
	s_delay_alu instid0(SALU_CYCLE_1)
	s_or_b32 exec_lo, exec_lo, s5
	s_and_saveexec_b32 s4, s3
	s_cbranch_execz .LBB264_177
.LBB264_237:
	v_lshlrev_b32_e32 v2, 16, v12
	s_mov_b32 s5, exec_lo
	s_delay_alu instid0(VALU_DEP_1)
	v_cmpx_o_f32_e32 v2, v2
	s_cbranch_execz .LBB264_241
; %bb.238:
	s_wait_loadcnt 0x0
	v_lshlrev_b32_e32 v3, 16, v8
	s_mov_b32 s6, exec_lo
	s_delay_alu instid0(VALU_DEP_1)
	v_cmpx_o_f32_e32 v3, v3
; %bb.239:
	v_cmp_lt_f32_e64 s3, v3, v2
	s_delay_alu instid0(VALU_DEP_1)
	v_cndmask_b32_e64 v8, v12, v8, s3
; %bb.240:
	s_or_b32 exec_lo, exec_lo, s6
	s_delay_alu instid0(VALU_DEP_1)
	v_mov_b32_e32 v12, v8
.LBB264_241:
	s_or_b32 exec_lo, exec_lo, s5
	s_delay_alu instid0(SALU_CYCLE_1)
	s_or_b32 exec_lo, exec_lo, s4
	s_and_saveexec_b32 s3, s2
	s_cbranch_execz .LBB264_178
.LBB264_242:
	v_lshlrev_b32_e32 v2, 16, v12
	s_mov_b32 s4, exec_lo
	s_delay_alu instid0(VALU_DEP_1)
	v_cmpx_o_f32_e32 v2, v2
	s_cbranch_execz .LBB264_246
; %bb.243:
	s_wait_loadcnt 0x0
	v_lshlrev_b32_e32 v3, 16, v7
	s_mov_b32 s5, exec_lo
	s_delay_alu instid0(VALU_DEP_1)
	v_cmpx_o_f32_e32 v3, v3
; %bb.244:
	v_cmp_lt_f32_e64 s2, v3, v2
	s_delay_alu instid0(VALU_DEP_1)
	v_cndmask_b32_e64 v7, v12, v7, s2
; %bb.245:
	s_or_b32 exec_lo, exec_lo, s5
	s_delay_alu instid0(VALU_DEP_1)
	v_mov_b32_e32 v12, v7
.LBB264_246:
	s_or_b32 exec_lo, exec_lo, s4
	s_delay_alu instid0(SALU_CYCLE_1)
	s_or_b32 exec_lo, exec_lo, s3
	s_and_saveexec_b32 s2, s1
	s_cbranch_execz .LBB264_179
.LBB264_247:
	v_lshlrev_b32_e32 v2, 16, v12
	s_mov_b32 s3, exec_lo
	s_delay_alu instid0(VALU_DEP_1)
	v_cmpx_o_f32_e32 v2, v2
	s_cbranch_execz .LBB264_251
; %bb.248:
	s_wait_loadcnt 0x0
	v_lshlrev_b32_e32 v3, 16, v5
	s_mov_b32 s4, exec_lo
	s_delay_alu instid0(VALU_DEP_1)
	v_cmpx_o_f32_e32 v3, v3
; %bb.249:
	v_cmp_lt_f32_e64 s1, v3, v2
	s_delay_alu instid0(VALU_DEP_1)
	v_cndmask_b32_e64 v5, v12, v5, s1
; %bb.250:
	s_or_b32 exec_lo, exec_lo, s4
	s_delay_alu instid0(VALU_DEP_1)
	v_mov_b32_e32 v12, v5
.LBB264_251:
	s_or_b32 exec_lo, exec_lo, s3
	s_delay_alu instid0(SALU_CYCLE_1)
	s_or_b32 exec_lo, exec_lo, s2
	s_and_saveexec_b32 s1, s0
	s_cbranch_execz .LBB264_180
.LBB264_252:
	v_lshlrev_b32_e32 v2, 16, v12
	s_mov_b32 s2, exec_lo
	s_delay_alu instid0(VALU_DEP_1)
	v_cmpx_o_f32_e32 v2, v2
	s_cbranch_execz .LBB264_256
; %bb.253:
	s_wait_loadcnt 0x0
	v_lshlrev_b32_e32 v3, 16, v4
	s_mov_b32 s3, exec_lo
	s_delay_alu instid0(VALU_DEP_1)
	v_cmpx_o_f32_e32 v3, v3
; %bb.254:
	v_cmp_lt_f32_e64 s0, v3, v2
	s_delay_alu instid0(VALU_DEP_1)
	v_cndmask_b32_e64 v4, v12, v4, s0
; %bb.255:
	s_or_b32 exec_lo, exec_lo, s3
	s_delay_alu instid0(VALU_DEP_1)
	v_mov_b32_e32 v12, v4
.LBB264_256:
	s_or_b32 exec_lo, exec_lo, s2
	s_delay_alu instid0(SALU_CYCLE_1)
	s_or_b32 exec_lo, exec_lo, s1
	s_and_saveexec_b32 s0, vcc_lo
	s_cbranch_execz .LBB264_262
.LBB264_257:
	v_lshlrev_b32_e32 v2, 16, v12
	s_mov_b32 s1, exec_lo
	s_delay_alu instid0(VALU_DEP_1)
	v_cmpx_o_f32_e32 v2, v2
	s_cbranch_execz .LBB264_261
; %bb.258:
	s_wait_loadcnt 0x0
	v_lshlrev_b32_e32 v3, 16, v1
	s_mov_b32 s2, exec_lo
	s_delay_alu instid0(VALU_DEP_1)
	v_cmpx_o_f32_e32 v3, v3
; %bb.259:
	v_cmp_lt_f32_e32 vcc_lo, v3, v2
	v_cndmask_b32_e32 v1, v12, v1, vcc_lo
; %bb.260:
	s_or_b32 exec_lo, exec_lo, s2
	s_delay_alu instid0(VALU_DEP_1)
	v_mov_b32_e32 v12, v1
.LBB264_261:
	s_or_b32 exec_lo, exec_lo, s1
.LBB264_262:
	s_delay_alu instid0(SALU_CYCLE_1) | instskip(NEXT) | instid1(VALU_DEP_1)
	s_or_b32 exec_lo, exec_lo, s0
	v_and_b32_e32 v3, 0xffff, v12
	s_mov_b32 s0, exec_lo
	s_wait_loadcnt 0x0
	s_delay_alu instid0(VALU_DEP_1) | instskip(NEXT) | instid1(VALU_DEP_1)
	v_mov_b32_dpp v1, v3 quad_perm:[1,0,3,2] row_mask:0xf bank_mask:0xf
	v_lshlrev_b32_e32 v2, 16, v1
	s_delay_alu instid0(VALU_DEP_1)
	v_cmpx_o_f32_e32 v2, v2
	s_xor_b32 s0, exec_lo, s0
	s_cbranch_execz .LBB264_266
; %bb.263:
	v_lshlrev_b32_e32 v3, 16, v3
	s_mov_b32 s1, exec_lo
	s_delay_alu instid0(VALU_DEP_1)
	v_cmpx_o_f32_e32 v3, v3
; %bb.264:
	v_cmp_lt_f32_e32 vcc_lo, v3, v2
	v_cndmask_b32_e32 v12, v1, v12, vcc_lo
; %bb.265:
	s_or_b32 exec_lo, exec_lo, s1
	s_delay_alu instid0(VALU_DEP_1)
	v_mov_b32_e32 v1, v12
.LBB264_266:
	s_or_b32 exec_lo, exec_lo, s0
	s_delay_alu instid0(VALU_DEP_1) | instskip(SKIP_1) | instid1(VALU_DEP_1)
	v_and_b32_e32 v4, 0xffff, v1
	s_mov_b32 s0, exec_lo
	v_mov_b32_dpp v2, v4 quad_perm:[2,3,0,1] row_mask:0xf bank_mask:0xf
	s_delay_alu instid0(VALU_DEP_1) | instskip(NEXT) | instid1(VALU_DEP_1)
	v_lshlrev_b32_e32 v3, 16, v2
	v_cmpx_o_f32_e32 v3, v3
	s_cbranch_execz .LBB264_270
; %bb.267:
	v_lshlrev_b32_e32 v4, 16, v4
	s_mov_b32 s1, exec_lo
	s_delay_alu instid0(VALU_DEP_1)
	v_cmpx_o_f32_e32 v4, v4
; %bb.268:
	v_cmp_lt_f32_e32 vcc_lo, v4, v3
	v_cndmask_b32_e32 v1, v2, v1, vcc_lo
; %bb.269:
	s_or_b32 exec_lo, exec_lo, s1
	s_delay_alu instid0(VALU_DEP_1)
	v_mov_b32_e32 v2, v1
.LBB264_270:
	s_or_b32 exec_lo, exec_lo, s0
	s_delay_alu instid0(VALU_DEP_1) | instskip(SKIP_1) | instid1(VALU_DEP_1)
	v_and_b32_e32 v4, 0xffff, v2
	s_mov_b32 s0, exec_lo
	v_mov_b32_dpp v1, v4 row_ror:4 row_mask:0xf bank_mask:0xf
	s_delay_alu instid0(VALU_DEP_1) | instskip(NEXT) | instid1(VALU_DEP_1)
	v_lshlrev_b32_e32 v3, 16, v1
	v_cmpx_o_f32_e32 v3, v3
	s_cbranch_execz .LBB264_274
; %bb.271:
	v_lshlrev_b32_e32 v4, 16, v4
	s_mov_b32 s1, exec_lo
	s_delay_alu instid0(VALU_DEP_1)
	v_cmpx_o_f32_e32 v4, v4
; %bb.272:
	v_cmp_lt_f32_e32 vcc_lo, v4, v3
	v_cndmask_b32_e32 v2, v1, v2, vcc_lo
; %bb.273:
	s_or_b32 exec_lo, exec_lo, s1
	s_delay_alu instid0(VALU_DEP_1)
	v_mov_b32_e32 v1, v2
.LBB264_274:
	s_or_b32 exec_lo, exec_lo, s0
	s_delay_alu instid0(VALU_DEP_1) | instskip(SKIP_1) | instid1(VALU_DEP_1)
	v_and_b32_e32 v4, 0xffff, v1
	s_mov_b32 s0, exec_lo
	v_mov_b32_dpp v2, v4 row_ror:8 row_mask:0xf bank_mask:0xf
	s_delay_alu instid0(VALU_DEP_1) | instskip(NEXT) | instid1(VALU_DEP_1)
	v_lshlrev_b32_e32 v3, 16, v2
	v_cmpx_o_f32_e32 v3, v3
	s_cbranch_execz .LBB264_278
; %bb.275:
	v_lshlrev_b32_e32 v4, 16, v4
	s_mov_b32 s1, exec_lo
	s_delay_alu instid0(VALU_DEP_1)
	v_cmpx_o_f32_e32 v4, v4
; %bb.276:
	v_cmp_lt_f32_e32 vcc_lo, v4, v3
	v_cndmask_b32_e32 v1, v2, v1, vcc_lo
; %bb.277:
	s_or_b32 exec_lo, exec_lo, s1
	s_delay_alu instid0(VALU_DEP_1)
	v_mov_b32_e32 v2, v1
.LBB264_278:
	s_or_b32 exec_lo, exec_lo, s0
	s_delay_alu instid0(VALU_DEP_1) | instskip(SKIP_4) | instid1(VALU_DEP_1)
	v_and_b32_e32 v4, 0xffff, v2
	s_mov_b32 s0, exec_lo
	ds_swizzle_b32 v1, v4 offset:swizzle(BROADCAST,32,15)
	s_wait_dscnt 0x0
	v_lshlrev_b32_e32 v3, 16, v1
	v_cmpx_o_f32_e32 v3, v3
	s_cbranch_execz .LBB264_282
; %bb.279:
	v_lshlrev_b32_e32 v4, 16, v4
	s_mov_b32 s1, exec_lo
	s_delay_alu instid0(VALU_DEP_1)
	v_cmpx_o_f32_e32 v4, v4
; %bb.280:
	v_cmp_lt_f32_e32 vcc_lo, v4, v3
	v_cndmask_b32_e32 v2, v1, v2, vcc_lo
; %bb.281:
	s_or_b32 exec_lo, exec_lo, s1
	s_delay_alu instid0(VALU_DEP_1)
	v_mov_b32_e32 v1, v2
.LBB264_282:
	s_or_b32 exec_lo, exec_lo, s0
	s_delay_alu instid0(VALU_DEP_1) | instskip(SKIP_4) | instid1(VALU_DEP_1)
	v_and_b32_e32 v1, 0xffff, v1
	v_mov_b32_e32 v2, 0
	s_mov_b32 s0, exec_lo
	ds_bpermute_b32 v2, v2, v1 offset:124
	v_mbcnt_lo_u32_b32 v1, -1, 0
	v_cmpx_eq_u32_e32 0, v1
	s_cbranch_execz .LBB264_284
; %bb.283:
	v_lshrrev_b32_e32 v3, 4, v0
	s_delay_alu instid0(VALU_DEP_1)
	v_and_b32_e32 v3, 14, v3
	s_wait_dscnt 0x0
	ds_store_b16 v3, v2
.LBB264_284:
	s_or_b32 exec_lo, exec_lo, s0
	s_delay_alu instid0(SALU_CYCLE_1)
	s_mov_b32 s0, exec_lo
	s_wait_dscnt 0x0
	s_barrier_signal -1
	s_barrier_wait -1
	v_cmpx_gt_u32_e32 32, v0
	s_cbranch_execz .LBB264_298
; %bb.285:
	v_and_b32_e32 v3, 7, v1
	s_mov_b32 s1, exec_lo
	s_delay_alu instid0(VALU_DEP_1) | instskip(SKIP_1) | instid1(VALU_DEP_1)
	v_cmp_ne_u32_e32 vcc_lo, 7, v3
	v_add_co_ci_u32_e64 v4, null, 0, v1, vcc_lo
	v_dual_lshlrev_b32 v4, 2, v4 :: v_dual_lshlrev_b32 v2, 1, v3
	ds_load_u16 v2, v2
	s_wait_dscnt 0x0
	v_and_b32_e32 v5, 0xffff, v2
	ds_bpermute_b32 v4, v4, v5
	v_lshlrev_b32_e32 v5, 16, v2
	s_delay_alu instid0(VALU_DEP_1)
	v_cmpx_o_f32_e32 v5, v5
	s_cbranch_execz .LBB264_289
; %bb.286:
	s_wait_dscnt 0x0
	v_lshlrev_b32_e32 v7, 16, v4
	s_mov_b32 s2, exec_lo
	s_delay_alu instid0(VALU_DEP_1)
	v_cmpx_o_f32_e32 v7, v7
; %bb.287:
	v_cmp_lt_f32_e32 vcc_lo, v7, v5
	v_cndmask_b32_e32 v4, v2, v4, vcc_lo
; %bb.288:
	s_or_b32 exec_lo, exec_lo, s2
	s_delay_alu instid0(VALU_DEP_1)
	v_mov_b32_e32 v2, v4
.LBB264_289:
	s_or_b32 exec_lo, exec_lo, s1
	v_cmp_gt_u32_e32 vcc_lo, 6, v3
	s_wait_dscnt 0x0
	s_delay_alu instid0(VALU_DEP_2) | instskip(SKIP_2) | instid1(VALU_DEP_1)
	v_and_b32_e32 v4, 0xffff, v2
	s_mov_b32 s1, exec_lo
	v_cndmask_b32_e64 v3, 0, 2, vcc_lo
	v_add_lshl_u32 v3, v3, v1, 2
	v_lshlrev_b32_e32 v1, 2, v1
	ds_bpermute_b32 v3, v3, v4
	v_lshlrev_b32_e32 v4, 16, v2
	s_delay_alu instid0(VALU_DEP_1)
	v_cmpx_o_f32_e32 v4, v4
	s_cbranch_execz .LBB264_293
; %bb.290:
	s_wait_dscnt 0x0
	v_lshlrev_b32_e32 v5, 16, v3
	s_mov_b32 s2, exec_lo
	s_delay_alu instid0(VALU_DEP_1)
	v_cmpx_o_f32_e32 v5, v5
; %bb.291:
	v_cmp_lt_f32_e32 vcc_lo, v5, v4
	v_cndmask_b32_e32 v3, v2, v3, vcc_lo
; %bb.292:
	s_or_b32 exec_lo, exec_lo, s2
	s_delay_alu instid0(VALU_DEP_1)
	v_mov_b32_e32 v2, v3
.LBB264_293:
	s_or_b32 exec_lo, exec_lo, s1
	v_or_b32_e32 v1, 16, v1
	s_wait_dscnt 0x0
	s_delay_alu instid0(VALU_DEP_2) | instskip(SKIP_3) | instid1(VALU_DEP_1)
	v_and_b32_e32 v3, 0xffff, v2
	s_mov_b32 s1, exec_lo
	ds_bpermute_b32 v1, v1, v3
	v_lshlrev_b32_e32 v3, 16, v2
	v_cmpx_o_f32_e32 v3, v3
	s_cbranch_execz .LBB264_297
; %bb.294:
	s_wait_dscnt 0x0
	v_lshlrev_b32_e32 v4, 16, v1
	s_mov_b32 s2, exec_lo
	s_delay_alu instid0(VALU_DEP_1)
	v_cmpx_o_f32_e32 v4, v4
; %bb.295:
	v_cmp_lt_f32_e32 vcc_lo, v4, v3
	v_cndmask_b32_e32 v1, v2, v1, vcc_lo
; %bb.296:
	s_or_b32 exec_lo, exec_lo, s2
	s_delay_alu instid0(VALU_DEP_1)
	v_mov_b32_e32 v2, v1
.LBB264_297:
	s_or_b32 exec_lo, exec_lo, s1
.LBB264_298:
	s_delay_alu instid0(SALU_CYCLE_1)
	s_or_b32 exec_lo, exec_lo, s0
	s_branch .LBB264_401
.LBB264_299:
	s_sub_co_i32 s0, s24, s26
	s_mov_b32 s1, exec_lo
                                        ; implicit-def: $vgpr7
	v_cmpx_gt_u32_e64 s0, v0
	s_cbranch_execz .LBB264_309
; %bb.300:
	s_wait_dscnt 0x0
	v_mov_b32_e32 v1, 0
	s_mov_b32 s2, exec_lo
	s_delay_alu instid0(VALU_DEP_1) | instskip(NEXT) | instid1(VALU_DEP_1)
	v_add_nc_u64_e32 v[2:3], s[26:27], v[0:1]
	v_lshl_add_u64 v[4:5], v[2:3], 1, s[16:17]
	v_add_nc_u64_e32 v[2:3], 0x100, v[2:3]
	global_load_u16 v7, v[4:5], off
	s_wait_xcnt 0x0
	v_cmpx_gt_i64_e64 s[24:25], v[2:3]
	s_cbranch_execz .LBB264_308
; %bb.301:
	v_add_nc_u64_e32 v[4:5], 0x200, v[4:5]
	s_mov_b32 s3, 0
	s_branch .LBB264_304
.LBB264_302:                            ;   in Loop: Header=BB264_304 Depth=1
	s_or_b32 exec_lo, exec_lo, s5
	s_delay_alu instid0(VALU_DEP_1)
	v_mov_b32_e32 v7, v8
.LBB264_303:                            ;   in Loop: Header=BB264_304 Depth=1
	s_or_b32 exec_lo, exec_lo, s4
	v_add_nc_u64_e32 v[2:3], 0x100, v[2:3]
	v_add_nc_u64_e32 v[4:5], 0x200, v[4:5]
	s_delay_alu instid0(VALU_DEP_2) | instskip(SKIP_1) | instid1(SALU_CYCLE_1)
	v_cmp_le_i64_e32 vcc_lo, s[24:25], v[2:3]
	s_or_b32 s3, vcc_lo, s3
	s_and_not1_b32 exec_lo, exec_lo, s3
	s_cbranch_execz .LBB264_307
.LBB264_304:                            ; =>This Inner Loop Header: Depth=1
	s_wait_loadcnt 0x0
	v_lshlrev_b32_e32 v1, 16, v7
	s_mov_b32 s4, exec_lo
	s_delay_alu instid0(VALU_DEP_1)
	v_cmpx_o_f32_e32 v1, v1
	s_cbranch_execz .LBB264_303
; %bb.305:                              ;   in Loop: Header=BB264_304 Depth=1
	global_load_u16 v8, v[4:5], off
	s_mov_b32 s5, exec_lo
	s_wait_loadcnt 0x0
	v_lshlrev_b32_e32 v9, 16, v8
	s_delay_alu instid0(VALU_DEP_1)
	v_cmpx_o_f32_e32 v9, v9
	s_cbranch_execz .LBB264_302
; %bb.306:                              ;   in Loop: Header=BB264_304 Depth=1
	v_cmp_lt_f32_e32 vcc_lo, v9, v1
	v_cndmask_b32_e32 v8, v7, v8, vcc_lo
	s_branch .LBB264_302
.LBB264_307:
	s_or_b32 exec_lo, exec_lo, s3
.LBB264_308:
	s_delay_alu instid0(SALU_CYCLE_1)
	s_or_b32 exec_lo, exec_lo, s2
.LBB264_309:
	s_delay_alu instid0(SALU_CYCLE_1)
	s_or_b32 exec_lo, exec_lo, s1
	v_lshrrev_b32_e32 v3, 5, v0
	s_wait_dscnt 0x0
	v_mbcnt_lo_u32_b32 v1, -1, 0
	s_wait_loadcnt 0x0
	v_and_b32_e32 v4, 0xffff, v7
	s_cmp_lt_u32 s0, 0x100
	s_mov_b32 s1, -1
                                        ; implicit-def: $vgpr2
	s_cbranch_scc0 .LBB264_363
; %bb.310:
	v_cmp_ne_u32_e32 vcc_lo, 31, v1
	v_mov_b32_e32 v9, v4
	v_add_co_ci_u32_e64 v2, null, 0, v1, vcc_lo
	s_delay_alu instid0(VALU_DEP_1) | instskip(SKIP_2) | instid1(VALU_DEP_1)
	v_lshlrev_b32_e32 v2, 2, v2
	ds_bpermute_b32 v8, v2, v4
	v_and_b32_e32 v2, 0xe0, v0
	v_sub_nc_u32_e64 v5, s0, v2 clamp
	v_add_nc_u32_e32 v2, 1, v1
	s_delay_alu instid0(VALU_DEP_1)
	v_cmp_lt_u32_e32 vcc_lo, v2, v5
	v_mov_b32_e32 v2, v7
	s_and_saveexec_b32 s1, vcc_lo
	s_cbranch_execz .LBB264_316
; %bb.311:
	v_dual_mov_b32 v2, v7 :: v_dual_lshlrev_b32 v9, 16, v4
	s_mov_b32 s2, exec_lo
	s_delay_alu instid0(VALU_DEP_1)
	v_cmpx_o_f32_e32 v9, v9
	s_cbranch_execz .LBB264_315
; %bb.312:
	s_wait_dscnt 0x0
	v_lshlrev_b32_e32 v2, 16, v8
	s_mov_b32 s3, exec_lo
	s_delay_alu instid0(VALU_DEP_1)
	v_cmpx_o_f32_e32 v2, v2
; %bb.313:
	v_cmp_lt_f32_e32 vcc_lo, v2, v9
	v_cndmask_b32_e32 v8, v7, v8, vcc_lo
; %bb.314:
	s_or_b32 exec_lo, exec_lo, s3
	s_delay_alu instid0(VALU_DEP_1)
	v_mov_b32_e32 v2, v8
.LBB264_315:
	s_or_b32 exec_lo, exec_lo, s2
	s_delay_alu instid0(VALU_DEP_1)
	v_and_b32_e32 v9, 0xffff, v2
.LBB264_316:
	s_or_b32 exec_lo, exec_lo, s1
	v_cmp_gt_u32_e32 vcc_lo, 30, v1
	v_add_nc_u32_e32 v10, 2, v1
	s_mov_b32 s1, exec_lo
	s_wait_dscnt 0x0
	v_cndmask_b32_e64 v8, 0, 2, vcc_lo
	s_delay_alu instid0(VALU_DEP_1)
	v_add_lshl_u32 v8, v8, v1, 2
	ds_bpermute_b32 v8, v8, v9
	v_cmpx_lt_u32_e64 v10, v5
	s_cbranch_execz .LBB264_322
; %bb.317:
	v_lshlrev_b32_e32 v9, 16, v9
	s_mov_b32 s2, exec_lo
	s_delay_alu instid0(VALU_DEP_1)
	v_cmpx_o_f32_e32 v9, v9
	s_cbranch_execz .LBB264_321
; %bb.318:
	s_wait_dscnt 0x0
	v_lshlrev_b32_e32 v10, 16, v8
	s_mov_b32 s3, exec_lo
	s_delay_alu instid0(VALU_DEP_1)
	v_cmpx_o_f32_e32 v10, v10
; %bb.319:
	v_cmp_lt_f32_e32 vcc_lo, v10, v9
	v_cndmask_b32_e32 v8, v2, v8, vcc_lo
; %bb.320:
	s_or_b32 exec_lo, exec_lo, s3
	s_delay_alu instid0(VALU_DEP_1)
	v_mov_b32_e32 v2, v8
.LBB264_321:
	s_or_b32 exec_lo, exec_lo, s2
	s_delay_alu instid0(VALU_DEP_1)
	v_and_b32_e32 v9, 0xffff, v2
.LBB264_322:
	s_or_b32 exec_lo, exec_lo, s1
	v_cmp_gt_u32_e32 vcc_lo, 28, v1
	v_add_nc_u32_e32 v10, 4, v1
	s_mov_b32 s1, exec_lo
	s_wait_dscnt 0x0
	v_cndmask_b32_e64 v8, 0, 4, vcc_lo
	s_delay_alu instid0(VALU_DEP_1)
	v_add_lshl_u32 v8, v8, v1, 2
	ds_bpermute_b32 v8, v8, v9
	v_cmpx_lt_u32_e64 v10, v5
	s_cbranch_execz .LBB264_328
; %bb.323:
	v_lshlrev_b32_e32 v9, 16, v9
	s_mov_b32 s2, exec_lo
	s_delay_alu instid0(VALU_DEP_1)
	v_cmpx_o_f32_e32 v9, v9
	s_cbranch_execz .LBB264_327
; %bb.324:
	s_wait_dscnt 0x0
	v_lshlrev_b32_e32 v10, 16, v8
	s_mov_b32 s3, exec_lo
	s_delay_alu instid0(VALU_DEP_1)
	v_cmpx_o_f32_e32 v10, v10
; %bb.325:
	v_cmp_lt_f32_e32 vcc_lo, v10, v9
	v_cndmask_b32_e32 v8, v2, v8, vcc_lo
; %bb.326:
	s_or_b32 exec_lo, exec_lo, s3
	s_delay_alu instid0(VALU_DEP_1)
	v_mov_b32_e32 v2, v8
.LBB264_327:
	s_or_b32 exec_lo, exec_lo, s2
	s_delay_alu instid0(VALU_DEP_1)
	v_and_b32_e32 v9, 0xffff, v2
.LBB264_328:
	;; [unrolled: 35-line block ×3, first 2 shown]
	s_or_b32 exec_lo, exec_lo, s1
	s_wait_dscnt 0x0
	v_dual_lshlrev_b32 v8, 2, v1 :: v_dual_add_nc_u32 v11, 16, v1
	s_mov_b32 s1, exec_lo
	s_delay_alu instid0(VALU_DEP_1)
	v_or_b32_e32 v10, 64, v8
	ds_bpermute_b32 v10, v10, v9
	v_cmpx_lt_u32_e64 v11, v5
	s_cbranch_execz .LBB264_340
; %bb.335:
	v_lshlrev_b32_e32 v5, 16, v9
	s_mov_b32 s2, exec_lo
	s_delay_alu instid0(VALU_DEP_1)
	v_cmpx_o_f32_e32 v5, v5
	s_cbranch_execz .LBB264_339
; %bb.336:
	s_wait_dscnt 0x0
	v_lshlrev_b32_e32 v9, 16, v10
	s_mov_b32 s3, exec_lo
	s_delay_alu instid0(VALU_DEP_1)
	v_cmpx_o_f32_e32 v9, v9
; %bb.337:
	v_cmp_lt_f32_e32 vcc_lo, v9, v5
	v_cndmask_b32_e32 v10, v2, v10, vcc_lo
; %bb.338:
	s_or_b32 exec_lo, exec_lo, s3
	s_delay_alu instid0(VALU_DEP_1)
	v_mov_b32_e32 v2, v10
.LBB264_339:
	s_or_b32 exec_lo, exec_lo, s2
.LBB264_340:
	s_delay_alu instid0(SALU_CYCLE_1) | instskip(NEXT) | instid1(SALU_CYCLE_1)
	s_or_b32 exec_lo, exec_lo, s1
	s_mov_b32 s1, exec_lo
	v_cmpx_eq_u32_e32 0, v1
; %bb.341:
	v_lshlrev_b32_e32 v5, 1, v3
	ds_store_b16 v5, v2
; %bb.342:
	s_or_b32 exec_lo, exec_lo, s1
	s_delay_alu instid0(SALU_CYCLE_1)
	s_mov_b32 s1, exec_lo
	s_wait_dscnt 0x0
	s_barrier_signal -1
	s_barrier_wait -1
	v_cmpx_gt_u32_e32 8, v0
	s_cbranch_execz .LBB264_362
; %bb.343:
	v_dual_lshlrev_b32 v2, 1, v1 :: v_dual_bitop2_b32 v5, 7, v1 bitop3:0x40
	s_add_co_i32 s0, s0, 31
	s_mov_b32 s2, exec_lo
	s_lshr_b32 s0, s0, 5
	ds_load_u16 v2, v2
	v_cmp_ne_u32_e32 vcc_lo, 7, v5
	v_add_nc_u32_e32 v11, 1, v5
	v_add_co_ci_u32_e64 v9, null, 0, v1, vcc_lo
	s_delay_alu instid0(VALU_DEP_1)
	v_lshlrev_b32_e32 v10, 2, v9
	s_wait_dscnt 0x0
	v_and_b32_e32 v9, 0xffff, v2
	ds_bpermute_b32 v10, v10, v9
	v_cmpx_gt_u32_e64 s0, v11
	s_cbranch_execz .LBB264_349
; %bb.344:
	v_lshlrev_b32_e32 v9, 16, v9
	s_mov_b32 s3, exec_lo
	s_delay_alu instid0(VALU_DEP_1)
	v_cmpx_o_f32_e32 v9, v9
	s_cbranch_execz .LBB264_348
; %bb.345:
	s_wait_dscnt 0x0
	v_lshlrev_b32_e32 v11, 16, v10
	s_mov_b32 s4, exec_lo
	s_delay_alu instid0(VALU_DEP_1)
	v_cmpx_o_f32_e32 v11, v11
; %bb.346:
	v_cmp_lt_f32_e32 vcc_lo, v11, v9
	v_cndmask_b32_e32 v10, v2, v10, vcc_lo
; %bb.347:
	s_or_b32 exec_lo, exec_lo, s4
	s_delay_alu instid0(VALU_DEP_1)
	v_mov_b32_e32 v2, v10
.LBB264_348:
	s_or_b32 exec_lo, exec_lo, s3
	s_delay_alu instid0(VALU_DEP_1)
	v_and_b32_e32 v9, 0xffff, v2
.LBB264_349:
	s_or_b32 exec_lo, exec_lo, s2
	v_cmp_gt_u32_e32 vcc_lo, 6, v5
	v_add_nc_u32_e32 v11, 2, v5
	s_mov_b32 s2, exec_lo
	s_wait_dscnt 0x0
	v_cndmask_b32_e64 v10, 0, 2, vcc_lo
	s_delay_alu instid0(VALU_DEP_1)
	v_add_lshl_u32 v10, v10, v1, 2
	ds_bpermute_b32 v10, v10, v9
	v_cmpx_gt_u32_e64 s0, v11
	s_cbranch_execz .LBB264_355
; %bb.350:
	v_lshlrev_b32_e32 v9, 16, v9
	s_mov_b32 s3, exec_lo
	s_delay_alu instid0(VALU_DEP_1)
	v_cmpx_o_f32_e32 v9, v9
	s_cbranch_execz .LBB264_354
; %bb.351:
	s_wait_dscnt 0x0
	v_lshlrev_b32_e32 v11, 16, v10
	s_mov_b32 s4, exec_lo
	s_delay_alu instid0(VALU_DEP_1)
	v_cmpx_o_f32_e32 v11, v11
; %bb.352:
	v_cmp_lt_f32_e32 vcc_lo, v11, v9
	v_cndmask_b32_e32 v10, v2, v10, vcc_lo
; %bb.353:
	s_or_b32 exec_lo, exec_lo, s4
	s_delay_alu instid0(VALU_DEP_1)
	v_mov_b32_e32 v2, v10
.LBB264_354:
	s_or_b32 exec_lo, exec_lo, s3
	s_delay_alu instid0(VALU_DEP_1)
	v_and_b32_e32 v9, 0xffff, v2
.LBB264_355:
	s_or_b32 exec_lo, exec_lo, s2
	v_dual_add_nc_u32 v5, 4, v5 :: v_dual_bitop2_b32 v8, 16, v8 bitop3:0x54
	ds_bpermute_b32 v8, v8, v9
	v_cmp_gt_u32_e32 vcc_lo, s0, v5
	s_and_saveexec_b32 s0, vcc_lo
	s_cbranch_execz .LBB264_361
; %bb.356:
	v_lshlrev_b32_e32 v5, 16, v9
	s_mov_b32 s2, exec_lo
	s_delay_alu instid0(VALU_DEP_1)
	v_cmpx_o_f32_e32 v5, v5
	s_cbranch_execz .LBB264_360
; %bb.357:
	s_wait_dscnt 0x0
	v_lshlrev_b32_e32 v9, 16, v8
	s_mov_b32 s3, exec_lo
	s_delay_alu instid0(VALU_DEP_1)
	v_cmpx_o_f32_e32 v9, v9
; %bb.358:
	v_cmp_lt_f32_e32 vcc_lo, v9, v5
	v_cndmask_b32_e32 v8, v2, v8, vcc_lo
; %bb.359:
	s_or_b32 exec_lo, exec_lo, s3
	s_delay_alu instid0(VALU_DEP_1)
	v_mov_b32_e32 v2, v8
.LBB264_360:
	s_or_b32 exec_lo, exec_lo, s2
.LBB264_361:
	s_delay_alu instid0(SALU_CYCLE_1)
	s_or_b32 exec_lo, exec_lo, s0
.LBB264_362:
	s_delay_alu instid0(SALU_CYCLE_1)
	s_or_b32 exec_lo, exec_lo, s1
	s_mov_b32 s1, 0
.LBB264_363:
	s_delay_alu instid0(SALU_CYCLE_1)
	s_and_b32 vcc_lo, exec_lo, s1
	s_cbranch_vccz .LBB264_401
; %bb.364:
	v_mov_b32_dpp v2, v4 quad_perm:[1,0,3,2] row_mask:0xf bank_mask:0xf
	s_mov_b32 s0, exec_lo
	s_delay_alu instid0(VALU_DEP_1) | instskip(NEXT) | instid1(VALU_DEP_1)
	v_lshlrev_b32_e32 v5, 16, v2
	v_cmpx_o_f32_e32 v5, v5
	s_cbranch_execz .LBB264_368
; %bb.365:
	v_lshlrev_b32_e32 v4, 16, v4
	s_mov_b32 s1, exec_lo
	s_delay_alu instid0(VALU_DEP_1)
	v_cmpx_o_f32_e32 v4, v4
; %bb.366:
	v_cmp_lt_f32_e32 vcc_lo, v4, v5
	v_cndmask_b32_e32 v7, v2, v7, vcc_lo
; %bb.367:
	s_or_b32 exec_lo, exec_lo, s1
	s_delay_alu instid0(VALU_DEP_1)
	v_mov_b32_e32 v2, v7
.LBB264_368:
	s_or_b32 exec_lo, exec_lo, s0
	s_delay_alu instid0(VALU_DEP_1) | instskip(SKIP_1) | instid1(VALU_DEP_1)
	v_and_b32_e32 v7, 0xffff, v2
	s_mov_b32 s0, exec_lo
	v_mov_b32_dpp v4, v7 quad_perm:[2,3,0,1] row_mask:0xf bank_mask:0xf
	s_delay_alu instid0(VALU_DEP_1) | instskip(NEXT) | instid1(VALU_DEP_1)
	v_lshlrev_b32_e32 v5, 16, v4
	v_cmpx_o_f32_e32 v5, v5
	s_cbranch_execz .LBB264_372
; %bb.369:
	v_lshlrev_b32_e32 v7, 16, v7
	s_mov_b32 s1, exec_lo
	s_delay_alu instid0(VALU_DEP_1)
	v_cmpx_o_f32_e32 v7, v7
; %bb.370:
	v_cmp_lt_f32_e32 vcc_lo, v7, v5
	v_cndmask_b32_e32 v2, v4, v2, vcc_lo
; %bb.371:
	s_or_b32 exec_lo, exec_lo, s1
	s_delay_alu instid0(VALU_DEP_1)
	v_mov_b32_e32 v4, v2
.LBB264_372:
	s_or_b32 exec_lo, exec_lo, s0
	s_delay_alu instid0(VALU_DEP_1) | instskip(SKIP_1) | instid1(VALU_DEP_1)
	v_and_b32_e32 v7, 0xffff, v4
	s_mov_b32 s0, exec_lo
	v_mov_b32_dpp v2, v7 row_ror:4 row_mask:0xf bank_mask:0xf
	s_delay_alu instid0(VALU_DEP_1) | instskip(NEXT) | instid1(VALU_DEP_1)
	v_lshlrev_b32_e32 v5, 16, v2
	v_cmpx_o_f32_e32 v5, v5
	s_cbranch_execz .LBB264_376
; %bb.373:
	v_lshlrev_b32_e32 v7, 16, v7
	s_mov_b32 s1, exec_lo
	s_delay_alu instid0(VALU_DEP_1)
	v_cmpx_o_f32_e32 v7, v7
; %bb.374:
	v_cmp_lt_f32_e32 vcc_lo, v7, v5
	v_cndmask_b32_e32 v4, v2, v4, vcc_lo
; %bb.375:
	s_or_b32 exec_lo, exec_lo, s1
	s_delay_alu instid0(VALU_DEP_1)
	v_mov_b32_e32 v2, v4
.LBB264_376:
	s_or_b32 exec_lo, exec_lo, s0
	s_delay_alu instid0(VALU_DEP_1) | instskip(SKIP_1) | instid1(VALU_DEP_1)
	v_and_b32_e32 v7, 0xffff, v2
	s_mov_b32 s0, exec_lo
	v_mov_b32_dpp v4, v7 row_ror:8 row_mask:0xf bank_mask:0xf
	s_delay_alu instid0(VALU_DEP_1) | instskip(NEXT) | instid1(VALU_DEP_1)
	v_lshlrev_b32_e32 v5, 16, v4
	v_cmpx_o_f32_e32 v5, v5
	s_cbranch_execz .LBB264_380
; %bb.377:
	v_lshlrev_b32_e32 v7, 16, v7
	s_mov_b32 s1, exec_lo
	s_delay_alu instid0(VALU_DEP_1)
	v_cmpx_o_f32_e32 v7, v7
; %bb.378:
	v_cmp_lt_f32_e32 vcc_lo, v7, v5
	v_cndmask_b32_e32 v2, v4, v2, vcc_lo
; %bb.379:
	s_or_b32 exec_lo, exec_lo, s1
	s_delay_alu instid0(VALU_DEP_1)
	v_mov_b32_e32 v4, v2
.LBB264_380:
	s_or_b32 exec_lo, exec_lo, s0
	s_delay_alu instid0(VALU_DEP_1) | instskip(SKIP_4) | instid1(VALU_DEP_1)
	v_and_b32_e32 v7, 0xffff, v4
	s_mov_b32 s0, exec_lo
	ds_swizzle_b32 v2, v7 offset:swizzle(BROADCAST,32,15)
	s_wait_dscnt 0x0
	v_lshlrev_b32_e32 v5, 16, v2
	v_cmpx_o_f32_e32 v5, v5
	s_cbranch_execz .LBB264_384
; %bb.381:
	v_lshlrev_b32_e32 v7, 16, v7
	s_mov_b32 s1, exec_lo
	s_delay_alu instid0(VALU_DEP_1)
	v_cmpx_o_f32_e32 v7, v7
; %bb.382:
	v_cmp_lt_f32_e32 vcc_lo, v7, v5
	v_cndmask_b32_e32 v4, v2, v4, vcc_lo
; %bb.383:
	s_or_b32 exec_lo, exec_lo, s1
	s_delay_alu instid0(VALU_DEP_1)
	v_mov_b32_e32 v2, v4
.LBB264_384:
	s_or_b32 exec_lo, exec_lo, s0
	s_delay_alu instid0(VALU_DEP_1)
	v_and_b32_e32 v2, 0xffff, v2
	v_mov_b32_e32 v4, 0
	s_mov_b32 s0, exec_lo
	ds_bpermute_b32 v2, v4, v2 offset:124
	v_cmpx_eq_u32_e32 0, v1
	s_cbranch_execz .LBB264_386
; %bb.385:
	v_lshlrev_b32_e32 v3, 1, v3
	s_wait_dscnt 0x0
	ds_store_b16 v3, v2
.LBB264_386:
	s_or_b32 exec_lo, exec_lo, s0
	s_delay_alu instid0(SALU_CYCLE_1)
	s_mov_b32 s0, exec_lo
	s_wait_dscnt 0x0
	s_barrier_signal -1
	s_barrier_wait -1
	v_cmpx_gt_u32_e32 32, v0
	s_cbranch_execz .LBB264_400
; %bb.387:
	v_and_b32_e32 v3, 7, v1
	s_mov_b32 s1, exec_lo
	s_delay_alu instid0(VALU_DEP_1) | instskip(SKIP_1) | instid1(VALU_DEP_1)
	v_cmp_ne_u32_e32 vcc_lo, 7, v3
	v_add_co_ci_u32_e64 v4, null, 0, v1, vcc_lo
	v_dual_lshlrev_b32 v4, 2, v4 :: v_dual_lshlrev_b32 v2, 1, v3
	ds_load_u16 v2, v2
	s_wait_dscnt 0x0
	v_and_b32_e32 v5, 0xffff, v2
	ds_bpermute_b32 v4, v4, v5
	v_lshlrev_b32_e32 v5, 16, v2
	s_delay_alu instid0(VALU_DEP_1)
	v_cmpx_o_f32_e32 v5, v5
	s_cbranch_execz .LBB264_391
; %bb.388:
	s_wait_dscnt 0x0
	v_lshlrev_b32_e32 v7, 16, v4
	s_mov_b32 s2, exec_lo
	s_delay_alu instid0(VALU_DEP_1)
	v_cmpx_o_f32_e32 v7, v7
; %bb.389:
	v_cmp_lt_f32_e32 vcc_lo, v7, v5
	v_cndmask_b32_e32 v4, v2, v4, vcc_lo
; %bb.390:
	s_or_b32 exec_lo, exec_lo, s2
	s_delay_alu instid0(VALU_DEP_1)
	v_mov_b32_e32 v2, v4
.LBB264_391:
	s_or_b32 exec_lo, exec_lo, s1
	v_cmp_gt_u32_e32 vcc_lo, 6, v3
	s_wait_dscnt 0x0
	s_delay_alu instid0(VALU_DEP_2) | instskip(SKIP_2) | instid1(VALU_DEP_1)
	v_and_b32_e32 v4, 0xffff, v2
	s_mov_b32 s1, exec_lo
	v_cndmask_b32_e64 v3, 0, 2, vcc_lo
	v_add_lshl_u32 v3, v3, v1, 2
	v_lshlrev_b32_e32 v1, 2, v1
	ds_bpermute_b32 v3, v3, v4
	v_lshlrev_b32_e32 v4, 16, v2
	s_delay_alu instid0(VALU_DEP_1)
	v_cmpx_o_f32_e32 v4, v4
	s_cbranch_execz .LBB264_395
; %bb.392:
	s_wait_dscnt 0x0
	v_lshlrev_b32_e32 v5, 16, v3
	s_mov_b32 s2, exec_lo
	s_delay_alu instid0(VALU_DEP_1)
	v_cmpx_o_f32_e32 v5, v5
; %bb.393:
	v_cmp_lt_f32_e32 vcc_lo, v5, v4
	v_cndmask_b32_e32 v3, v2, v3, vcc_lo
; %bb.394:
	s_or_b32 exec_lo, exec_lo, s2
	s_delay_alu instid0(VALU_DEP_1)
	v_mov_b32_e32 v2, v3
.LBB264_395:
	s_or_b32 exec_lo, exec_lo, s1
	v_or_b32_e32 v1, 16, v1
	s_wait_dscnt 0x0
	s_delay_alu instid0(VALU_DEP_2) | instskip(SKIP_3) | instid1(VALU_DEP_1)
	v_and_b32_e32 v3, 0xffff, v2
	s_mov_b32 s1, exec_lo
	ds_bpermute_b32 v1, v1, v3
	v_lshlrev_b32_e32 v3, 16, v2
	v_cmpx_o_f32_e32 v3, v3
	s_cbranch_execz .LBB264_399
; %bb.396:
	s_wait_dscnt 0x0
	v_lshlrev_b32_e32 v4, 16, v1
	s_mov_b32 s2, exec_lo
	s_delay_alu instid0(VALU_DEP_1)
	v_cmpx_o_f32_e32 v4, v4
; %bb.397:
	v_cmp_lt_f32_e32 vcc_lo, v4, v3
	v_cndmask_b32_e32 v1, v2, v1, vcc_lo
; %bb.398:
	s_or_b32 exec_lo, exec_lo, s2
	s_delay_alu instid0(VALU_DEP_1)
	v_mov_b32_e32 v2, v1
.LBB264_399:
	s_or_b32 exec_lo, exec_lo, s1
.LBB264_400:
	s_delay_alu instid0(SALU_CYCLE_1)
	s_or_b32 exec_lo, exec_lo, s0
.LBB264_401:
	s_delay_alu instid0(SALU_CYCLE_1)
	s_mov_b32 s0, exec_lo
	v_cmpx_eq_u32_e32 0, v0
	s_cbranch_execz .LBB264_407
; %bb.402:
	s_wait_loadcnt 0x0
	v_lshlrev_b32_e32 v0, 16, v6
	s_delay_alu instid0(VALU_DEP_1)
	v_cmp_u_f32_e32 vcc_lo, v0, v0
	s_cbranch_vccnz .LBB264_406
; %bb.403:
	s_wait_dscnt 0x0
	v_lshlrev_b32_e32 v1, 16, v2
	s_mov_b32 s1, exec_lo
	s_delay_alu instid0(VALU_DEP_1)
	v_cmpx_o_f32_e32 v1, v1
; %bb.404:
	v_cmp_lt_f32_e32 vcc_lo, v1, v0
	v_cndmask_b32_e32 v2, v6, v2, vcc_lo
; %bb.405:
	s_or_b32 exec_lo, exec_lo, s1
	s_delay_alu instid0(VALU_DEP_1)
	v_mov_b32_e32 v6, v2
.LBB264_406:
	s_or_b32 s15, s15, exec_lo
.LBB264_407:
	s_or_b32 exec_lo, exec_lo, s0
	s_and_saveexec_b32 s0, s15
	s_cbranch_execz .LBB264_3
.LBB264_408:
	s_lshl_b64 s[0:1], s[20:21], 1
	v_mov_b32_e32 v0, 0
	s_add_nc_u64 s[0:1], s[18:19], s[0:1]
	s_lshl_b64 s[2:3], s[22:23], 1
	s_delay_alu instid0(SALU_CYCLE_1)
	s_add_nc_u64 s[0:1], s[0:1], s[2:3]
	s_wait_loadcnt 0x0
	global_store_b16 v0, v6, s[0:1]
	s_endpgm
	.section	.rodata,"a",@progbits
	.p2align	6, 0x0
	.amdhsa_kernel _ZN7rocprim17ROCPRIM_400000_NS6detail17trampoline_kernelINS0_14default_configENS1_32segmented_reduce_config_selectorIN3c108BFloat16EEEZNS1_21segmented_reduce_implIS3_PKS6_PS6_PKlS6_N6hipcub16HIPCUB_304000_NS6detail27convert_result_type_wrapperISA_SB_N2at6native12_GLOBAL__N_19CustomMinEEEEE10hipError_tPvRmT0_T1_jT2_SS_T4_T3_P12ihipStream_tbEUlT_E_NS1_11comp_targetILNS1_3genE0ELNS1_11target_archE4294967295ELNS1_3gpuE0ELNS1_3repE0EEENS1_30default_config_static_selectorELNS0_4arch9wavefront6targetE0EEEvSR_
		.amdhsa_group_segment_fixed_size 16
		.amdhsa_private_segment_fixed_size 0
		.amdhsa_kernarg_size 48
		.amdhsa_user_sgpr_count 2
		.amdhsa_user_sgpr_dispatch_ptr 0
		.amdhsa_user_sgpr_queue_ptr 0
		.amdhsa_user_sgpr_kernarg_segment_ptr 1
		.amdhsa_user_sgpr_dispatch_id 0
		.amdhsa_user_sgpr_kernarg_preload_length 0
		.amdhsa_user_sgpr_kernarg_preload_offset 0
		.amdhsa_user_sgpr_private_segment_size 0
		.amdhsa_wavefront_size32 1
		.amdhsa_uses_dynamic_stack 0
		.amdhsa_enable_private_segment 0
		.amdhsa_system_sgpr_workgroup_id_x 1
		.amdhsa_system_sgpr_workgroup_id_y 0
		.amdhsa_system_sgpr_workgroup_id_z 0
		.amdhsa_system_sgpr_workgroup_info 0
		.amdhsa_system_vgpr_workitem_id 0
		.amdhsa_next_free_vgpr 24
		.amdhsa_next_free_sgpr 32
		.amdhsa_named_barrier_count 0
		.amdhsa_reserve_vcc 1
		.amdhsa_float_round_mode_32 0
		.amdhsa_float_round_mode_16_64 0
		.amdhsa_float_denorm_mode_32 3
		.amdhsa_float_denorm_mode_16_64 3
		.amdhsa_fp16_overflow 0
		.amdhsa_memory_ordered 1
		.amdhsa_forward_progress 1
		.amdhsa_inst_pref_size 71
		.amdhsa_round_robin_scheduling 0
		.amdhsa_exception_fp_ieee_invalid_op 0
		.amdhsa_exception_fp_denorm_src 0
		.amdhsa_exception_fp_ieee_div_zero 0
		.amdhsa_exception_fp_ieee_overflow 0
		.amdhsa_exception_fp_ieee_underflow 0
		.amdhsa_exception_fp_ieee_inexact 0
		.amdhsa_exception_int_div_zero 0
	.end_amdhsa_kernel
	.section	.text._ZN7rocprim17ROCPRIM_400000_NS6detail17trampoline_kernelINS0_14default_configENS1_32segmented_reduce_config_selectorIN3c108BFloat16EEEZNS1_21segmented_reduce_implIS3_PKS6_PS6_PKlS6_N6hipcub16HIPCUB_304000_NS6detail27convert_result_type_wrapperISA_SB_N2at6native12_GLOBAL__N_19CustomMinEEEEE10hipError_tPvRmT0_T1_jT2_SS_T4_T3_P12ihipStream_tbEUlT_E_NS1_11comp_targetILNS1_3genE0ELNS1_11target_archE4294967295ELNS1_3gpuE0ELNS1_3repE0EEENS1_30default_config_static_selectorELNS0_4arch9wavefront6targetE0EEEvSR_,"axG",@progbits,_ZN7rocprim17ROCPRIM_400000_NS6detail17trampoline_kernelINS0_14default_configENS1_32segmented_reduce_config_selectorIN3c108BFloat16EEEZNS1_21segmented_reduce_implIS3_PKS6_PS6_PKlS6_N6hipcub16HIPCUB_304000_NS6detail27convert_result_type_wrapperISA_SB_N2at6native12_GLOBAL__N_19CustomMinEEEEE10hipError_tPvRmT0_T1_jT2_SS_T4_T3_P12ihipStream_tbEUlT_E_NS1_11comp_targetILNS1_3genE0ELNS1_11target_archE4294967295ELNS1_3gpuE0ELNS1_3repE0EEENS1_30default_config_static_selectorELNS0_4arch9wavefront6targetE0EEEvSR_,comdat
.Lfunc_end264:
	.size	_ZN7rocprim17ROCPRIM_400000_NS6detail17trampoline_kernelINS0_14default_configENS1_32segmented_reduce_config_selectorIN3c108BFloat16EEEZNS1_21segmented_reduce_implIS3_PKS6_PS6_PKlS6_N6hipcub16HIPCUB_304000_NS6detail27convert_result_type_wrapperISA_SB_N2at6native12_GLOBAL__N_19CustomMinEEEEE10hipError_tPvRmT0_T1_jT2_SS_T4_T3_P12ihipStream_tbEUlT_E_NS1_11comp_targetILNS1_3genE0ELNS1_11target_archE4294967295ELNS1_3gpuE0ELNS1_3repE0EEENS1_30default_config_static_selectorELNS0_4arch9wavefront6targetE0EEEvSR_, .Lfunc_end264-_ZN7rocprim17ROCPRIM_400000_NS6detail17trampoline_kernelINS0_14default_configENS1_32segmented_reduce_config_selectorIN3c108BFloat16EEEZNS1_21segmented_reduce_implIS3_PKS6_PS6_PKlS6_N6hipcub16HIPCUB_304000_NS6detail27convert_result_type_wrapperISA_SB_N2at6native12_GLOBAL__N_19CustomMinEEEEE10hipError_tPvRmT0_T1_jT2_SS_T4_T3_P12ihipStream_tbEUlT_E_NS1_11comp_targetILNS1_3genE0ELNS1_11target_archE4294967295ELNS1_3gpuE0ELNS1_3repE0EEENS1_30default_config_static_selectorELNS0_4arch9wavefront6targetE0EEEvSR_
                                        ; -- End function
	.set _ZN7rocprim17ROCPRIM_400000_NS6detail17trampoline_kernelINS0_14default_configENS1_32segmented_reduce_config_selectorIN3c108BFloat16EEEZNS1_21segmented_reduce_implIS3_PKS6_PS6_PKlS6_N6hipcub16HIPCUB_304000_NS6detail27convert_result_type_wrapperISA_SB_N2at6native12_GLOBAL__N_19CustomMinEEEEE10hipError_tPvRmT0_T1_jT2_SS_T4_T3_P12ihipStream_tbEUlT_E_NS1_11comp_targetILNS1_3genE0ELNS1_11target_archE4294967295ELNS1_3gpuE0ELNS1_3repE0EEENS1_30default_config_static_selectorELNS0_4arch9wavefront6targetE0EEEvSR_.num_vgpr, 24
	.set _ZN7rocprim17ROCPRIM_400000_NS6detail17trampoline_kernelINS0_14default_configENS1_32segmented_reduce_config_selectorIN3c108BFloat16EEEZNS1_21segmented_reduce_implIS3_PKS6_PS6_PKlS6_N6hipcub16HIPCUB_304000_NS6detail27convert_result_type_wrapperISA_SB_N2at6native12_GLOBAL__N_19CustomMinEEEEE10hipError_tPvRmT0_T1_jT2_SS_T4_T3_P12ihipStream_tbEUlT_E_NS1_11comp_targetILNS1_3genE0ELNS1_11target_archE4294967295ELNS1_3gpuE0ELNS1_3repE0EEENS1_30default_config_static_selectorELNS0_4arch9wavefront6targetE0EEEvSR_.num_agpr, 0
	.set _ZN7rocprim17ROCPRIM_400000_NS6detail17trampoline_kernelINS0_14default_configENS1_32segmented_reduce_config_selectorIN3c108BFloat16EEEZNS1_21segmented_reduce_implIS3_PKS6_PS6_PKlS6_N6hipcub16HIPCUB_304000_NS6detail27convert_result_type_wrapperISA_SB_N2at6native12_GLOBAL__N_19CustomMinEEEEE10hipError_tPvRmT0_T1_jT2_SS_T4_T3_P12ihipStream_tbEUlT_E_NS1_11comp_targetILNS1_3genE0ELNS1_11target_archE4294967295ELNS1_3gpuE0ELNS1_3repE0EEENS1_30default_config_static_selectorELNS0_4arch9wavefront6targetE0EEEvSR_.numbered_sgpr, 32
	.set _ZN7rocprim17ROCPRIM_400000_NS6detail17trampoline_kernelINS0_14default_configENS1_32segmented_reduce_config_selectorIN3c108BFloat16EEEZNS1_21segmented_reduce_implIS3_PKS6_PS6_PKlS6_N6hipcub16HIPCUB_304000_NS6detail27convert_result_type_wrapperISA_SB_N2at6native12_GLOBAL__N_19CustomMinEEEEE10hipError_tPvRmT0_T1_jT2_SS_T4_T3_P12ihipStream_tbEUlT_E_NS1_11comp_targetILNS1_3genE0ELNS1_11target_archE4294967295ELNS1_3gpuE0ELNS1_3repE0EEENS1_30default_config_static_selectorELNS0_4arch9wavefront6targetE0EEEvSR_.num_named_barrier, 0
	.set _ZN7rocprim17ROCPRIM_400000_NS6detail17trampoline_kernelINS0_14default_configENS1_32segmented_reduce_config_selectorIN3c108BFloat16EEEZNS1_21segmented_reduce_implIS3_PKS6_PS6_PKlS6_N6hipcub16HIPCUB_304000_NS6detail27convert_result_type_wrapperISA_SB_N2at6native12_GLOBAL__N_19CustomMinEEEEE10hipError_tPvRmT0_T1_jT2_SS_T4_T3_P12ihipStream_tbEUlT_E_NS1_11comp_targetILNS1_3genE0ELNS1_11target_archE4294967295ELNS1_3gpuE0ELNS1_3repE0EEENS1_30default_config_static_selectorELNS0_4arch9wavefront6targetE0EEEvSR_.private_seg_size, 0
	.set _ZN7rocprim17ROCPRIM_400000_NS6detail17trampoline_kernelINS0_14default_configENS1_32segmented_reduce_config_selectorIN3c108BFloat16EEEZNS1_21segmented_reduce_implIS3_PKS6_PS6_PKlS6_N6hipcub16HIPCUB_304000_NS6detail27convert_result_type_wrapperISA_SB_N2at6native12_GLOBAL__N_19CustomMinEEEEE10hipError_tPvRmT0_T1_jT2_SS_T4_T3_P12ihipStream_tbEUlT_E_NS1_11comp_targetILNS1_3genE0ELNS1_11target_archE4294967295ELNS1_3gpuE0ELNS1_3repE0EEENS1_30default_config_static_selectorELNS0_4arch9wavefront6targetE0EEEvSR_.uses_vcc, 1
	.set _ZN7rocprim17ROCPRIM_400000_NS6detail17trampoline_kernelINS0_14default_configENS1_32segmented_reduce_config_selectorIN3c108BFloat16EEEZNS1_21segmented_reduce_implIS3_PKS6_PS6_PKlS6_N6hipcub16HIPCUB_304000_NS6detail27convert_result_type_wrapperISA_SB_N2at6native12_GLOBAL__N_19CustomMinEEEEE10hipError_tPvRmT0_T1_jT2_SS_T4_T3_P12ihipStream_tbEUlT_E_NS1_11comp_targetILNS1_3genE0ELNS1_11target_archE4294967295ELNS1_3gpuE0ELNS1_3repE0EEENS1_30default_config_static_selectorELNS0_4arch9wavefront6targetE0EEEvSR_.uses_flat_scratch, 0
	.set _ZN7rocprim17ROCPRIM_400000_NS6detail17trampoline_kernelINS0_14default_configENS1_32segmented_reduce_config_selectorIN3c108BFloat16EEEZNS1_21segmented_reduce_implIS3_PKS6_PS6_PKlS6_N6hipcub16HIPCUB_304000_NS6detail27convert_result_type_wrapperISA_SB_N2at6native12_GLOBAL__N_19CustomMinEEEEE10hipError_tPvRmT0_T1_jT2_SS_T4_T3_P12ihipStream_tbEUlT_E_NS1_11comp_targetILNS1_3genE0ELNS1_11target_archE4294967295ELNS1_3gpuE0ELNS1_3repE0EEENS1_30default_config_static_selectorELNS0_4arch9wavefront6targetE0EEEvSR_.has_dyn_sized_stack, 0
	.set _ZN7rocprim17ROCPRIM_400000_NS6detail17trampoline_kernelINS0_14default_configENS1_32segmented_reduce_config_selectorIN3c108BFloat16EEEZNS1_21segmented_reduce_implIS3_PKS6_PS6_PKlS6_N6hipcub16HIPCUB_304000_NS6detail27convert_result_type_wrapperISA_SB_N2at6native12_GLOBAL__N_19CustomMinEEEEE10hipError_tPvRmT0_T1_jT2_SS_T4_T3_P12ihipStream_tbEUlT_E_NS1_11comp_targetILNS1_3genE0ELNS1_11target_archE4294967295ELNS1_3gpuE0ELNS1_3repE0EEENS1_30default_config_static_selectorELNS0_4arch9wavefront6targetE0EEEvSR_.has_recursion, 0
	.set _ZN7rocprim17ROCPRIM_400000_NS6detail17trampoline_kernelINS0_14default_configENS1_32segmented_reduce_config_selectorIN3c108BFloat16EEEZNS1_21segmented_reduce_implIS3_PKS6_PS6_PKlS6_N6hipcub16HIPCUB_304000_NS6detail27convert_result_type_wrapperISA_SB_N2at6native12_GLOBAL__N_19CustomMinEEEEE10hipError_tPvRmT0_T1_jT2_SS_T4_T3_P12ihipStream_tbEUlT_E_NS1_11comp_targetILNS1_3genE0ELNS1_11target_archE4294967295ELNS1_3gpuE0ELNS1_3repE0EEENS1_30default_config_static_selectorELNS0_4arch9wavefront6targetE0EEEvSR_.has_indirect_call, 0
	.section	.AMDGPU.csdata,"",@progbits
; Kernel info:
; codeLenInByte = 8964
; TotalNumSgprs: 34
; NumVgprs: 24
; ScratchSize: 0
; MemoryBound: 0
; FloatMode: 240
; IeeeMode: 1
; LDSByteSize: 16 bytes/workgroup (compile time only)
; SGPRBlocks: 0
; VGPRBlocks: 1
; NumSGPRsForWavesPerEU: 34
; NumVGPRsForWavesPerEU: 24
; NamedBarCnt: 0
; Occupancy: 16
; WaveLimiterHint : 1
; COMPUTE_PGM_RSRC2:SCRATCH_EN: 0
; COMPUTE_PGM_RSRC2:USER_SGPR: 2
; COMPUTE_PGM_RSRC2:TRAP_HANDLER: 0
; COMPUTE_PGM_RSRC2:TGID_X_EN: 1
; COMPUTE_PGM_RSRC2:TGID_Y_EN: 0
; COMPUTE_PGM_RSRC2:TGID_Z_EN: 0
; COMPUTE_PGM_RSRC2:TIDIG_COMP_CNT: 0
	.section	.text._ZN7rocprim17ROCPRIM_400000_NS6detail17trampoline_kernelINS0_14default_configENS1_32segmented_reduce_config_selectorIN3c108BFloat16EEEZNS1_21segmented_reduce_implIS3_PKS6_PS6_PKlS6_N6hipcub16HIPCUB_304000_NS6detail27convert_result_type_wrapperISA_SB_N2at6native12_GLOBAL__N_19CustomMinEEEEE10hipError_tPvRmT0_T1_jT2_SS_T4_T3_P12ihipStream_tbEUlT_E_NS1_11comp_targetILNS1_3genE5ELNS1_11target_archE942ELNS1_3gpuE9ELNS1_3repE0EEENS1_30default_config_static_selectorELNS0_4arch9wavefront6targetE0EEEvSR_,"axG",@progbits,_ZN7rocprim17ROCPRIM_400000_NS6detail17trampoline_kernelINS0_14default_configENS1_32segmented_reduce_config_selectorIN3c108BFloat16EEEZNS1_21segmented_reduce_implIS3_PKS6_PS6_PKlS6_N6hipcub16HIPCUB_304000_NS6detail27convert_result_type_wrapperISA_SB_N2at6native12_GLOBAL__N_19CustomMinEEEEE10hipError_tPvRmT0_T1_jT2_SS_T4_T3_P12ihipStream_tbEUlT_E_NS1_11comp_targetILNS1_3genE5ELNS1_11target_archE942ELNS1_3gpuE9ELNS1_3repE0EEENS1_30default_config_static_selectorELNS0_4arch9wavefront6targetE0EEEvSR_,comdat
	.globl	_ZN7rocprim17ROCPRIM_400000_NS6detail17trampoline_kernelINS0_14default_configENS1_32segmented_reduce_config_selectorIN3c108BFloat16EEEZNS1_21segmented_reduce_implIS3_PKS6_PS6_PKlS6_N6hipcub16HIPCUB_304000_NS6detail27convert_result_type_wrapperISA_SB_N2at6native12_GLOBAL__N_19CustomMinEEEEE10hipError_tPvRmT0_T1_jT2_SS_T4_T3_P12ihipStream_tbEUlT_E_NS1_11comp_targetILNS1_3genE5ELNS1_11target_archE942ELNS1_3gpuE9ELNS1_3repE0EEENS1_30default_config_static_selectorELNS0_4arch9wavefront6targetE0EEEvSR_ ; -- Begin function _ZN7rocprim17ROCPRIM_400000_NS6detail17trampoline_kernelINS0_14default_configENS1_32segmented_reduce_config_selectorIN3c108BFloat16EEEZNS1_21segmented_reduce_implIS3_PKS6_PS6_PKlS6_N6hipcub16HIPCUB_304000_NS6detail27convert_result_type_wrapperISA_SB_N2at6native12_GLOBAL__N_19CustomMinEEEEE10hipError_tPvRmT0_T1_jT2_SS_T4_T3_P12ihipStream_tbEUlT_E_NS1_11comp_targetILNS1_3genE5ELNS1_11target_archE942ELNS1_3gpuE9ELNS1_3repE0EEENS1_30default_config_static_selectorELNS0_4arch9wavefront6targetE0EEEvSR_
	.p2align	8
	.type	_ZN7rocprim17ROCPRIM_400000_NS6detail17trampoline_kernelINS0_14default_configENS1_32segmented_reduce_config_selectorIN3c108BFloat16EEEZNS1_21segmented_reduce_implIS3_PKS6_PS6_PKlS6_N6hipcub16HIPCUB_304000_NS6detail27convert_result_type_wrapperISA_SB_N2at6native12_GLOBAL__N_19CustomMinEEEEE10hipError_tPvRmT0_T1_jT2_SS_T4_T3_P12ihipStream_tbEUlT_E_NS1_11comp_targetILNS1_3genE5ELNS1_11target_archE942ELNS1_3gpuE9ELNS1_3repE0EEENS1_30default_config_static_selectorELNS0_4arch9wavefront6targetE0EEEvSR_,@function
_ZN7rocprim17ROCPRIM_400000_NS6detail17trampoline_kernelINS0_14default_configENS1_32segmented_reduce_config_selectorIN3c108BFloat16EEEZNS1_21segmented_reduce_implIS3_PKS6_PS6_PKlS6_N6hipcub16HIPCUB_304000_NS6detail27convert_result_type_wrapperISA_SB_N2at6native12_GLOBAL__N_19CustomMinEEEEE10hipError_tPvRmT0_T1_jT2_SS_T4_T3_P12ihipStream_tbEUlT_E_NS1_11comp_targetILNS1_3genE5ELNS1_11target_archE942ELNS1_3gpuE9ELNS1_3repE0EEENS1_30default_config_static_selectorELNS0_4arch9wavefront6targetE0EEEvSR_: ; @_ZN7rocprim17ROCPRIM_400000_NS6detail17trampoline_kernelINS0_14default_configENS1_32segmented_reduce_config_selectorIN3c108BFloat16EEEZNS1_21segmented_reduce_implIS3_PKS6_PS6_PKlS6_N6hipcub16HIPCUB_304000_NS6detail27convert_result_type_wrapperISA_SB_N2at6native12_GLOBAL__N_19CustomMinEEEEE10hipError_tPvRmT0_T1_jT2_SS_T4_T3_P12ihipStream_tbEUlT_E_NS1_11comp_targetILNS1_3genE5ELNS1_11target_archE942ELNS1_3gpuE9ELNS1_3repE0EEENS1_30default_config_static_selectorELNS0_4arch9wavefront6targetE0EEEvSR_
; %bb.0:
	.section	.rodata,"a",@progbits
	.p2align	6, 0x0
	.amdhsa_kernel _ZN7rocprim17ROCPRIM_400000_NS6detail17trampoline_kernelINS0_14default_configENS1_32segmented_reduce_config_selectorIN3c108BFloat16EEEZNS1_21segmented_reduce_implIS3_PKS6_PS6_PKlS6_N6hipcub16HIPCUB_304000_NS6detail27convert_result_type_wrapperISA_SB_N2at6native12_GLOBAL__N_19CustomMinEEEEE10hipError_tPvRmT0_T1_jT2_SS_T4_T3_P12ihipStream_tbEUlT_E_NS1_11comp_targetILNS1_3genE5ELNS1_11target_archE942ELNS1_3gpuE9ELNS1_3repE0EEENS1_30default_config_static_selectorELNS0_4arch9wavefront6targetE0EEEvSR_
		.amdhsa_group_segment_fixed_size 0
		.amdhsa_private_segment_fixed_size 0
		.amdhsa_kernarg_size 48
		.amdhsa_user_sgpr_count 2
		.amdhsa_user_sgpr_dispatch_ptr 0
		.amdhsa_user_sgpr_queue_ptr 0
		.amdhsa_user_sgpr_kernarg_segment_ptr 1
		.amdhsa_user_sgpr_dispatch_id 0
		.amdhsa_user_sgpr_kernarg_preload_length 0
		.amdhsa_user_sgpr_kernarg_preload_offset 0
		.amdhsa_user_sgpr_private_segment_size 0
		.amdhsa_wavefront_size32 1
		.amdhsa_uses_dynamic_stack 0
		.amdhsa_enable_private_segment 0
		.amdhsa_system_sgpr_workgroup_id_x 1
		.amdhsa_system_sgpr_workgroup_id_y 0
		.amdhsa_system_sgpr_workgroup_id_z 0
		.amdhsa_system_sgpr_workgroup_info 0
		.amdhsa_system_vgpr_workitem_id 0
		.amdhsa_next_free_vgpr 1
		.amdhsa_next_free_sgpr 1
		.amdhsa_named_barrier_count 0
		.amdhsa_reserve_vcc 0
		.amdhsa_float_round_mode_32 0
		.amdhsa_float_round_mode_16_64 0
		.amdhsa_float_denorm_mode_32 3
		.amdhsa_float_denorm_mode_16_64 3
		.amdhsa_fp16_overflow 0
		.amdhsa_memory_ordered 1
		.amdhsa_forward_progress 1
		.amdhsa_inst_pref_size 0
		.amdhsa_round_robin_scheduling 0
		.amdhsa_exception_fp_ieee_invalid_op 0
		.amdhsa_exception_fp_denorm_src 0
		.amdhsa_exception_fp_ieee_div_zero 0
		.amdhsa_exception_fp_ieee_overflow 0
		.amdhsa_exception_fp_ieee_underflow 0
		.amdhsa_exception_fp_ieee_inexact 0
		.amdhsa_exception_int_div_zero 0
	.end_amdhsa_kernel
	.section	.text._ZN7rocprim17ROCPRIM_400000_NS6detail17trampoline_kernelINS0_14default_configENS1_32segmented_reduce_config_selectorIN3c108BFloat16EEEZNS1_21segmented_reduce_implIS3_PKS6_PS6_PKlS6_N6hipcub16HIPCUB_304000_NS6detail27convert_result_type_wrapperISA_SB_N2at6native12_GLOBAL__N_19CustomMinEEEEE10hipError_tPvRmT0_T1_jT2_SS_T4_T3_P12ihipStream_tbEUlT_E_NS1_11comp_targetILNS1_3genE5ELNS1_11target_archE942ELNS1_3gpuE9ELNS1_3repE0EEENS1_30default_config_static_selectorELNS0_4arch9wavefront6targetE0EEEvSR_,"axG",@progbits,_ZN7rocprim17ROCPRIM_400000_NS6detail17trampoline_kernelINS0_14default_configENS1_32segmented_reduce_config_selectorIN3c108BFloat16EEEZNS1_21segmented_reduce_implIS3_PKS6_PS6_PKlS6_N6hipcub16HIPCUB_304000_NS6detail27convert_result_type_wrapperISA_SB_N2at6native12_GLOBAL__N_19CustomMinEEEEE10hipError_tPvRmT0_T1_jT2_SS_T4_T3_P12ihipStream_tbEUlT_E_NS1_11comp_targetILNS1_3genE5ELNS1_11target_archE942ELNS1_3gpuE9ELNS1_3repE0EEENS1_30default_config_static_selectorELNS0_4arch9wavefront6targetE0EEEvSR_,comdat
.Lfunc_end265:
	.size	_ZN7rocprim17ROCPRIM_400000_NS6detail17trampoline_kernelINS0_14default_configENS1_32segmented_reduce_config_selectorIN3c108BFloat16EEEZNS1_21segmented_reduce_implIS3_PKS6_PS6_PKlS6_N6hipcub16HIPCUB_304000_NS6detail27convert_result_type_wrapperISA_SB_N2at6native12_GLOBAL__N_19CustomMinEEEEE10hipError_tPvRmT0_T1_jT2_SS_T4_T3_P12ihipStream_tbEUlT_E_NS1_11comp_targetILNS1_3genE5ELNS1_11target_archE942ELNS1_3gpuE9ELNS1_3repE0EEENS1_30default_config_static_selectorELNS0_4arch9wavefront6targetE0EEEvSR_, .Lfunc_end265-_ZN7rocprim17ROCPRIM_400000_NS6detail17trampoline_kernelINS0_14default_configENS1_32segmented_reduce_config_selectorIN3c108BFloat16EEEZNS1_21segmented_reduce_implIS3_PKS6_PS6_PKlS6_N6hipcub16HIPCUB_304000_NS6detail27convert_result_type_wrapperISA_SB_N2at6native12_GLOBAL__N_19CustomMinEEEEE10hipError_tPvRmT0_T1_jT2_SS_T4_T3_P12ihipStream_tbEUlT_E_NS1_11comp_targetILNS1_3genE5ELNS1_11target_archE942ELNS1_3gpuE9ELNS1_3repE0EEENS1_30default_config_static_selectorELNS0_4arch9wavefront6targetE0EEEvSR_
                                        ; -- End function
	.set _ZN7rocprim17ROCPRIM_400000_NS6detail17trampoline_kernelINS0_14default_configENS1_32segmented_reduce_config_selectorIN3c108BFloat16EEEZNS1_21segmented_reduce_implIS3_PKS6_PS6_PKlS6_N6hipcub16HIPCUB_304000_NS6detail27convert_result_type_wrapperISA_SB_N2at6native12_GLOBAL__N_19CustomMinEEEEE10hipError_tPvRmT0_T1_jT2_SS_T4_T3_P12ihipStream_tbEUlT_E_NS1_11comp_targetILNS1_3genE5ELNS1_11target_archE942ELNS1_3gpuE9ELNS1_3repE0EEENS1_30default_config_static_selectorELNS0_4arch9wavefront6targetE0EEEvSR_.num_vgpr, 0
	.set _ZN7rocprim17ROCPRIM_400000_NS6detail17trampoline_kernelINS0_14default_configENS1_32segmented_reduce_config_selectorIN3c108BFloat16EEEZNS1_21segmented_reduce_implIS3_PKS6_PS6_PKlS6_N6hipcub16HIPCUB_304000_NS6detail27convert_result_type_wrapperISA_SB_N2at6native12_GLOBAL__N_19CustomMinEEEEE10hipError_tPvRmT0_T1_jT2_SS_T4_T3_P12ihipStream_tbEUlT_E_NS1_11comp_targetILNS1_3genE5ELNS1_11target_archE942ELNS1_3gpuE9ELNS1_3repE0EEENS1_30default_config_static_selectorELNS0_4arch9wavefront6targetE0EEEvSR_.num_agpr, 0
	.set _ZN7rocprim17ROCPRIM_400000_NS6detail17trampoline_kernelINS0_14default_configENS1_32segmented_reduce_config_selectorIN3c108BFloat16EEEZNS1_21segmented_reduce_implIS3_PKS6_PS6_PKlS6_N6hipcub16HIPCUB_304000_NS6detail27convert_result_type_wrapperISA_SB_N2at6native12_GLOBAL__N_19CustomMinEEEEE10hipError_tPvRmT0_T1_jT2_SS_T4_T3_P12ihipStream_tbEUlT_E_NS1_11comp_targetILNS1_3genE5ELNS1_11target_archE942ELNS1_3gpuE9ELNS1_3repE0EEENS1_30default_config_static_selectorELNS0_4arch9wavefront6targetE0EEEvSR_.numbered_sgpr, 0
	.set _ZN7rocprim17ROCPRIM_400000_NS6detail17trampoline_kernelINS0_14default_configENS1_32segmented_reduce_config_selectorIN3c108BFloat16EEEZNS1_21segmented_reduce_implIS3_PKS6_PS6_PKlS6_N6hipcub16HIPCUB_304000_NS6detail27convert_result_type_wrapperISA_SB_N2at6native12_GLOBAL__N_19CustomMinEEEEE10hipError_tPvRmT0_T1_jT2_SS_T4_T3_P12ihipStream_tbEUlT_E_NS1_11comp_targetILNS1_3genE5ELNS1_11target_archE942ELNS1_3gpuE9ELNS1_3repE0EEENS1_30default_config_static_selectorELNS0_4arch9wavefront6targetE0EEEvSR_.num_named_barrier, 0
	.set _ZN7rocprim17ROCPRIM_400000_NS6detail17trampoline_kernelINS0_14default_configENS1_32segmented_reduce_config_selectorIN3c108BFloat16EEEZNS1_21segmented_reduce_implIS3_PKS6_PS6_PKlS6_N6hipcub16HIPCUB_304000_NS6detail27convert_result_type_wrapperISA_SB_N2at6native12_GLOBAL__N_19CustomMinEEEEE10hipError_tPvRmT0_T1_jT2_SS_T4_T3_P12ihipStream_tbEUlT_E_NS1_11comp_targetILNS1_3genE5ELNS1_11target_archE942ELNS1_3gpuE9ELNS1_3repE0EEENS1_30default_config_static_selectorELNS0_4arch9wavefront6targetE0EEEvSR_.private_seg_size, 0
	.set _ZN7rocprim17ROCPRIM_400000_NS6detail17trampoline_kernelINS0_14default_configENS1_32segmented_reduce_config_selectorIN3c108BFloat16EEEZNS1_21segmented_reduce_implIS3_PKS6_PS6_PKlS6_N6hipcub16HIPCUB_304000_NS6detail27convert_result_type_wrapperISA_SB_N2at6native12_GLOBAL__N_19CustomMinEEEEE10hipError_tPvRmT0_T1_jT2_SS_T4_T3_P12ihipStream_tbEUlT_E_NS1_11comp_targetILNS1_3genE5ELNS1_11target_archE942ELNS1_3gpuE9ELNS1_3repE0EEENS1_30default_config_static_selectorELNS0_4arch9wavefront6targetE0EEEvSR_.uses_vcc, 0
	.set _ZN7rocprim17ROCPRIM_400000_NS6detail17trampoline_kernelINS0_14default_configENS1_32segmented_reduce_config_selectorIN3c108BFloat16EEEZNS1_21segmented_reduce_implIS3_PKS6_PS6_PKlS6_N6hipcub16HIPCUB_304000_NS6detail27convert_result_type_wrapperISA_SB_N2at6native12_GLOBAL__N_19CustomMinEEEEE10hipError_tPvRmT0_T1_jT2_SS_T4_T3_P12ihipStream_tbEUlT_E_NS1_11comp_targetILNS1_3genE5ELNS1_11target_archE942ELNS1_3gpuE9ELNS1_3repE0EEENS1_30default_config_static_selectorELNS0_4arch9wavefront6targetE0EEEvSR_.uses_flat_scratch, 0
	.set _ZN7rocprim17ROCPRIM_400000_NS6detail17trampoline_kernelINS0_14default_configENS1_32segmented_reduce_config_selectorIN3c108BFloat16EEEZNS1_21segmented_reduce_implIS3_PKS6_PS6_PKlS6_N6hipcub16HIPCUB_304000_NS6detail27convert_result_type_wrapperISA_SB_N2at6native12_GLOBAL__N_19CustomMinEEEEE10hipError_tPvRmT0_T1_jT2_SS_T4_T3_P12ihipStream_tbEUlT_E_NS1_11comp_targetILNS1_3genE5ELNS1_11target_archE942ELNS1_3gpuE9ELNS1_3repE0EEENS1_30default_config_static_selectorELNS0_4arch9wavefront6targetE0EEEvSR_.has_dyn_sized_stack, 0
	.set _ZN7rocprim17ROCPRIM_400000_NS6detail17trampoline_kernelINS0_14default_configENS1_32segmented_reduce_config_selectorIN3c108BFloat16EEEZNS1_21segmented_reduce_implIS3_PKS6_PS6_PKlS6_N6hipcub16HIPCUB_304000_NS6detail27convert_result_type_wrapperISA_SB_N2at6native12_GLOBAL__N_19CustomMinEEEEE10hipError_tPvRmT0_T1_jT2_SS_T4_T3_P12ihipStream_tbEUlT_E_NS1_11comp_targetILNS1_3genE5ELNS1_11target_archE942ELNS1_3gpuE9ELNS1_3repE0EEENS1_30default_config_static_selectorELNS0_4arch9wavefront6targetE0EEEvSR_.has_recursion, 0
	.set _ZN7rocprim17ROCPRIM_400000_NS6detail17trampoline_kernelINS0_14default_configENS1_32segmented_reduce_config_selectorIN3c108BFloat16EEEZNS1_21segmented_reduce_implIS3_PKS6_PS6_PKlS6_N6hipcub16HIPCUB_304000_NS6detail27convert_result_type_wrapperISA_SB_N2at6native12_GLOBAL__N_19CustomMinEEEEE10hipError_tPvRmT0_T1_jT2_SS_T4_T3_P12ihipStream_tbEUlT_E_NS1_11comp_targetILNS1_3genE5ELNS1_11target_archE942ELNS1_3gpuE9ELNS1_3repE0EEENS1_30default_config_static_selectorELNS0_4arch9wavefront6targetE0EEEvSR_.has_indirect_call, 0
	.section	.AMDGPU.csdata,"",@progbits
; Kernel info:
; codeLenInByte = 0
; TotalNumSgprs: 0
; NumVgprs: 0
; ScratchSize: 0
; MemoryBound: 0
; FloatMode: 240
; IeeeMode: 1
; LDSByteSize: 0 bytes/workgroup (compile time only)
; SGPRBlocks: 0
; VGPRBlocks: 0
; NumSGPRsForWavesPerEU: 1
; NumVGPRsForWavesPerEU: 1
; NamedBarCnt: 0
; Occupancy: 16
; WaveLimiterHint : 0
; COMPUTE_PGM_RSRC2:SCRATCH_EN: 0
; COMPUTE_PGM_RSRC2:USER_SGPR: 2
; COMPUTE_PGM_RSRC2:TRAP_HANDLER: 0
; COMPUTE_PGM_RSRC2:TGID_X_EN: 1
; COMPUTE_PGM_RSRC2:TGID_Y_EN: 0
; COMPUTE_PGM_RSRC2:TGID_Z_EN: 0
; COMPUTE_PGM_RSRC2:TIDIG_COMP_CNT: 0
	.section	.text._ZN7rocprim17ROCPRIM_400000_NS6detail17trampoline_kernelINS0_14default_configENS1_32segmented_reduce_config_selectorIN3c108BFloat16EEEZNS1_21segmented_reduce_implIS3_PKS6_PS6_PKlS6_N6hipcub16HIPCUB_304000_NS6detail27convert_result_type_wrapperISA_SB_N2at6native12_GLOBAL__N_19CustomMinEEEEE10hipError_tPvRmT0_T1_jT2_SS_T4_T3_P12ihipStream_tbEUlT_E_NS1_11comp_targetILNS1_3genE10ELNS1_11target_archE1201ELNS1_3gpuE5ELNS1_3repE0EEENS1_30default_config_static_selectorELNS0_4arch9wavefront6targetE0EEEvSR_,"axG",@progbits,_ZN7rocprim17ROCPRIM_400000_NS6detail17trampoline_kernelINS0_14default_configENS1_32segmented_reduce_config_selectorIN3c108BFloat16EEEZNS1_21segmented_reduce_implIS3_PKS6_PS6_PKlS6_N6hipcub16HIPCUB_304000_NS6detail27convert_result_type_wrapperISA_SB_N2at6native12_GLOBAL__N_19CustomMinEEEEE10hipError_tPvRmT0_T1_jT2_SS_T4_T3_P12ihipStream_tbEUlT_E_NS1_11comp_targetILNS1_3genE10ELNS1_11target_archE1201ELNS1_3gpuE5ELNS1_3repE0EEENS1_30default_config_static_selectorELNS0_4arch9wavefront6targetE0EEEvSR_,comdat
	.globl	_ZN7rocprim17ROCPRIM_400000_NS6detail17trampoline_kernelINS0_14default_configENS1_32segmented_reduce_config_selectorIN3c108BFloat16EEEZNS1_21segmented_reduce_implIS3_PKS6_PS6_PKlS6_N6hipcub16HIPCUB_304000_NS6detail27convert_result_type_wrapperISA_SB_N2at6native12_GLOBAL__N_19CustomMinEEEEE10hipError_tPvRmT0_T1_jT2_SS_T4_T3_P12ihipStream_tbEUlT_E_NS1_11comp_targetILNS1_3genE10ELNS1_11target_archE1201ELNS1_3gpuE5ELNS1_3repE0EEENS1_30default_config_static_selectorELNS0_4arch9wavefront6targetE0EEEvSR_ ; -- Begin function _ZN7rocprim17ROCPRIM_400000_NS6detail17trampoline_kernelINS0_14default_configENS1_32segmented_reduce_config_selectorIN3c108BFloat16EEEZNS1_21segmented_reduce_implIS3_PKS6_PS6_PKlS6_N6hipcub16HIPCUB_304000_NS6detail27convert_result_type_wrapperISA_SB_N2at6native12_GLOBAL__N_19CustomMinEEEEE10hipError_tPvRmT0_T1_jT2_SS_T4_T3_P12ihipStream_tbEUlT_E_NS1_11comp_targetILNS1_3genE10ELNS1_11target_archE1201ELNS1_3gpuE5ELNS1_3repE0EEENS1_30default_config_static_selectorELNS0_4arch9wavefront6targetE0EEEvSR_
	.p2align	8
	.type	_ZN7rocprim17ROCPRIM_400000_NS6detail17trampoline_kernelINS0_14default_configENS1_32segmented_reduce_config_selectorIN3c108BFloat16EEEZNS1_21segmented_reduce_implIS3_PKS6_PS6_PKlS6_N6hipcub16HIPCUB_304000_NS6detail27convert_result_type_wrapperISA_SB_N2at6native12_GLOBAL__N_19CustomMinEEEEE10hipError_tPvRmT0_T1_jT2_SS_T4_T3_P12ihipStream_tbEUlT_E_NS1_11comp_targetILNS1_3genE10ELNS1_11target_archE1201ELNS1_3gpuE5ELNS1_3repE0EEENS1_30default_config_static_selectorELNS0_4arch9wavefront6targetE0EEEvSR_,@function
_ZN7rocprim17ROCPRIM_400000_NS6detail17trampoline_kernelINS0_14default_configENS1_32segmented_reduce_config_selectorIN3c108BFloat16EEEZNS1_21segmented_reduce_implIS3_PKS6_PS6_PKlS6_N6hipcub16HIPCUB_304000_NS6detail27convert_result_type_wrapperISA_SB_N2at6native12_GLOBAL__N_19CustomMinEEEEE10hipError_tPvRmT0_T1_jT2_SS_T4_T3_P12ihipStream_tbEUlT_E_NS1_11comp_targetILNS1_3genE10ELNS1_11target_archE1201ELNS1_3gpuE5ELNS1_3repE0EEENS1_30default_config_static_selectorELNS0_4arch9wavefront6targetE0EEEvSR_: ; @_ZN7rocprim17ROCPRIM_400000_NS6detail17trampoline_kernelINS0_14default_configENS1_32segmented_reduce_config_selectorIN3c108BFloat16EEEZNS1_21segmented_reduce_implIS3_PKS6_PS6_PKlS6_N6hipcub16HIPCUB_304000_NS6detail27convert_result_type_wrapperISA_SB_N2at6native12_GLOBAL__N_19CustomMinEEEEE10hipError_tPvRmT0_T1_jT2_SS_T4_T3_P12ihipStream_tbEUlT_E_NS1_11comp_targetILNS1_3genE10ELNS1_11target_archE1201ELNS1_3gpuE5ELNS1_3repE0EEENS1_30default_config_static_selectorELNS0_4arch9wavefront6targetE0EEEvSR_
; %bb.0:
	.section	.rodata,"a",@progbits
	.p2align	6, 0x0
	.amdhsa_kernel _ZN7rocprim17ROCPRIM_400000_NS6detail17trampoline_kernelINS0_14default_configENS1_32segmented_reduce_config_selectorIN3c108BFloat16EEEZNS1_21segmented_reduce_implIS3_PKS6_PS6_PKlS6_N6hipcub16HIPCUB_304000_NS6detail27convert_result_type_wrapperISA_SB_N2at6native12_GLOBAL__N_19CustomMinEEEEE10hipError_tPvRmT0_T1_jT2_SS_T4_T3_P12ihipStream_tbEUlT_E_NS1_11comp_targetILNS1_3genE10ELNS1_11target_archE1201ELNS1_3gpuE5ELNS1_3repE0EEENS1_30default_config_static_selectorELNS0_4arch9wavefront6targetE0EEEvSR_
		.amdhsa_group_segment_fixed_size 0
		.amdhsa_private_segment_fixed_size 0
		.amdhsa_kernarg_size 48
		.amdhsa_user_sgpr_count 2
		.amdhsa_user_sgpr_dispatch_ptr 0
		.amdhsa_user_sgpr_queue_ptr 0
		.amdhsa_user_sgpr_kernarg_segment_ptr 1
		.amdhsa_user_sgpr_dispatch_id 0
		.amdhsa_user_sgpr_kernarg_preload_length 0
		.amdhsa_user_sgpr_kernarg_preload_offset 0
		.amdhsa_user_sgpr_private_segment_size 0
		.amdhsa_wavefront_size32 1
		.amdhsa_uses_dynamic_stack 0
		.amdhsa_enable_private_segment 0
		.amdhsa_system_sgpr_workgroup_id_x 1
		.amdhsa_system_sgpr_workgroup_id_y 0
		.amdhsa_system_sgpr_workgroup_id_z 0
		.amdhsa_system_sgpr_workgroup_info 0
		.amdhsa_system_vgpr_workitem_id 0
		.amdhsa_next_free_vgpr 1
		.amdhsa_next_free_sgpr 1
		.amdhsa_named_barrier_count 0
		.amdhsa_reserve_vcc 0
		.amdhsa_float_round_mode_32 0
		.amdhsa_float_round_mode_16_64 0
		.amdhsa_float_denorm_mode_32 3
		.amdhsa_float_denorm_mode_16_64 3
		.amdhsa_fp16_overflow 0
		.amdhsa_memory_ordered 1
		.amdhsa_forward_progress 1
		.amdhsa_inst_pref_size 0
		.amdhsa_round_robin_scheduling 0
		.amdhsa_exception_fp_ieee_invalid_op 0
		.amdhsa_exception_fp_denorm_src 0
		.amdhsa_exception_fp_ieee_div_zero 0
		.amdhsa_exception_fp_ieee_overflow 0
		.amdhsa_exception_fp_ieee_underflow 0
		.amdhsa_exception_fp_ieee_inexact 0
		.amdhsa_exception_int_div_zero 0
	.end_amdhsa_kernel
	.section	.text._ZN7rocprim17ROCPRIM_400000_NS6detail17trampoline_kernelINS0_14default_configENS1_32segmented_reduce_config_selectorIN3c108BFloat16EEEZNS1_21segmented_reduce_implIS3_PKS6_PS6_PKlS6_N6hipcub16HIPCUB_304000_NS6detail27convert_result_type_wrapperISA_SB_N2at6native12_GLOBAL__N_19CustomMinEEEEE10hipError_tPvRmT0_T1_jT2_SS_T4_T3_P12ihipStream_tbEUlT_E_NS1_11comp_targetILNS1_3genE10ELNS1_11target_archE1201ELNS1_3gpuE5ELNS1_3repE0EEENS1_30default_config_static_selectorELNS0_4arch9wavefront6targetE0EEEvSR_,"axG",@progbits,_ZN7rocprim17ROCPRIM_400000_NS6detail17trampoline_kernelINS0_14default_configENS1_32segmented_reduce_config_selectorIN3c108BFloat16EEEZNS1_21segmented_reduce_implIS3_PKS6_PS6_PKlS6_N6hipcub16HIPCUB_304000_NS6detail27convert_result_type_wrapperISA_SB_N2at6native12_GLOBAL__N_19CustomMinEEEEE10hipError_tPvRmT0_T1_jT2_SS_T4_T3_P12ihipStream_tbEUlT_E_NS1_11comp_targetILNS1_3genE10ELNS1_11target_archE1201ELNS1_3gpuE5ELNS1_3repE0EEENS1_30default_config_static_selectorELNS0_4arch9wavefront6targetE0EEEvSR_,comdat
.Lfunc_end266:
	.size	_ZN7rocprim17ROCPRIM_400000_NS6detail17trampoline_kernelINS0_14default_configENS1_32segmented_reduce_config_selectorIN3c108BFloat16EEEZNS1_21segmented_reduce_implIS3_PKS6_PS6_PKlS6_N6hipcub16HIPCUB_304000_NS6detail27convert_result_type_wrapperISA_SB_N2at6native12_GLOBAL__N_19CustomMinEEEEE10hipError_tPvRmT0_T1_jT2_SS_T4_T3_P12ihipStream_tbEUlT_E_NS1_11comp_targetILNS1_3genE10ELNS1_11target_archE1201ELNS1_3gpuE5ELNS1_3repE0EEENS1_30default_config_static_selectorELNS0_4arch9wavefront6targetE0EEEvSR_, .Lfunc_end266-_ZN7rocprim17ROCPRIM_400000_NS6detail17trampoline_kernelINS0_14default_configENS1_32segmented_reduce_config_selectorIN3c108BFloat16EEEZNS1_21segmented_reduce_implIS3_PKS6_PS6_PKlS6_N6hipcub16HIPCUB_304000_NS6detail27convert_result_type_wrapperISA_SB_N2at6native12_GLOBAL__N_19CustomMinEEEEE10hipError_tPvRmT0_T1_jT2_SS_T4_T3_P12ihipStream_tbEUlT_E_NS1_11comp_targetILNS1_3genE10ELNS1_11target_archE1201ELNS1_3gpuE5ELNS1_3repE0EEENS1_30default_config_static_selectorELNS0_4arch9wavefront6targetE0EEEvSR_
                                        ; -- End function
	.set _ZN7rocprim17ROCPRIM_400000_NS6detail17trampoline_kernelINS0_14default_configENS1_32segmented_reduce_config_selectorIN3c108BFloat16EEEZNS1_21segmented_reduce_implIS3_PKS6_PS6_PKlS6_N6hipcub16HIPCUB_304000_NS6detail27convert_result_type_wrapperISA_SB_N2at6native12_GLOBAL__N_19CustomMinEEEEE10hipError_tPvRmT0_T1_jT2_SS_T4_T3_P12ihipStream_tbEUlT_E_NS1_11comp_targetILNS1_3genE10ELNS1_11target_archE1201ELNS1_3gpuE5ELNS1_3repE0EEENS1_30default_config_static_selectorELNS0_4arch9wavefront6targetE0EEEvSR_.num_vgpr, 0
	.set _ZN7rocprim17ROCPRIM_400000_NS6detail17trampoline_kernelINS0_14default_configENS1_32segmented_reduce_config_selectorIN3c108BFloat16EEEZNS1_21segmented_reduce_implIS3_PKS6_PS6_PKlS6_N6hipcub16HIPCUB_304000_NS6detail27convert_result_type_wrapperISA_SB_N2at6native12_GLOBAL__N_19CustomMinEEEEE10hipError_tPvRmT0_T1_jT2_SS_T4_T3_P12ihipStream_tbEUlT_E_NS1_11comp_targetILNS1_3genE10ELNS1_11target_archE1201ELNS1_3gpuE5ELNS1_3repE0EEENS1_30default_config_static_selectorELNS0_4arch9wavefront6targetE0EEEvSR_.num_agpr, 0
	.set _ZN7rocprim17ROCPRIM_400000_NS6detail17trampoline_kernelINS0_14default_configENS1_32segmented_reduce_config_selectorIN3c108BFloat16EEEZNS1_21segmented_reduce_implIS3_PKS6_PS6_PKlS6_N6hipcub16HIPCUB_304000_NS6detail27convert_result_type_wrapperISA_SB_N2at6native12_GLOBAL__N_19CustomMinEEEEE10hipError_tPvRmT0_T1_jT2_SS_T4_T3_P12ihipStream_tbEUlT_E_NS1_11comp_targetILNS1_3genE10ELNS1_11target_archE1201ELNS1_3gpuE5ELNS1_3repE0EEENS1_30default_config_static_selectorELNS0_4arch9wavefront6targetE0EEEvSR_.numbered_sgpr, 0
	.set _ZN7rocprim17ROCPRIM_400000_NS6detail17trampoline_kernelINS0_14default_configENS1_32segmented_reduce_config_selectorIN3c108BFloat16EEEZNS1_21segmented_reduce_implIS3_PKS6_PS6_PKlS6_N6hipcub16HIPCUB_304000_NS6detail27convert_result_type_wrapperISA_SB_N2at6native12_GLOBAL__N_19CustomMinEEEEE10hipError_tPvRmT0_T1_jT2_SS_T4_T3_P12ihipStream_tbEUlT_E_NS1_11comp_targetILNS1_3genE10ELNS1_11target_archE1201ELNS1_3gpuE5ELNS1_3repE0EEENS1_30default_config_static_selectorELNS0_4arch9wavefront6targetE0EEEvSR_.num_named_barrier, 0
	.set _ZN7rocprim17ROCPRIM_400000_NS6detail17trampoline_kernelINS0_14default_configENS1_32segmented_reduce_config_selectorIN3c108BFloat16EEEZNS1_21segmented_reduce_implIS3_PKS6_PS6_PKlS6_N6hipcub16HIPCUB_304000_NS6detail27convert_result_type_wrapperISA_SB_N2at6native12_GLOBAL__N_19CustomMinEEEEE10hipError_tPvRmT0_T1_jT2_SS_T4_T3_P12ihipStream_tbEUlT_E_NS1_11comp_targetILNS1_3genE10ELNS1_11target_archE1201ELNS1_3gpuE5ELNS1_3repE0EEENS1_30default_config_static_selectorELNS0_4arch9wavefront6targetE0EEEvSR_.private_seg_size, 0
	.set _ZN7rocprim17ROCPRIM_400000_NS6detail17trampoline_kernelINS0_14default_configENS1_32segmented_reduce_config_selectorIN3c108BFloat16EEEZNS1_21segmented_reduce_implIS3_PKS6_PS6_PKlS6_N6hipcub16HIPCUB_304000_NS6detail27convert_result_type_wrapperISA_SB_N2at6native12_GLOBAL__N_19CustomMinEEEEE10hipError_tPvRmT0_T1_jT2_SS_T4_T3_P12ihipStream_tbEUlT_E_NS1_11comp_targetILNS1_3genE10ELNS1_11target_archE1201ELNS1_3gpuE5ELNS1_3repE0EEENS1_30default_config_static_selectorELNS0_4arch9wavefront6targetE0EEEvSR_.uses_vcc, 0
	.set _ZN7rocprim17ROCPRIM_400000_NS6detail17trampoline_kernelINS0_14default_configENS1_32segmented_reduce_config_selectorIN3c108BFloat16EEEZNS1_21segmented_reduce_implIS3_PKS6_PS6_PKlS6_N6hipcub16HIPCUB_304000_NS6detail27convert_result_type_wrapperISA_SB_N2at6native12_GLOBAL__N_19CustomMinEEEEE10hipError_tPvRmT0_T1_jT2_SS_T4_T3_P12ihipStream_tbEUlT_E_NS1_11comp_targetILNS1_3genE10ELNS1_11target_archE1201ELNS1_3gpuE5ELNS1_3repE0EEENS1_30default_config_static_selectorELNS0_4arch9wavefront6targetE0EEEvSR_.uses_flat_scratch, 0
	.set _ZN7rocprim17ROCPRIM_400000_NS6detail17trampoline_kernelINS0_14default_configENS1_32segmented_reduce_config_selectorIN3c108BFloat16EEEZNS1_21segmented_reduce_implIS3_PKS6_PS6_PKlS6_N6hipcub16HIPCUB_304000_NS6detail27convert_result_type_wrapperISA_SB_N2at6native12_GLOBAL__N_19CustomMinEEEEE10hipError_tPvRmT0_T1_jT2_SS_T4_T3_P12ihipStream_tbEUlT_E_NS1_11comp_targetILNS1_3genE10ELNS1_11target_archE1201ELNS1_3gpuE5ELNS1_3repE0EEENS1_30default_config_static_selectorELNS0_4arch9wavefront6targetE0EEEvSR_.has_dyn_sized_stack, 0
	.set _ZN7rocprim17ROCPRIM_400000_NS6detail17trampoline_kernelINS0_14default_configENS1_32segmented_reduce_config_selectorIN3c108BFloat16EEEZNS1_21segmented_reduce_implIS3_PKS6_PS6_PKlS6_N6hipcub16HIPCUB_304000_NS6detail27convert_result_type_wrapperISA_SB_N2at6native12_GLOBAL__N_19CustomMinEEEEE10hipError_tPvRmT0_T1_jT2_SS_T4_T3_P12ihipStream_tbEUlT_E_NS1_11comp_targetILNS1_3genE10ELNS1_11target_archE1201ELNS1_3gpuE5ELNS1_3repE0EEENS1_30default_config_static_selectorELNS0_4arch9wavefront6targetE0EEEvSR_.has_recursion, 0
	.set _ZN7rocprim17ROCPRIM_400000_NS6detail17trampoline_kernelINS0_14default_configENS1_32segmented_reduce_config_selectorIN3c108BFloat16EEEZNS1_21segmented_reduce_implIS3_PKS6_PS6_PKlS6_N6hipcub16HIPCUB_304000_NS6detail27convert_result_type_wrapperISA_SB_N2at6native12_GLOBAL__N_19CustomMinEEEEE10hipError_tPvRmT0_T1_jT2_SS_T4_T3_P12ihipStream_tbEUlT_E_NS1_11comp_targetILNS1_3genE10ELNS1_11target_archE1201ELNS1_3gpuE5ELNS1_3repE0EEENS1_30default_config_static_selectorELNS0_4arch9wavefront6targetE0EEEvSR_.has_indirect_call, 0
	.section	.AMDGPU.csdata,"",@progbits
; Kernel info:
; codeLenInByte = 0
; TotalNumSgprs: 0
; NumVgprs: 0
; ScratchSize: 0
; MemoryBound: 0
; FloatMode: 240
; IeeeMode: 1
; LDSByteSize: 0 bytes/workgroup (compile time only)
; SGPRBlocks: 0
; VGPRBlocks: 0
; NumSGPRsForWavesPerEU: 1
; NumVGPRsForWavesPerEU: 1
; NamedBarCnt: 0
; Occupancy: 16
; WaveLimiterHint : 0
; COMPUTE_PGM_RSRC2:SCRATCH_EN: 0
; COMPUTE_PGM_RSRC2:USER_SGPR: 2
; COMPUTE_PGM_RSRC2:TRAP_HANDLER: 0
; COMPUTE_PGM_RSRC2:TGID_X_EN: 1
; COMPUTE_PGM_RSRC2:TGID_Y_EN: 0
; COMPUTE_PGM_RSRC2:TGID_Z_EN: 0
; COMPUTE_PGM_RSRC2:TIDIG_COMP_CNT: 0
	.section	.text._ZN7rocprim17ROCPRIM_400000_NS6detail17trampoline_kernelINS0_14default_configENS1_32segmented_reduce_config_selectorIN3c108BFloat16EEEZNS1_21segmented_reduce_implIS3_PKS6_PS6_PKlS6_N6hipcub16HIPCUB_304000_NS6detail27convert_result_type_wrapperISA_SB_N2at6native12_GLOBAL__N_19CustomMinEEEEE10hipError_tPvRmT0_T1_jT2_SS_T4_T3_P12ihipStream_tbEUlT_E_NS1_11comp_targetILNS1_3genE4ELNS1_11target_archE910ELNS1_3gpuE8ELNS1_3repE0EEENS1_30default_config_static_selectorELNS0_4arch9wavefront6targetE0EEEvSR_,"axG",@progbits,_ZN7rocprim17ROCPRIM_400000_NS6detail17trampoline_kernelINS0_14default_configENS1_32segmented_reduce_config_selectorIN3c108BFloat16EEEZNS1_21segmented_reduce_implIS3_PKS6_PS6_PKlS6_N6hipcub16HIPCUB_304000_NS6detail27convert_result_type_wrapperISA_SB_N2at6native12_GLOBAL__N_19CustomMinEEEEE10hipError_tPvRmT0_T1_jT2_SS_T4_T3_P12ihipStream_tbEUlT_E_NS1_11comp_targetILNS1_3genE4ELNS1_11target_archE910ELNS1_3gpuE8ELNS1_3repE0EEENS1_30default_config_static_selectorELNS0_4arch9wavefront6targetE0EEEvSR_,comdat
	.globl	_ZN7rocprim17ROCPRIM_400000_NS6detail17trampoline_kernelINS0_14default_configENS1_32segmented_reduce_config_selectorIN3c108BFloat16EEEZNS1_21segmented_reduce_implIS3_PKS6_PS6_PKlS6_N6hipcub16HIPCUB_304000_NS6detail27convert_result_type_wrapperISA_SB_N2at6native12_GLOBAL__N_19CustomMinEEEEE10hipError_tPvRmT0_T1_jT2_SS_T4_T3_P12ihipStream_tbEUlT_E_NS1_11comp_targetILNS1_3genE4ELNS1_11target_archE910ELNS1_3gpuE8ELNS1_3repE0EEENS1_30default_config_static_selectorELNS0_4arch9wavefront6targetE0EEEvSR_ ; -- Begin function _ZN7rocprim17ROCPRIM_400000_NS6detail17trampoline_kernelINS0_14default_configENS1_32segmented_reduce_config_selectorIN3c108BFloat16EEEZNS1_21segmented_reduce_implIS3_PKS6_PS6_PKlS6_N6hipcub16HIPCUB_304000_NS6detail27convert_result_type_wrapperISA_SB_N2at6native12_GLOBAL__N_19CustomMinEEEEE10hipError_tPvRmT0_T1_jT2_SS_T4_T3_P12ihipStream_tbEUlT_E_NS1_11comp_targetILNS1_3genE4ELNS1_11target_archE910ELNS1_3gpuE8ELNS1_3repE0EEENS1_30default_config_static_selectorELNS0_4arch9wavefront6targetE0EEEvSR_
	.p2align	8
	.type	_ZN7rocprim17ROCPRIM_400000_NS6detail17trampoline_kernelINS0_14default_configENS1_32segmented_reduce_config_selectorIN3c108BFloat16EEEZNS1_21segmented_reduce_implIS3_PKS6_PS6_PKlS6_N6hipcub16HIPCUB_304000_NS6detail27convert_result_type_wrapperISA_SB_N2at6native12_GLOBAL__N_19CustomMinEEEEE10hipError_tPvRmT0_T1_jT2_SS_T4_T3_P12ihipStream_tbEUlT_E_NS1_11comp_targetILNS1_3genE4ELNS1_11target_archE910ELNS1_3gpuE8ELNS1_3repE0EEENS1_30default_config_static_selectorELNS0_4arch9wavefront6targetE0EEEvSR_,@function
_ZN7rocprim17ROCPRIM_400000_NS6detail17trampoline_kernelINS0_14default_configENS1_32segmented_reduce_config_selectorIN3c108BFloat16EEEZNS1_21segmented_reduce_implIS3_PKS6_PS6_PKlS6_N6hipcub16HIPCUB_304000_NS6detail27convert_result_type_wrapperISA_SB_N2at6native12_GLOBAL__N_19CustomMinEEEEE10hipError_tPvRmT0_T1_jT2_SS_T4_T3_P12ihipStream_tbEUlT_E_NS1_11comp_targetILNS1_3genE4ELNS1_11target_archE910ELNS1_3gpuE8ELNS1_3repE0EEENS1_30default_config_static_selectorELNS0_4arch9wavefront6targetE0EEEvSR_: ; @_ZN7rocprim17ROCPRIM_400000_NS6detail17trampoline_kernelINS0_14default_configENS1_32segmented_reduce_config_selectorIN3c108BFloat16EEEZNS1_21segmented_reduce_implIS3_PKS6_PS6_PKlS6_N6hipcub16HIPCUB_304000_NS6detail27convert_result_type_wrapperISA_SB_N2at6native12_GLOBAL__N_19CustomMinEEEEE10hipError_tPvRmT0_T1_jT2_SS_T4_T3_P12ihipStream_tbEUlT_E_NS1_11comp_targetILNS1_3genE4ELNS1_11target_archE910ELNS1_3gpuE8ELNS1_3repE0EEENS1_30default_config_static_selectorELNS0_4arch9wavefront6targetE0EEEvSR_
; %bb.0:
	.section	.rodata,"a",@progbits
	.p2align	6, 0x0
	.amdhsa_kernel _ZN7rocprim17ROCPRIM_400000_NS6detail17trampoline_kernelINS0_14default_configENS1_32segmented_reduce_config_selectorIN3c108BFloat16EEEZNS1_21segmented_reduce_implIS3_PKS6_PS6_PKlS6_N6hipcub16HIPCUB_304000_NS6detail27convert_result_type_wrapperISA_SB_N2at6native12_GLOBAL__N_19CustomMinEEEEE10hipError_tPvRmT0_T1_jT2_SS_T4_T3_P12ihipStream_tbEUlT_E_NS1_11comp_targetILNS1_3genE4ELNS1_11target_archE910ELNS1_3gpuE8ELNS1_3repE0EEENS1_30default_config_static_selectorELNS0_4arch9wavefront6targetE0EEEvSR_
		.amdhsa_group_segment_fixed_size 0
		.amdhsa_private_segment_fixed_size 0
		.amdhsa_kernarg_size 48
		.amdhsa_user_sgpr_count 2
		.amdhsa_user_sgpr_dispatch_ptr 0
		.amdhsa_user_sgpr_queue_ptr 0
		.amdhsa_user_sgpr_kernarg_segment_ptr 1
		.amdhsa_user_sgpr_dispatch_id 0
		.amdhsa_user_sgpr_kernarg_preload_length 0
		.amdhsa_user_sgpr_kernarg_preload_offset 0
		.amdhsa_user_sgpr_private_segment_size 0
		.amdhsa_wavefront_size32 1
		.amdhsa_uses_dynamic_stack 0
		.amdhsa_enable_private_segment 0
		.amdhsa_system_sgpr_workgroup_id_x 1
		.amdhsa_system_sgpr_workgroup_id_y 0
		.amdhsa_system_sgpr_workgroup_id_z 0
		.amdhsa_system_sgpr_workgroup_info 0
		.amdhsa_system_vgpr_workitem_id 0
		.amdhsa_next_free_vgpr 1
		.amdhsa_next_free_sgpr 1
		.amdhsa_named_barrier_count 0
		.amdhsa_reserve_vcc 0
		.amdhsa_float_round_mode_32 0
		.amdhsa_float_round_mode_16_64 0
		.amdhsa_float_denorm_mode_32 3
		.amdhsa_float_denorm_mode_16_64 3
		.amdhsa_fp16_overflow 0
		.amdhsa_memory_ordered 1
		.amdhsa_forward_progress 1
		.amdhsa_inst_pref_size 0
		.amdhsa_round_robin_scheduling 0
		.amdhsa_exception_fp_ieee_invalid_op 0
		.amdhsa_exception_fp_denorm_src 0
		.amdhsa_exception_fp_ieee_div_zero 0
		.amdhsa_exception_fp_ieee_overflow 0
		.amdhsa_exception_fp_ieee_underflow 0
		.amdhsa_exception_fp_ieee_inexact 0
		.amdhsa_exception_int_div_zero 0
	.end_amdhsa_kernel
	.section	.text._ZN7rocprim17ROCPRIM_400000_NS6detail17trampoline_kernelINS0_14default_configENS1_32segmented_reduce_config_selectorIN3c108BFloat16EEEZNS1_21segmented_reduce_implIS3_PKS6_PS6_PKlS6_N6hipcub16HIPCUB_304000_NS6detail27convert_result_type_wrapperISA_SB_N2at6native12_GLOBAL__N_19CustomMinEEEEE10hipError_tPvRmT0_T1_jT2_SS_T4_T3_P12ihipStream_tbEUlT_E_NS1_11comp_targetILNS1_3genE4ELNS1_11target_archE910ELNS1_3gpuE8ELNS1_3repE0EEENS1_30default_config_static_selectorELNS0_4arch9wavefront6targetE0EEEvSR_,"axG",@progbits,_ZN7rocprim17ROCPRIM_400000_NS6detail17trampoline_kernelINS0_14default_configENS1_32segmented_reduce_config_selectorIN3c108BFloat16EEEZNS1_21segmented_reduce_implIS3_PKS6_PS6_PKlS6_N6hipcub16HIPCUB_304000_NS6detail27convert_result_type_wrapperISA_SB_N2at6native12_GLOBAL__N_19CustomMinEEEEE10hipError_tPvRmT0_T1_jT2_SS_T4_T3_P12ihipStream_tbEUlT_E_NS1_11comp_targetILNS1_3genE4ELNS1_11target_archE910ELNS1_3gpuE8ELNS1_3repE0EEENS1_30default_config_static_selectorELNS0_4arch9wavefront6targetE0EEEvSR_,comdat
.Lfunc_end267:
	.size	_ZN7rocprim17ROCPRIM_400000_NS6detail17trampoline_kernelINS0_14default_configENS1_32segmented_reduce_config_selectorIN3c108BFloat16EEEZNS1_21segmented_reduce_implIS3_PKS6_PS6_PKlS6_N6hipcub16HIPCUB_304000_NS6detail27convert_result_type_wrapperISA_SB_N2at6native12_GLOBAL__N_19CustomMinEEEEE10hipError_tPvRmT0_T1_jT2_SS_T4_T3_P12ihipStream_tbEUlT_E_NS1_11comp_targetILNS1_3genE4ELNS1_11target_archE910ELNS1_3gpuE8ELNS1_3repE0EEENS1_30default_config_static_selectorELNS0_4arch9wavefront6targetE0EEEvSR_, .Lfunc_end267-_ZN7rocprim17ROCPRIM_400000_NS6detail17trampoline_kernelINS0_14default_configENS1_32segmented_reduce_config_selectorIN3c108BFloat16EEEZNS1_21segmented_reduce_implIS3_PKS6_PS6_PKlS6_N6hipcub16HIPCUB_304000_NS6detail27convert_result_type_wrapperISA_SB_N2at6native12_GLOBAL__N_19CustomMinEEEEE10hipError_tPvRmT0_T1_jT2_SS_T4_T3_P12ihipStream_tbEUlT_E_NS1_11comp_targetILNS1_3genE4ELNS1_11target_archE910ELNS1_3gpuE8ELNS1_3repE0EEENS1_30default_config_static_selectorELNS0_4arch9wavefront6targetE0EEEvSR_
                                        ; -- End function
	.set _ZN7rocprim17ROCPRIM_400000_NS6detail17trampoline_kernelINS0_14default_configENS1_32segmented_reduce_config_selectorIN3c108BFloat16EEEZNS1_21segmented_reduce_implIS3_PKS6_PS6_PKlS6_N6hipcub16HIPCUB_304000_NS6detail27convert_result_type_wrapperISA_SB_N2at6native12_GLOBAL__N_19CustomMinEEEEE10hipError_tPvRmT0_T1_jT2_SS_T4_T3_P12ihipStream_tbEUlT_E_NS1_11comp_targetILNS1_3genE4ELNS1_11target_archE910ELNS1_3gpuE8ELNS1_3repE0EEENS1_30default_config_static_selectorELNS0_4arch9wavefront6targetE0EEEvSR_.num_vgpr, 0
	.set _ZN7rocprim17ROCPRIM_400000_NS6detail17trampoline_kernelINS0_14default_configENS1_32segmented_reduce_config_selectorIN3c108BFloat16EEEZNS1_21segmented_reduce_implIS3_PKS6_PS6_PKlS6_N6hipcub16HIPCUB_304000_NS6detail27convert_result_type_wrapperISA_SB_N2at6native12_GLOBAL__N_19CustomMinEEEEE10hipError_tPvRmT0_T1_jT2_SS_T4_T3_P12ihipStream_tbEUlT_E_NS1_11comp_targetILNS1_3genE4ELNS1_11target_archE910ELNS1_3gpuE8ELNS1_3repE0EEENS1_30default_config_static_selectorELNS0_4arch9wavefront6targetE0EEEvSR_.num_agpr, 0
	.set _ZN7rocprim17ROCPRIM_400000_NS6detail17trampoline_kernelINS0_14default_configENS1_32segmented_reduce_config_selectorIN3c108BFloat16EEEZNS1_21segmented_reduce_implIS3_PKS6_PS6_PKlS6_N6hipcub16HIPCUB_304000_NS6detail27convert_result_type_wrapperISA_SB_N2at6native12_GLOBAL__N_19CustomMinEEEEE10hipError_tPvRmT0_T1_jT2_SS_T4_T3_P12ihipStream_tbEUlT_E_NS1_11comp_targetILNS1_3genE4ELNS1_11target_archE910ELNS1_3gpuE8ELNS1_3repE0EEENS1_30default_config_static_selectorELNS0_4arch9wavefront6targetE0EEEvSR_.numbered_sgpr, 0
	.set _ZN7rocprim17ROCPRIM_400000_NS6detail17trampoline_kernelINS0_14default_configENS1_32segmented_reduce_config_selectorIN3c108BFloat16EEEZNS1_21segmented_reduce_implIS3_PKS6_PS6_PKlS6_N6hipcub16HIPCUB_304000_NS6detail27convert_result_type_wrapperISA_SB_N2at6native12_GLOBAL__N_19CustomMinEEEEE10hipError_tPvRmT0_T1_jT2_SS_T4_T3_P12ihipStream_tbEUlT_E_NS1_11comp_targetILNS1_3genE4ELNS1_11target_archE910ELNS1_3gpuE8ELNS1_3repE0EEENS1_30default_config_static_selectorELNS0_4arch9wavefront6targetE0EEEvSR_.num_named_barrier, 0
	.set _ZN7rocprim17ROCPRIM_400000_NS6detail17trampoline_kernelINS0_14default_configENS1_32segmented_reduce_config_selectorIN3c108BFloat16EEEZNS1_21segmented_reduce_implIS3_PKS6_PS6_PKlS6_N6hipcub16HIPCUB_304000_NS6detail27convert_result_type_wrapperISA_SB_N2at6native12_GLOBAL__N_19CustomMinEEEEE10hipError_tPvRmT0_T1_jT2_SS_T4_T3_P12ihipStream_tbEUlT_E_NS1_11comp_targetILNS1_3genE4ELNS1_11target_archE910ELNS1_3gpuE8ELNS1_3repE0EEENS1_30default_config_static_selectorELNS0_4arch9wavefront6targetE0EEEvSR_.private_seg_size, 0
	.set _ZN7rocprim17ROCPRIM_400000_NS6detail17trampoline_kernelINS0_14default_configENS1_32segmented_reduce_config_selectorIN3c108BFloat16EEEZNS1_21segmented_reduce_implIS3_PKS6_PS6_PKlS6_N6hipcub16HIPCUB_304000_NS6detail27convert_result_type_wrapperISA_SB_N2at6native12_GLOBAL__N_19CustomMinEEEEE10hipError_tPvRmT0_T1_jT2_SS_T4_T3_P12ihipStream_tbEUlT_E_NS1_11comp_targetILNS1_3genE4ELNS1_11target_archE910ELNS1_3gpuE8ELNS1_3repE0EEENS1_30default_config_static_selectorELNS0_4arch9wavefront6targetE0EEEvSR_.uses_vcc, 0
	.set _ZN7rocprim17ROCPRIM_400000_NS6detail17trampoline_kernelINS0_14default_configENS1_32segmented_reduce_config_selectorIN3c108BFloat16EEEZNS1_21segmented_reduce_implIS3_PKS6_PS6_PKlS6_N6hipcub16HIPCUB_304000_NS6detail27convert_result_type_wrapperISA_SB_N2at6native12_GLOBAL__N_19CustomMinEEEEE10hipError_tPvRmT0_T1_jT2_SS_T4_T3_P12ihipStream_tbEUlT_E_NS1_11comp_targetILNS1_3genE4ELNS1_11target_archE910ELNS1_3gpuE8ELNS1_3repE0EEENS1_30default_config_static_selectorELNS0_4arch9wavefront6targetE0EEEvSR_.uses_flat_scratch, 0
	.set _ZN7rocprim17ROCPRIM_400000_NS6detail17trampoline_kernelINS0_14default_configENS1_32segmented_reduce_config_selectorIN3c108BFloat16EEEZNS1_21segmented_reduce_implIS3_PKS6_PS6_PKlS6_N6hipcub16HIPCUB_304000_NS6detail27convert_result_type_wrapperISA_SB_N2at6native12_GLOBAL__N_19CustomMinEEEEE10hipError_tPvRmT0_T1_jT2_SS_T4_T3_P12ihipStream_tbEUlT_E_NS1_11comp_targetILNS1_3genE4ELNS1_11target_archE910ELNS1_3gpuE8ELNS1_3repE0EEENS1_30default_config_static_selectorELNS0_4arch9wavefront6targetE0EEEvSR_.has_dyn_sized_stack, 0
	.set _ZN7rocprim17ROCPRIM_400000_NS6detail17trampoline_kernelINS0_14default_configENS1_32segmented_reduce_config_selectorIN3c108BFloat16EEEZNS1_21segmented_reduce_implIS3_PKS6_PS6_PKlS6_N6hipcub16HIPCUB_304000_NS6detail27convert_result_type_wrapperISA_SB_N2at6native12_GLOBAL__N_19CustomMinEEEEE10hipError_tPvRmT0_T1_jT2_SS_T4_T3_P12ihipStream_tbEUlT_E_NS1_11comp_targetILNS1_3genE4ELNS1_11target_archE910ELNS1_3gpuE8ELNS1_3repE0EEENS1_30default_config_static_selectorELNS0_4arch9wavefront6targetE0EEEvSR_.has_recursion, 0
	.set _ZN7rocprim17ROCPRIM_400000_NS6detail17trampoline_kernelINS0_14default_configENS1_32segmented_reduce_config_selectorIN3c108BFloat16EEEZNS1_21segmented_reduce_implIS3_PKS6_PS6_PKlS6_N6hipcub16HIPCUB_304000_NS6detail27convert_result_type_wrapperISA_SB_N2at6native12_GLOBAL__N_19CustomMinEEEEE10hipError_tPvRmT0_T1_jT2_SS_T4_T3_P12ihipStream_tbEUlT_E_NS1_11comp_targetILNS1_3genE4ELNS1_11target_archE910ELNS1_3gpuE8ELNS1_3repE0EEENS1_30default_config_static_selectorELNS0_4arch9wavefront6targetE0EEEvSR_.has_indirect_call, 0
	.section	.AMDGPU.csdata,"",@progbits
; Kernel info:
; codeLenInByte = 0
; TotalNumSgprs: 0
; NumVgprs: 0
; ScratchSize: 0
; MemoryBound: 0
; FloatMode: 240
; IeeeMode: 1
; LDSByteSize: 0 bytes/workgroup (compile time only)
; SGPRBlocks: 0
; VGPRBlocks: 0
; NumSGPRsForWavesPerEU: 1
; NumVGPRsForWavesPerEU: 1
; NamedBarCnt: 0
; Occupancy: 16
; WaveLimiterHint : 0
; COMPUTE_PGM_RSRC2:SCRATCH_EN: 0
; COMPUTE_PGM_RSRC2:USER_SGPR: 2
; COMPUTE_PGM_RSRC2:TRAP_HANDLER: 0
; COMPUTE_PGM_RSRC2:TGID_X_EN: 1
; COMPUTE_PGM_RSRC2:TGID_Y_EN: 0
; COMPUTE_PGM_RSRC2:TGID_Z_EN: 0
; COMPUTE_PGM_RSRC2:TIDIG_COMP_CNT: 0
	.section	.text._ZN7rocprim17ROCPRIM_400000_NS6detail17trampoline_kernelINS0_14default_configENS1_32segmented_reduce_config_selectorIN3c108BFloat16EEEZNS1_21segmented_reduce_implIS3_PKS6_PS6_PKlS6_N6hipcub16HIPCUB_304000_NS6detail27convert_result_type_wrapperISA_SB_N2at6native12_GLOBAL__N_19CustomMinEEEEE10hipError_tPvRmT0_T1_jT2_SS_T4_T3_P12ihipStream_tbEUlT_E_NS1_11comp_targetILNS1_3genE3ELNS1_11target_archE908ELNS1_3gpuE7ELNS1_3repE0EEENS1_30default_config_static_selectorELNS0_4arch9wavefront6targetE0EEEvSR_,"axG",@progbits,_ZN7rocprim17ROCPRIM_400000_NS6detail17trampoline_kernelINS0_14default_configENS1_32segmented_reduce_config_selectorIN3c108BFloat16EEEZNS1_21segmented_reduce_implIS3_PKS6_PS6_PKlS6_N6hipcub16HIPCUB_304000_NS6detail27convert_result_type_wrapperISA_SB_N2at6native12_GLOBAL__N_19CustomMinEEEEE10hipError_tPvRmT0_T1_jT2_SS_T4_T3_P12ihipStream_tbEUlT_E_NS1_11comp_targetILNS1_3genE3ELNS1_11target_archE908ELNS1_3gpuE7ELNS1_3repE0EEENS1_30default_config_static_selectorELNS0_4arch9wavefront6targetE0EEEvSR_,comdat
	.globl	_ZN7rocprim17ROCPRIM_400000_NS6detail17trampoline_kernelINS0_14default_configENS1_32segmented_reduce_config_selectorIN3c108BFloat16EEEZNS1_21segmented_reduce_implIS3_PKS6_PS6_PKlS6_N6hipcub16HIPCUB_304000_NS6detail27convert_result_type_wrapperISA_SB_N2at6native12_GLOBAL__N_19CustomMinEEEEE10hipError_tPvRmT0_T1_jT2_SS_T4_T3_P12ihipStream_tbEUlT_E_NS1_11comp_targetILNS1_3genE3ELNS1_11target_archE908ELNS1_3gpuE7ELNS1_3repE0EEENS1_30default_config_static_selectorELNS0_4arch9wavefront6targetE0EEEvSR_ ; -- Begin function _ZN7rocprim17ROCPRIM_400000_NS6detail17trampoline_kernelINS0_14default_configENS1_32segmented_reduce_config_selectorIN3c108BFloat16EEEZNS1_21segmented_reduce_implIS3_PKS6_PS6_PKlS6_N6hipcub16HIPCUB_304000_NS6detail27convert_result_type_wrapperISA_SB_N2at6native12_GLOBAL__N_19CustomMinEEEEE10hipError_tPvRmT0_T1_jT2_SS_T4_T3_P12ihipStream_tbEUlT_E_NS1_11comp_targetILNS1_3genE3ELNS1_11target_archE908ELNS1_3gpuE7ELNS1_3repE0EEENS1_30default_config_static_selectorELNS0_4arch9wavefront6targetE0EEEvSR_
	.p2align	8
	.type	_ZN7rocprim17ROCPRIM_400000_NS6detail17trampoline_kernelINS0_14default_configENS1_32segmented_reduce_config_selectorIN3c108BFloat16EEEZNS1_21segmented_reduce_implIS3_PKS6_PS6_PKlS6_N6hipcub16HIPCUB_304000_NS6detail27convert_result_type_wrapperISA_SB_N2at6native12_GLOBAL__N_19CustomMinEEEEE10hipError_tPvRmT0_T1_jT2_SS_T4_T3_P12ihipStream_tbEUlT_E_NS1_11comp_targetILNS1_3genE3ELNS1_11target_archE908ELNS1_3gpuE7ELNS1_3repE0EEENS1_30default_config_static_selectorELNS0_4arch9wavefront6targetE0EEEvSR_,@function
_ZN7rocprim17ROCPRIM_400000_NS6detail17trampoline_kernelINS0_14default_configENS1_32segmented_reduce_config_selectorIN3c108BFloat16EEEZNS1_21segmented_reduce_implIS3_PKS6_PS6_PKlS6_N6hipcub16HIPCUB_304000_NS6detail27convert_result_type_wrapperISA_SB_N2at6native12_GLOBAL__N_19CustomMinEEEEE10hipError_tPvRmT0_T1_jT2_SS_T4_T3_P12ihipStream_tbEUlT_E_NS1_11comp_targetILNS1_3genE3ELNS1_11target_archE908ELNS1_3gpuE7ELNS1_3repE0EEENS1_30default_config_static_selectorELNS0_4arch9wavefront6targetE0EEEvSR_: ; @_ZN7rocprim17ROCPRIM_400000_NS6detail17trampoline_kernelINS0_14default_configENS1_32segmented_reduce_config_selectorIN3c108BFloat16EEEZNS1_21segmented_reduce_implIS3_PKS6_PS6_PKlS6_N6hipcub16HIPCUB_304000_NS6detail27convert_result_type_wrapperISA_SB_N2at6native12_GLOBAL__N_19CustomMinEEEEE10hipError_tPvRmT0_T1_jT2_SS_T4_T3_P12ihipStream_tbEUlT_E_NS1_11comp_targetILNS1_3genE3ELNS1_11target_archE908ELNS1_3gpuE7ELNS1_3repE0EEENS1_30default_config_static_selectorELNS0_4arch9wavefront6targetE0EEEvSR_
; %bb.0:
	.section	.rodata,"a",@progbits
	.p2align	6, 0x0
	.amdhsa_kernel _ZN7rocprim17ROCPRIM_400000_NS6detail17trampoline_kernelINS0_14default_configENS1_32segmented_reduce_config_selectorIN3c108BFloat16EEEZNS1_21segmented_reduce_implIS3_PKS6_PS6_PKlS6_N6hipcub16HIPCUB_304000_NS6detail27convert_result_type_wrapperISA_SB_N2at6native12_GLOBAL__N_19CustomMinEEEEE10hipError_tPvRmT0_T1_jT2_SS_T4_T3_P12ihipStream_tbEUlT_E_NS1_11comp_targetILNS1_3genE3ELNS1_11target_archE908ELNS1_3gpuE7ELNS1_3repE0EEENS1_30default_config_static_selectorELNS0_4arch9wavefront6targetE0EEEvSR_
		.amdhsa_group_segment_fixed_size 0
		.amdhsa_private_segment_fixed_size 0
		.amdhsa_kernarg_size 48
		.amdhsa_user_sgpr_count 2
		.amdhsa_user_sgpr_dispatch_ptr 0
		.amdhsa_user_sgpr_queue_ptr 0
		.amdhsa_user_sgpr_kernarg_segment_ptr 1
		.amdhsa_user_sgpr_dispatch_id 0
		.amdhsa_user_sgpr_kernarg_preload_length 0
		.amdhsa_user_sgpr_kernarg_preload_offset 0
		.amdhsa_user_sgpr_private_segment_size 0
		.amdhsa_wavefront_size32 1
		.amdhsa_uses_dynamic_stack 0
		.amdhsa_enable_private_segment 0
		.amdhsa_system_sgpr_workgroup_id_x 1
		.amdhsa_system_sgpr_workgroup_id_y 0
		.amdhsa_system_sgpr_workgroup_id_z 0
		.amdhsa_system_sgpr_workgroup_info 0
		.amdhsa_system_vgpr_workitem_id 0
		.amdhsa_next_free_vgpr 1
		.amdhsa_next_free_sgpr 1
		.amdhsa_named_barrier_count 0
		.amdhsa_reserve_vcc 0
		.amdhsa_float_round_mode_32 0
		.amdhsa_float_round_mode_16_64 0
		.amdhsa_float_denorm_mode_32 3
		.amdhsa_float_denorm_mode_16_64 3
		.amdhsa_fp16_overflow 0
		.amdhsa_memory_ordered 1
		.amdhsa_forward_progress 1
		.amdhsa_inst_pref_size 0
		.amdhsa_round_robin_scheduling 0
		.amdhsa_exception_fp_ieee_invalid_op 0
		.amdhsa_exception_fp_denorm_src 0
		.amdhsa_exception_fp_ieee_div_zero 0
		.amdhsa_exception_fp_ieee_overflow 0
		.amdhsa_exception_fp_ieee_underflow 0
		.amdhsa_exception_fp_ieee_inexact 0
		.amdhsa_exception_int_div_zero 0
	.end_amdhsa_kernel
	.section	.text._ZN7rocprim17ROCPRIM_400000_NS6detail17trampoline_kernelINS0_14default_configENS1_32segmented_reduce_config_selectorIN3c108BFloat16EEEZNS1_21segmented_reduce_implIS3_PKS6_PS6_PKlS6_N6hipcub16HIPCUB_304000_NS6detail27convert_result_type_wrapperISA_SB_N2at6native12_GLOBAL__N_19CustomMinEEEEE10hipError_tPvRmT0_T1_jT2_SS_T4_T3_P12ihipStream_tbEUlT_E_NS1_11comp_targetILNS1_3genE3ELNS1_11target_archE908ELNS1_3gpuE7ELNS1_3repE0EEENS1_30default_config_static_selectorELNS0_4arch9wavefront6targetE0EEEvSR_,"axG",@progbits,_ZN7rocprim17ROCPRIM_400000_NS6detail17trampoline_kernelINS0_14default_configENS1_32segmented_reduce_config_selectorIN3c108BFloat16EEEZNS1_21segmented_reduce_implIS3_PKS6_PS6_PKlS6_N6hipcub16HIPCUB_304000_NS6detail27convert_result_type_wrapperISA_SB_N2at6native12_GLOBAL__N_19CustomMinEEEEE10hipError_tPvRmT0_T1_jT2_SS_T4_T3_P12ihipStream_tbEUlT_E_NS1_11comp_targetILNS1_3genE3ELNS1_11target_archE908ELNS1_3gpuE7ELNS1_3repE0EEENS1_30default_config_static_selectorELNS0_4arch9wavefront6targetE0EEEvSR_,comdat
.Lfunc_end268:
	.size	_ZN7rocprim17ROCPRIM_400000_NS6detail17trampoline_kernelINS0_14default_configENS1_32segmented_reduce_config_selectorIN3c108BFloat16EEEZNS1_21segmented_reduce_implIS3_PKS6_PS6_PKlS6_N6hipcub16HIPCUB_304000_NS6detail27convert_result_type_wrapperISA_SB_N2at6native12_GLOBAL__N_19CustomMinEEEEE10hipError_tPvRmT0_T1_jT2_SS_T4_T3_P12ihipStream_tbEUlT_E_NS1_11comp_targetILNS1_3genE3ELNS1_11target_archE908ELNS1_3gpuE7ELNS1_3repE0EEENS1_30default_config_static_selectorELNS0_4arch9wavefront6targetE0EEEvSR_, .Lfunc_end268-_ZN7rocprim17ROCPRIM_400000_NS6detail17trampoline_kernelINS0_14default_configENS1_32segmented_reduce_config_selectorIN3c108BFloat16EEEZNS1_21segmented_reduce_implIS3_PKS6_PS6_PKlS6_N6hipcub16HIPCUB_304000_NS6detail27convert_result_type_wrapperISA_SB_N2at6native12_GLOBAL__N_19CustomMinEEEEE10hipError_tPvRmT0_T1_jT2_SS_T4_T3_P12ihipStream_tbEUlT_E_NS1_11comp_targetILNS1_3genE3ELNS1_11target_archE908ELNS1_3gpuE7ELNS1_3repE0EEENS1_30default_config_static_selectorELNS0_4arch9wavefront6targetE0EEEvSR_
                                        ; -- End function
	.set _ZN7rocprim17ROCPRIM_400000_NS6detail17trampoline_kernelINS0_14default_configENS1_32segmented_reduce_config_selectorIN3c108BFloat16EEEZNS1_21segmented_reduce_implIS3_PKS6_PS6_PKlS6_N6hipcub16HIPCUB_304000_NS6detail27convert_result_type_wrapperISA_SB_N2at6native12_GLOBAL__N_19CustomMinEEEEE10hipError_tPvRmT0_T1_jT2_SS_T4_T3_P12ihipStream_tbEUlT_E_NS1_11comp_targetILNS1_3genE3ELNS1_11target_archE908ELNS1_3gpuE7ELNS1_3repE0EEENS1_30default_config_static_selectorELNS0_4arch9wavefront6targetE0EEEvSR_.num_vgpr, 0
	.set _ZN7rocprim17ROCPRIM_400000_NS6detail17trampoline_kernelINS0_14default_configENS1_32segmented_reduce_config_selectorIN3c108BFloat16EEEZNS1_21segmented_reduce_implIS3_PKS6_PS6_PKlS6_N6hipcub16HIPCUB_304000_NS6detail27convert_result_type_wrapperISA_SB_N2at6native12_GLOBAL__N_19CustomMinEEEEE10hipError_tPvRmT0_T1_jT2_SS_T4_T3_P12ihipStream_tbEUlT_E_NS1_11comp_targetILNS1_3genE3ELNS1_11target_archE908ELNS1_3gpuE7ELNS1_3repE0EEENS1_30default_config_static_selectorELNS0_4arch9wavefront6targetE0EEEvSR_.num_agpr, 0
	.set _ZN7rocprim17ROCPRIM_400000_NS6detail17trampoline_kernelINS0_14default_configENS1_32segmented_reduce_config_selectorIN3c108BFloat16EEEZNS1_21segmented_reduce_implIS3_PKS6_PS6_PKlS6_N6hipcub16HIPCUB_304000_NS6detail27convert_result_type_wrapperISA_SB_N2at6native12_GLOBAL__N_19CustomMinEEEEE10hipError_tPvRmT0_T1_jT2_SS_T4_T3_P12ihipStream_tbEUlT_E_NS1_11comp_targetILNS1_3genE3ELNS1_11target_archE908ELNS1_3gpuE7ELNS1_3repE0EEENS1_30default_config_static_selectorELNS0_4arch9wavefront6targetE0EEEvSR_.numbered_sgpr, 0
	.set _ZN7rocprim17ROCPRIM_400000_NS6detail17trampoline_kernelINS0_14default_configENS1_32segmented_reduce_config_selectorIN3c108BFloat16EEEZNS1_21segmented_reduce_implIS3_PKS6_PS6_PKlS6_N6hipcub16HIPCUB_304000_NS6detail27convert_result_type_wrapperISA_SB_N2at6native12_GLOBAL__N_19CustomMinEEEEE10hipError_tPvRmT0_T1_jT2_SS_T4_T3_P12ihipStream_tbEUlT_E_NS1_11comp_targetILNS1_3genE3ELNS1_11target_archE908ELNS1_3gpuE7ELNS1_3repE0EEENS1_30default_config_static_selectorELNS0_4arch9wavefront6targetE0EEEvSR_.num_named_barrier, 0
	.set _ZN7rocprim17ROCPRIM_400000_NS6detail17trampoline_kernelINS0_14default_configENS1_32segmented_reduce_config_selectorIN3c108BFloat16EEEZNS1_21segmented_reduce_implIS3_PKS6_PS6_PKlS6_N6hipcub16HIPCUB_304000_NS6detail27convert_result_type_wrapperISA_SB_N2at6native12_GLOBAL__N_19CustomMinEEEEE10hipError_tPvRmT0_T1_jT2_SS_T4_T3_P12ihipStream_tbEUlT_E_NS1_11comp_targetILNS1_3genE3ELNS1_11target_archE908ELNS1_3gpuE7ELNS1_3repE0EEENS1_30default_config_static_selectorELNS0_4arch9wavefront6targetE0EEEvSR_.private_seg_size, 0
	.set _ZN7rocprim17ROCPRIM_400000_NS6detail17trampoline_kernelINS0_14default_configENS1_32segmented_reduce_config_selectorIN3c108BFloat16EEEZNS1_21segmented_reduce_implIS3_PKS6_PS6_PKlS6_N6hipcub16HIPCUB_304000_NS6detail27convert_result_type_wrapperISA_SB_N2at6native12_GLOBAL__N_19CustomMinEEEEE10hipError_tPvRmT0_T1_jT2_SS_T4_T3_P12ihipStream_tbEUlT_E_NS1_11comp_targetILNS1_3genE3ELNS1_11target_archE908ELNS1_3gpuE7ELNS1_3repE0EEENS1_30default_config_static_selectorELNS0_4arch9wavefront6targetE0EEEvSR_.uses_vcc, 0
	.set _ZN7rocprim17ROCPRIM_400000_NS6detail17trampoline_kernelINS0_14default_configENS1_32segmented_reduce_config_selectorIN3c108BFloat16EEEZNS1_21segmented_reduce_implIS3_PKS6_PS6_PKlS6_N6hipcub16HIPCUB_304000_NS6detail27convert_result_type_wrapperISA_SB_N2at6native12_GLOBAL__N_19CustomMinEEEEE10hipError_tPvRmT0_T1_jT2_SS_T4_T3_P12ihipStream_tbEUlT_E_NS1_11comp_targetILNS1_3genE3ELNS1_11target_archE908ELNS1_3gpuE7ELNS1_3repE0EEENS1_30default_config_static_selectorELNS0_4arch9wavefront6targetE0EEEvSR_.uses_flat_scratch, 0
	.set _ZN7rocprim17ROCPRIM_400000_NS6detail17trampoline_kernelINS0_14default_configENS1_32segmented_reduce_config_selectorIN3c108BFloat16EEEZNS1_21segmented_reduce_implIS3_PKS6_PS6_PKlS6_N6hipcub16HIPCUB_304000_NS6detail27convert_result_type_wrapperISA_SB_N2at6native12_GLOBAL__N_19CustomMinEEEEE10hipError_tPvRmT0_T1_jT2_SS_T4_T3_P12ihipStream_tbEUlT_E_NS1_11comp_targetILNS1_3genE3ELNS1_11target_archE908ELNS1_3gpuE7ELNS1_3repE0EEENS1_30default_config_static_selectorELNS0_4arch9wavefront6targetE0EEEvSR_.has_dyn_sized_stack, 0
	.set _ZN7rocprim17ROCPRIM_400000_NS6detail17trampoline_kernelINS0_14default_configENS1_32segmented_reduce_config_selectorIN3c108BFloat16EEEZNS1_21segmented_reduce_implIS3_PKS6_PS6_PKlS6_N6hipcub16HIPCUB_304000_NS6detail27convert_result_type_wrapperISA_SB_N2at6native12_GLOBAL__N_19CustomMinEEEEE10hipError_tPvRmT0_T1_jT2_SS_T4_T3_P12ihipStream_tbEUlT_E_NS1_11comp_targetILNS1_3genE3ELNS1_11target_archE908ELNS1_3gpuE7ELNS1_3repE0EEENS1_30default_config_static_selectorELNS0_4arch9wavefront6targetE0EEEvSR_.has_recursion, 0
	.set _ZN7rocprim17ROCPRIM_400000_NS6detail17trampoline_kernelINS0_14default_configENS1_32segmented_reduce_config_selectorIN3c108BFloat16EEEZNS1_21segmented_reduce_implIS3_PKS6_PS6_PKlS6_N6hipcub16HIPCUB_304000_NS6detail27convert_result_type_wrapperISA_SB_N2at6native12_GLOBAL__N_19CustomMinEEEEE10hipError_tPvRmT0_T1_jT2_SS_T4_T3_P12ihipStream_tbEUlT_E_NS1_11comp_targetILNS1_3genE3ELNS1_11target_archE908ELNS1_3gpuE7ELNS1_3repE0EEENS1_30default_config_static_selectorELNS0_4arch9wavefront6targetE0EEEvSR_.has_indirect_call, 0
	.section	.AMDGPU.csdata,"",@progbits
; Kernel info:
; codeLenInByte = 0
; TotalNumSgprs: 0
; NumVgprs: 0
; ScratchSize: 0
; MemoryBound: 0
; FloatMode: 240
; IeeeMode: 1
; LDSByteSize: 0 bytes/workgroup (compile time only)
; SGPRBlocks: 0
; VGPRBlocks: 0
; NumSGPRsForWavesPerEU: 1
; NumVGPRsForWavesPerEU: 1
; NamedBarCnt: 0
; Occupancy: 16
; WaveLimiterHint : 0
; COMPUTE_PGM_RSRC2:SCRATCH_EN: 0
; COMPUTE_PGM_RSRC2:USER_SGPR: 2
; COMPUTE_PGM_RSRC2:TRAP_HANDLER: 0
; COMPUTE_PGM_RSRC2:TGID_X_EN: 1
; COMPUTE_PGM_RSRC2:TGID_Y_EN: 0
; COMPUTE_PGM_RSRC2:TGID_Z_EN: 0
; COMPUTE_PGM_RSRC2:TIDIG_COMP_CNT: 0
	.section	.text._ZN7rocprim17ROCPRIM_400000_NS6detail17trampoline_kernelINS0_14default_configENS1_32segmented_reduce_config_selectorIN3c108BFloat16EEEZNS1_21segmented_reduce_implIS3_PKS6_PS6_PKlS6_N6hipcub16HIPCUB_304000_NS6detail27convert_result_type_wrapperISA_SB_N2at6native12_GLOBAL__N_19CustomMinEEEEE10hipError_tPvRmT0_T1_jT2_SS_T4_T3_P12ihipStream_tbEUlT_E_NS1_11comp_targetILNS1_3genE2ELNS1_11target_archE906ELNS1_3gpuE6ELNS1_3repE0EEENS1_30default_config_static_selectorELNS0_4arch9wavefront6targetE0EEEvSR_,"axG",@progbits,_ZN7rocprim17ROCPRIM_400000_NS6detail17trampoline_kernelINS0_14default_configENS1_32segmented_reduce_config_selectorIN3c108BFloat16EEEZNS1_21segmented_reduce_implIS3_PKS6_PS6_PKlS6_N6hipcub16HIPCUB_304000_NS6detail27convert_result_type_wrapperISA_SB_N2at6native12_GLOBAL__N_19CustomMinEEEEE10hipError_tPvRmT0_T1_jT2_SS_T4_T3_P12ihipStream_tbEUlT_E_NS1_11comp_targetILNS1_3genE2ELNS1_11target_archE906ELNS1_3gpuE6ELNS1_3repE0EEENS1_30default_config_static_selectorELNS0_4arch9wavefront6targetE0EEEvSR_,comdat
	.globl	_ZN7rocprim17ROCPRIM_400000_NS6detail17trampoline_kernelINS0_14default_configENS1_32segmented_reduce_config_selectorIN3c108BFloat16EEEZNS1_21segmented_reduce_implIS3_PKS6_PS6_PKlS6_N6hipcub16HIPCUB_304000_NS6detail27convert_result_type_wrapperISA_SB_N2at6native12_GLOBAL__N_19CustomMinEEEEE10hipError_tPvRmT0_T1_jT2_SS_T4_T3_P12ihipStream_tbEUlT_E_NS1_11comp_targetILNS1_3genE2ELNS1_11target_archE906ELNS1_3gpuE6ELNS1_3repE0EEENS1_30default_config_static_selectorELNS0_4arch9wavefront6targetE0EEEvSR_ ; -- Begin function _ZN7rocprim17ROCPRIM_400000_NS6detail17trampoline_kernelINS0_14default_configENS1_32segmented_reduce_config_selectorIN3c108BFloat16EEEZNS1_21segmented_reduce_implIS3_PKS6_PS6_PKlS6_N6hipcub16HIPCUB_304000_NS6detail27convert_result_type_wrapperISA_SB_N2at6native12_GLOBAL__N_19CustomMinEEEEE10hipError_tPvRmT0_T1_jT2_SS_T4_T3_P12ihipStream_tbEUlT_E_NS1_11comp_targetILNS1_3genE2ELNS1_11target_archE906ELNS1_3gpuE6ELNS1_3repE0EEENS1_30default_config_static_selectorELNS0_4arch9wavefront6targetE0EEEvSR_
	.p2align	8
	.type	_ZN7rocprim17ROCPRIM_400000_NS6detail17trampoline_kernelINS0_14default_configENS1_32segmented_reduce_config_selectorIN3c108BFloat16EEEZNS1_21segmented_reduce_implIS3_PKS6_PS6_PKlS6_N6hipcub16HIPCUB_304000_NS6detail27convert_result_type_wrapperISA_SB_N2at6native12_GLOBAL__N_19CustomMinEEEEE10hipError_tPvRmT0_T1_jT2_SS_T4_T3_P12ihipStream_tbEUlT_E_NS1_11comp_targetILNS1_3genE2ELNS1_11target_archE906ELNS1_3gpuE6ELNS1_3repE0EEENS1_30default_config_static_selectorELNS0_4arch9wavefront6targetE0EEEvSR_,@function
_ZN7rocprim17ROCPRIM_400000_NS6detail17trampoline_kernelINS0_14default_configENS1_32segmented_reduce_config_selectorIN3c108BFloat16EEEZNS1_21segmented_reduce_implIS3_PKS6_PS6_PKlS6_N6hipcub16HIPCUB_304000_NS6detail27convert_result_type_wrapperISA_SB_N2at6native12_GLOBAL__N_19CustomMinEEEEE10hipError_tPvRmT0_T1_jT2_SS_T4_T3_P12ihipStream_tbEUlT_E_NS1_11comp_targetILNS1_3genE2ELNS1_11target_archE906ELNS1_3gpuE6ELNS1_3repE0EEENS1_30default_config_static_selectorELNS0_4arch9wavefront6targetE0EEEvSR_: ; @_ZN7rocprim17ROCPRIM_400000_NS6detail17trampoline_kernelINS0_14default_configENS1_32segmented_reduce_config_selectorIN3c108BFloat16EEEZNS1_21segmented_reduce_implIS3_PKS6_PS6_PKlS6_N6hipcub16HIPCUB_304000_NS6detail27convert_result_type_wrapperISA_SB_N2at6native12_GLOBAL__N_19CustomMinEEEEE10hipError_tPvRmT0_T1_jT2_SS_T4_T3_P12ihipStream_tbEUlT_E_NS1_11comp_targetILNS1_3genE2ELNS1_11target_archE906ELNS1_3gpuE6ELNS1_3repE0EEENS1_30default_config_static_selectorELNS0_4arch9wavefront6targetE0EEEvSR_
; %bb.0:
	.section	.rodata,"a",@progbits
	.p2align	6, 0x0
	.amdhsa_kernel _ZN7rocprim17ROCPRIM_400000_NS6detail17trampoline_kernelINS0_14default_configENS1_32segmented_reduce_config_selectorIN3c108BFloat16EEEZNS1_21segmented_reduce_implIS3_PKS6_PS6_PKlS6_N6hipcub16HIPCUB_304000_NS6detail27convert_result_type_wrapperISA_SB_N2at6native12_GLOBAL__N_19CustomMinEEEEE10hipError_tPvRmT0_T1_jT2_SS_T4_T3_P12ihipStream_tbEUlT_E_NS1_11comp_targetILNS1_3genE2ELNS1_11target_archE906ELNS1_3gpuE6ELNS1_3repE0EEENS1_30default_config_static_selectorELNS0_4arch9wavefront6targetE0EEEvSR_
		.amdhsa_group_segment_fixed_size 0
		.amdhsa_private_segment_fixed_size 0
		.amdhsa_kernarg_size 48
		.amdhsa_user_sgpr_count 2
		.amdhsa_user_sgpr_dispatch_ptr 0
		.amdhsa_user_sgpr_queue_ptr 0
		.amdhsa_user_sgpr_kernarg_segment_ptr 1
		.amdhsa_user_sgpr_dispatch_id 0
		.amdhsa_user_sgpr_kernarg_preload_length 0
		.amdhsa_user_sgpr_kernarg_preload_offset 0
		.amdhsa_user_sgpr_private_segment_size 0
		.amdhsa_wavefront_size32 1
		.amdhsa_uses_dynamic_stack 0
		.amdhsa_enable_private_segment 0
		.amdhsa_system_sgpr_workgroup_id_x 1
		.amdhsa_system_sgpr_workgroup_id_y 0
		.amdhsa_system_sgpr_workgroup_id_z 0
		.amdhsa_system_sgpr_workgroup_info 0
		.amdhsa_system_vgpr_workitem_id 0
		.amdhsa_next_free_vgpr 1
		.amdhsa_next_free_sgpr 1
		.amdhsa_named_barrier_count 0
		.amdhsa_reserve_vcc 0
		.amdhsa_float_round_mode_32 0
		.amdhsa_float_round_mode_16_64 0
		.amdhsa_float_denorm_mode_32 3
		.amdhsa_float_denorm_mode_16_64 3
		.amdhsa_fp16_overflow 0
		.amdhsa_memory_ordered 1
		.amdhsa_forward_progress 1
		.amdhsa_inst_pref_size 0
		.amdhsa_round_robin_scheduling 0
		.amdhsa_exception_fp_ieee_invalid_op 0
		.amdhsa_exception_fp_denorm_src 0
		.amdhsa_exception_fp_ieee_div_zero 0
		.amdhsa_exception_fp_ieee_overflow 0
		.amdhsa_exception_fp_ieee_underflow 0
		.amdhsa_exception_fp_ieee_inexact 0
		.amdhsa_exception_int_div_zero 0
	.end_amdhsa_kernel
	.section	.text._ZN7rocprim17ROCPRIM_400000_NS6detail17trampoline_kernelINS0_14default_configENS1_32segmented_reduce_config_selectorIN3c108BFloat16EEEZNS1_21segmented_reduce_implIS3_PKS6_PS6_PKlS6_N6hipcub16HIPCUB_304000_NS6detail27convert_result_type_wrapperISA_SB_N2at6native12_GLOBAL__N_19CustomMinEEEEE10hipError_tPvRmT0_T1_jT2_SS_T4_T3_P12ihipStream_tbEUlT_E_NS1_11comp_targetILNS1_3genE2ELNS1_11target_archE906ELNS1_3gpuE6ELNS1_3repE0EEENS1_30default_config_static_selectorELNS0_4arch9wavefront6targetE0EEEvSR_,"axG",@progbits,_ZN7rocprim17ROCPRIM_400000_NS6detail17trampoline_kernelINS0_14default_configENS1_32segmented_reduce_config_selectorIN3c108BFloat16EEEZNS1_21segmented_reduce_implIS3_PKS6_PS6_PKlS6_N6hipcub16HIPCUB_304000_NS6detail27convert_result_type_wrapperISA_SB_N2at6native12_GLOBAL__N_19CustomMinEEEEE10hipError_tPvRmT0_T1_jT2_SS_T4_T3_P12ihipStream_tbEUlT_E_NS1_11comp_targetILNS1_3genE2ELNS1_11target_archE906ELNS1_3gpuE6ELNS1_3repE0EEENS1_30default_config_static_selectorELNS0_4arch9wavefront6targetE0EEEvSR_,comdat
.Lfunc_end269:
	.size	_ZN7rocprim17ROCPRIM_400000_NS6detail17trampoline_kernelINS0_14default_configENS1_32segmented_reduce_config_selectorIN3c108BFloat16EEEZNS1_21segmented_reduce_implIS3_PKS6_PS6_PKlS6_N6hipcub16HIPCUB_304000_NS6detail27convert_result_type_wrapperISA_SB_N2at6native12_GLOBAL__N_19CustomMinEEEEE10hipError_tPvRmT0_T1_jT2_SS_T4_T3_P12ihipStream_tbEUlT_E_NS1_11comp_targetILNS1_3genE2ELNS1_11target_archE906ELNS1_3gpuE6ELNS1_3repE0EEENS1_30default_config_static_selectorELNS0_4arch9wavefront6targetE0EEEvSR_, .Lfunc_end269-_ZN7rocprim17ROCPRIM_400000_NS6detail17trampoline_kernelINS0_14default_configENS1_32segmented_reduce_config_selectorIN3c108BFloat16EEEZNS1_21segmented_reduce_implIS3_PKS6_PS6_PKlS6_N6hipcub16HIPCUB_304000_NS6detail27convert_result_type_wrapperISA_SB_N2at6native12_GLOBAL__N_19CustomMinEEEEE10hipError_tPvRmT0_T1_jT2_SS_T4_T3_P12ihipStream_tbEUlT_E_NS1_11comp_targetILNS1_3genE2ELNS1_11target_archE906ELNS1_3gpuE6ELNS1_3repE0EEENS1_30default_config_static_selectorELNS0_4arch9wavefront6targetE0EEEvSR_
                                        ; -- End function
	.set _ZN7rocprim17ROCPRIM_400000_NS6detail17trampoline_kernelINS0_14default_configENS1_32segmented_reduce_config_selectorIN3c108BFloat16EEEZNS1_21segmented_reduce_implIS3_PKS6_PS6_PKlS6_N6hipcub16HIPCUB_304000_NS6detail27convert_result_type_wrapperISA_SB_N2at6native12_GLOBAL__N_19CustomMinEEEEE10hipError_tPvRmT0_T1_jT2_SS_T4_T3_P12ihipStream_tbEUlT_E_NS1_11comp_targetILNS1_3genE2ELNS1_11target_archE906ELNS1_3gpuE6ELNS1_3repE0EEENS1_30default_config_static_selectorELNS0_4arch9wavefront6targetE0EEEvSR_.num_vgpr, 0
	.set _ZN7rocprim17ROCPRIM_400000_NS6detail17trampoline_kernelINS0_14default_configENS1_32segmented_reduce_config_selectorIN3c108BFloat16EEEZNS1_21segmented_reduce_implIS3_PKS6_PS6_PKlS6_N6hipcub16HIPCUB_304000_NS6detail27convert_result_type_wrapperISA_SB_N2at6native12_GLOBAL__N_19CustomMinEEEEE10hipError_tPvRmT0_T1_jT2_SS_T4_T3_P12ihipStream_tbEUlT_E_NS1_11comp_targetILNS1_3genE2ELNS1_11target_archE906ELNS1_3gpuE6ELNS1_3repE0EEENS1_30default_config_static_selectorELNS0_4arch9wavefront6targetE0EEEvSR_.num_agpr, 0
	.set _ZN7rocprim17ROCPRIM_400000_NS6detail17trampoline_kernelINS0_14default_configENS1_32segmented_reduce_config_selectorIN3c108BFloat16EEEZNS1_21segmented_reduce_implIS3_PKS6_PS6_PKlS6_N6hipcub16HIPCUB_304000_NS6detail27convert_result_type_wrapperISA_SB_N2at6native12_GLOBAL__N_19CustomMinEEEEE10hipError_tPvRmT0_T1_jT2_SS_T4_T3_P12ihipStream_tbEUlT_E_NS1_11comp_targetILNS1_3genE2ELNS1_11target_archE906ELNS1_3gpuE6ELNS1_3repE0EEENS1_30default_config_static_selectorELNS0_4arch9wavefront6targetE0EEEvSR_.numbered_sgpr, 0
	.set _ZN7rocprim17ROCPRIM_400000_NS6detail17trampoline_kernelINS0_14default_configENS1_32segmented_reduce_config_selectorIN3c108BFloat16EEEZNS1_21segmented_reduce_implIS3_PKS6_PS6_PKlS6_N6hipcub16HIPCUB_304000_NS6detail27convert_result_type_wrapperISA_SB_N2at6native12_GLOBAL__N_19CustomMinEEEEE10hipError_tPvRmT0_T1_jT2_SS_T4_T3_P12ihipStream_tbEUlT_E_NS1_11comp_targetILNS1_3genE2ELNS1_11target_archE906ELNS1_3gpuE6ELNS1_3repE0EEENS1_30default_config_static_selectorELNS0_4arch9wavefront6targetE0EEEvSR_.num_named_barrier, 0
	.set _ZN7rocprim17ROCPRIM_400000_NS6detail17trampoline_kernelINS0_14default_configENS1_32segmented_reduce_config_selectorIN3c108BFloat16EEEZNS1_21segmented_reduce_implIS3_PKS6_PS6_PKlS6_N6hipcub16HIPCUB_304000_NS6detail27convert_result_type_wrapperISA_SB_N2at6native12_GLOBAL__N_19CustomMinEEEEE10hipError_tPvRmT0_T1_jT2_SS_T4_T3_P12ihipStream_tbEUlT_E_NS1_11comp_targetILNS1_3genE2ELNS1_11target_archE906ELNS1_3gpuE6ELNS1_3repE0EEENS1_30default_config_static_selectorELNS0_4arch9wavefront6targetE0EEEvSR_.private_seg_size, 0
	.set _ZN7rocprim17ROCPRIM_400000_NS6detail17trampoline_kernelINS0_14default_configENS1_32segmented_reduce_config_selectorIN3c108BFloat16EEEZNS1_21segmented_reduce_implIS3_PKS6_PS6_PKlS6_N6hipcub16HIPCUB_304000_NS6detail27convert_result_type_wrapperISA_SB_N2at6native12_GLOBAL__N_19CustomMinEEEEE10hipError_tPvRmT0_T1_jT2_SS_T4_T3_P12ihipStream_tbEUlT_E_NS1_11comp_targetILNS1_3genE2ELNS1_11target_archE906ELNS1_3gpuE6ELNS1_3repE0EEENS1_30default_config_static_selectorELNS0_4arch9wavefront6targetE0EEEvSR_.uses_vcc, 0
	.set _ZN7rocprim17ROCPRIM_400000_NS6detail17trampoline_kernelINS0_14default_configENS1_32segmented_reduce_config_selectorIN3c108BFloat16EEEZNS1_21segmented_reduce_implIS3_PKS6_PS6_PKlS6_N6hipcub16HIPCUB_304000_NS6detail27convert_result_type_wrapperISA_SB_N2at6native12_GLOBAL__N_19CustomMinEEEEE10hipError_tPvRmT0_T1_jT2_SS_T4_T3_P12ihipStream_tbEUlT_E_NS1_11comp_targetILNS1_3genE2ELNS1_11target_archE906ELNS1_3gpuE6ELNS1_3repE0EEENS1_30default_config_static_selectorELNS0_4arch9wavefront6targetE0EEEvSR_.uses_flat_scratch, 0
	.set _ZN7rocprim17ROCPRIM_400000_NS6detail17trampoline_kernelINS0_14default_configENS1_32segmented_reduce_config_selectorIN3c108BFloat16EEEZNS1_21segmented_reduce_implIS3_PKS6_PS6_PKlS6_N6hipcub16HIPCUB_304000_NS6detail27convert_result_type_wrapperISA_SB_N2at6native12_GLOBAL__N_19CustomMinEEEEE10hipError_tPvRmT0_T1_jT2_SS_T4_T3_P12ihipStream_tbEUlT_E_NS1_11comp_targetILNS1_3genE2ELNS1_11target_archE906ELNS1_3gpuE6ELNS1_3repE0EEENS1_30default_config_static_selectorELNS0_4arch9wavefront6targetE0EEEvSR_.has_dyn_sized_stack, 0
	.set _ZN7rocprim17ROCPRIM_400000_NS6detail17trampoline_kernelINS0_14default_configENS1_32segmented_reduce_config_selectorIN3c108BFloat16EEEZNS1_21segmented_reduce_implIS3_PKS6_PS6_PKlS6_N6hipcub16HIPCUB_304000_NS6detail27convert_result_type_wrapperISA_SB_N2at6native12_GLOBAL__N_19CustomMinEEEEE10hipError_tPvRmT0_T1_jT2_SS_T4_T3_P12ihipStream_tbEUlT_E_NS1_11comp_targetILNS1_3genE2ELNS1_11target_archE906ELNS1_3gpuE6ELNS1_3repE0EEENS1_30default_config_static_selectorELNS0_4arch9wavefront6targetE0EEEvSR_.has_recursion, 0
	.set _ZN7rocprim17ROCPRIM_400000_NS6detail17trampoline_kernelINS0_14default_configENS1_32segmented_reduce_config_selectorIN3c108BFloat16EEEZNS1_21segmented_reduce_implIS3_PKS6_PS6_PKlS6_N6hipcub16HIPCUB_304000_NS6detail27convert_result_type_wrapperISA_SB_N2at6native12_GLOBAL__N_19CustomMinEEEEE10hipError_tPvRmT0_T1_jT2_SS_T4_T3_P12ihipStream_tbEUlT_E_NS1_11comp_targetILNS1_3genE2ELNS1_11target_archE906ELNS1_3gpuE6ELNS1_3repE0EEENS1_30default_config_static_selectorELNS0_4arch9wavefront6targetE0EEEvSR_.has_indirect_call, 0
	.section	.AMDGPU.csdata,"",@progbits
; Kernel info:
; codeLenInByte = 0
; TotalNumSgprs: 0
; NumVgprs: 0
; ScratchSize: 0
; MemoryBound: 0
; FloatMode: 240
; IeeeMode: 1
; LDSByteSize: 0 bytes/workgroup (compile time only)
; SGPRBlocks: 0
; VGPRBlocks: 0
; NumSGPRsForWavesPerEU: 1
; NumVGPRsForWavesPerEU: 1
; NamedBarCnt: 0
; Occupancy: 16
; WaveLimiterHint : 0
; COMPUTE_PGM_RSRC2:SCRATCH_EN: 0
; COMPUTE_PGM_RSRC2:USER_SGPR: 2
; COMPUTE_PGM_RSRC2:TRAP_HANDLER: 0
; COMPUTE_PGM_RSRC2:TGID_X_EN: 1
; COMPUTE_PGM_RSRC2:TGID_Y_EN: 0
; COMPUTE_PGM_RSRC2:TGID_Z_EN: 0
; COMPUTE_PGM_RSRC2:TIDIG_COMP_CNT: 0
	.section	.text._ZN7rocprim17ROCPRIM_400000_NS6detail17trampoline_kernelINS0_14default_configENS1_32segmented_reduce_config_selectorIN3c108BFloat16EEEZNS1_21segmented_reduce_implIS3_PKS6_PS6_PKlS6_N6hipcub16HIPCUB_304000_NS6detail27convert_result_type_wrapperISA_SB_N2at6native12_GLOBAL__N_19CustomMinEEEEE10hipError_tPvRmT0_T1_jT2_SS_T4_T3_P12ihipStream_tbEUlT_E_NS1_11comp_targetILNS1_3genE9ELNS1_11target_archE1100ELNS1_3gpuE3ELNS1_3repE0EEENS1_30default_config_static_selectorELNS0_4arch9wavefront6targetE0EEEvSR_,"axG",@progbits,_ZN7rocprim17ROCPRIM_400000_NS6detail17trampoline_kernelINS0_14default_configENS1_32segmented_reduce_config_selectorIN3c108BFloat16EEEZNS1_21segmented_reduce_implIS3_PKS6_PS6_PKlS6_N6hipcub16HIPCUB_304000_NS6detail27convert_result_type_wrapperISA_SB_N2at6native12_GLOBAL__N_19CustomMinEEEEE10hipError_tPvRmT0_T1_jT2_SS_T4_T3_P12ihipStream_tbEUlT_E_NS1_11comp_targetILNS1_3genE9ELNS1_11target_archE1100ELNS1_3gpuE3ELNS1_3repE0EEENS1_30default_config_static_selectorELNS0_4arch9wavefront6targetE0EEEvSR_,comdat
	.globl	_ZN7rocprim17ROCPRIM_400000_NS6detail17trampoline_kernelINS0_14default_configENS1_32segmented_reduce_config_selectorIN3c108BFloat16EEEZNS1_21segmented_reduce_implIS3_PKS6_PS6_PKlS6_N6hipcub16HIPCUB_304000_NS6detail27convert_result_type_wrapperISA_SB_N2at6native12_GLOBAL__N_19CustomMinEEEEE10hipError_tPvRmT0_T1_jT2_SS_T4_T3_P12ihipStream_tbEUlT_E_NS1_11comp_targetILNS1_3genE9ELNS1_11target_archE1100ELNS1_3gpuE3ELNS1_3repE0EEENS1_30default_config_static_selectorELNS0_4arch9wavefront6targetE0EEEvSR_ ; -- Begin function _ZN7rocprim17ROCPRIM_400000_NS6detail17trampoline_kernelINS0_14default_configENS1_32segmented_reduce_config_selectorIN3c108BFloat16EEEZNS1_21segmented_reduce_implIS3_PKS6_PS6_PKlS6_N6hipcub16HIPCUB_304000_NS6detail27convert_result_type_wrapperISA_SB_N2at6native12_GLOBAL__N_19CustomMinEEEEE10hipError_tPvRmT0_T1_jT2_SS_T4_T3_P12ihipStream_tbEUlT_E_NS1_11comp_targetILNS1_3genE9ELNS1_11target_archE1100ELNS1_3gpuE3ELNS1_3repE0EEENS1_30default_config_static_selectorELNS0_4arch9wavefront6targetE0EEEvSR_
	.p2align	8
	.type	_ZN7rocprim17ROCPRIM_400000_NS6detail17trampoline_kernelINS0_14default_configENS1_32segmented_reduce_config_selectorIN3c108BFloat16EEEZNS1_21segmented_reduce_implIS3_PKS6_PS6_PKlS6_N6hipcub16HIPCUB_304000_NS6detail27convert_result_type_wrapperISA_SB_N2at6native12_GLOBAL__N_19CustomMinEEEEE10hipError_tPvRmT0_T1_jT2_SS_T4_T3_P12ihipStream_tbEUlT_E_NS1_11comp_targetILNS1_3genE9ELNS1_11target_archE1100ELNS1_3gpuE3ELNS1_3repE0EEENS1_30default_config_static_selectorELNS0_4arch9wavefront6targetE0EEEvSR_,@function
_ZN7rocprim17ROCPRIM_400000_NS6detail17trampoline_kernelINS0_14default_configENS1_32segmented_reduce_config_selectorIN3c108BFloat16EEEZNS1_21segmented_reduce_implIS3_PKS6_PS6_PKlS6_N6hipcub16HIPCUB_304000_NS6detail27convert_result_type_wrapperISA_SB_N2at6native12_GLOBAL__N_19CustomMinEEEEE10hipError_tPvRmT0_T1_jT2_SS_T4_T3_P12ihipStream_tbEUlT_E_NS1_11comp_targetILNS1_3genE9ELNS1_11target_archE1100ELNS1_3gpuE3ELNS1_3repE0EEENS1_30default_config_static_selectorELNS0_4arch9wavefront6targetE0EEEvSR_: ; @_ZN7rocprim17ROCPRIM_400000_NS6detail17trampoline_kernelINS0_14default_configENS1_32segmented_reduce_config_selectorIN3c108BFloat16EEEZNS1_21segmented_reduce_implIS3_PKS6_PS6_PKlS6_N6hipcub16HIPCUB_304000_NS6detail27convert_result_type_wrapperISA_SB_N2at6native12_GLOBAL__N_19CustomMinEEEEE10hipError_tPvRmT0_T1_jT2_SS_T4_T3_P12ihipStream_tbEUlT_E_NS1_11comp_targetILNS1_3genE9ELNS1_11target_archE1100ELNS1_3gpuE3ELNS1_3repE0EEENS1_30default_config_static_selectorELNS0_4arch9wavefront6targetE0EEEvSR_
; %bb.0:
	.section	.rodata,"a",@progbits
	.p2align	6, 0x0
	.amdhsa_kernel _ZN7rocprim17ROCPRIM_400000_NS6detail17trampoline_kernelINS0_14default_configENS1_32segmented_reduce_config_selectorIN3c108BFloat16EEEZNS1_21segmented_reduce_implIS3_PKS6_PS6_PKlS6_N6hipcub16HIPCUB_304000_NS6detail27convert_result_type_wrapperISA_SB_N2at6native12_GLOBAL__N_19CustomMinEEEEE10hipError_tPvRmT0_T1_jT2_SS_T4_T3_P12ihipStream_tbEUlT_E_NS1_11comp_targetILNS1_3genE9ELNS1_11target_archE1100ELNS1_3gpuE3ELNS1_3repE0EEENS1_30default_config_static_selectorELNS0_4arch9wavefront6targetE0EEEvSR_
		.amdhsa_group_segment_fixed_size 0
		.amdhsa_private_segment_fixed_size 0
		.amdhsa_kernarg_size 48
		.amdhsa_user_sgpr_count 2
		.amdhsa_user_sgpr_dispatch_ptr 0
		.amdhsa_user_sgpr_queue_ptr 0
		.amdhsa_user_sgpr_kernarg_segment_ptr 1
		.amdhsa_user_sgpr_dispatch_id 0
		.amdhsa_user_sgpr_kernarg_preload_length 0
		.amdhsa_user_sgpr_kernarg_preload_offset 0
		.amdhsa_user_sgpr_private_segment_size 0
		.amdhsa_wavefront_size32 1
		.amdhsa_uses_dynamic_stack 0
		.amdhsa_enable_private_segment 0
		.amdhsa_system_sgpr_workgroup_id_x 1
		.amdhsa_system_sgpr_workgroup_id_y 0
		.amdhsa_system_sgpr_workgroup_id_z 0
		.amdhsa_system_sgpr_workgroup_info 0
		.amdhsa_system_vgpr_workitem_id 0
		.amdhsa_next_free_vgpr 1
		.amdhsa_next_free_sgpr 1
		.amdhsa_named_barrier_count 0
		.amdhsa_reserve_vcc 0
		.amdhsa_float_round_mode_32 0
		.amdhsa_float_round_mode_16_64 0
		.amdhsa_float_denorm_mode_32 3
		.amdhsa_float_denorm_mode_16_64 3
		.amdhsa_fp16_overflow 0
		.amdhsa_memory_ordered 1
		.amdhsa_forward_progress 1
		.amdhsa_inst_pref_size 0
		.amdhsa_round_robin_scheduling 0
		.amdhsa_exception_fp_ieee_invalid_op 0
		.amdhsa_exception_fp_denorm_src 0
		.amdhsa_exception_fp_ieee_div_zero 0
		.amdhsa_exception_fp_ieee_overflow 0
		.amdhsa_exception_fp_ieee_underflow 0
		.amdhsa_exception_fp_ieee_inexact 0
		.amdhsa_exception_int_div_zero 0
	.end_amdhsa_kernel
	.section	.text._ZN7rocprim17ROCPRIM_400000_NS6detail17trampoline_kernelINS0_14default_configENS1_32segmented_reduce_config_selectorIN3c108BFloat16EEEZNS1_21segmented_reduce_implIS3_PKS6_PS6_PKlS6_N6hipcub16HIPCUB_304000_NS6detail27convert_result_type_wrapperISA_SB_N2at6native12_GLOBAL__N_19CustomMinEEEEE10hipError_tPvRmT0_T1_jT2_SS_T4_T3_P12ihipStream_tbEUlT_E_NS1_11comp_targetILNS1_3genE9ELNS1_11target_archE1100ELNS1_3gpuE3ELNS1_3repE0EEENS1_30default_config_static_selectorELNS0_4arch9wavefront6targetE0EEEvSR_,"axG",@progbits,_ZN7rocprim17ROCPRIM_400000_NS6detail17trampoline_kernelINS0_14default_configENS1_32segmented_reduce_config_selectorIN3c108BFloat16EEEZNS1_21segmented_reduce_implIS3_PKS6_PS6_PKlS6_N6hipcub16HIPCUB_304000_NS6detail27convert_result_type_wrapperISA_SB_N2at6native12_GLOBAL__N_19CustomMinEEEEE10hipError_tPvRmT0_T1_jT2_SS_T4_T3_P12ihipStream_tbEUlT_E_NS1_11comp_targetILNS1_3genE9ELNS1_11target_archE1100ELNS1_3gpuE3ELNS1_3repE0EEENS1_30default_config_static_selectorELNS0_4arch9wavefront6targetE0EEEvSR_,comdat
.Lfunc_end270:
	.size	_ZN7rocprim17ROCPRIM_400000_NS6detail17trampoline_kernelINS0_14default_configENS1_32segmented_reduce_config_selectorIN3c108BFloat16EEEZNS1_21segmented_reduce_implIS3_PKS6_PS6_PKlS6_N6hipcub16HIPCUB_304000_NS6detail27convert_result_type_wrapperISA_SB_N2at6native12_GLOBAL__N_19CustomMinEEEEE10hipError_tPvRmT0_T1_jT2_SS_T4_T3_P12ihipStream_tbEUlT_E_NS1_11comp_targetILNS1_3genE9ELNS1_11target_archE1100ELNS1_3gpuE3ELNS1_3repE0EEENS1_30default_config_static_selectorELNS0_4arch9wavefront6targetE0EEEvSR_, .Lfunc_end270-_ZN7rocprim17ROCPRIM_400000_NS6detail17trampoline_kernelINS0_14default_configENS1_32segmented_reduce_config_selectorIN3c108BFloat16EEEZNS1_21segmented_reduce_implIS3_PKS6_PS6_PKlS6_N6hipcub16HIPCUB_304000_NS6detail27convert_result_type_wrapperISA_SB_N2at6native12_GLOBAL__N_19CustomMinEEEEE10hipError_tPvRmT0_T1_jT2_SS_T4_T3_P12ihipStream_tbEUlT_E_NS1_11comp_targetILNS1_3genE9ELNS1_11target_archE1100ELNS1_3gpuE3ELNS1_3repE0EEENS1_30default_config_static_selectorELNS0_4arch9wavefront6targetE0EEEvSR_
                                        ; -- End function
	.set _ZN7rocprim17ROCPRIM_400000_NS6detail17trampoline_kernelINS0_14default_configENS1_32segmented_reduce_config_selectorIN3c108BFloat16EEEZNS1_21segmented_reduce_implIS3_PKS6_PS6_PKlS6_N6hipcub16HIPCUB_304000_NS6detail27convert_result_type_wrapperISA_SB_N2at6native12_GLOBAL__N_19CustomMinEEEEE10hipError_tPvRmT0_T1_jT2_SS_T4_T3_P12ihipStream_tbEUlT_E_NS1_11comp_targetILNS1_3genE9ELNS1_11target_archE1100ELNS1_3gpuE3ELNS1_3repE0EEENS1_30default_config_static_selectorELNS0_4arch9wavefront6targetE0EEEvSR_.num_vgpr, 0
	.set _ZN7rocprim17ROCPRIM_400000_NS6detail17trampoline_kernelINS0_14default_configENS1_32segmented_reduce_config_selectorIN3c108BFloat16EEEZNS1_21segmented_reduce_implIS3_PKS6_PS6_PKlS6_N6hipcub16HIPCUB_304000_NS6detail27convert_result_type_wrapperISA_SB_N2at6native12_GLOBAL__N_19CustomMinEEEEE10hipError_tPvRmT0_T1_jT2_SS_T4_T3_P12ihipStream_tbEUlT_E_NS1_11comp_targetILNS1_3genE9ELNS1_11target_archE1100ELNS1_3gpuE3ELNS1_3repE0EEENS1_30default_config_static_selectorELNS0_4arch9wavefront6targetE0EEEvSR_.num_agpr, 0
	.set _ZN7rocprim17ROCPRIM_400000_NS6detail17trampoline_kernelINS0_14default_configENS1_32segmented_reduce_config_selectorIN3c108BFloat16EEEZNS1_21segmented_reduce_implIS3_PKS6_PS6_PKlS6_N6hipcub16HIPCUB_304000_NS6detail27convert_result_type_wrapperISA_SB_N2at6native12_GLOBAL__N_19CustomMinEEEEE10hipError_tPvRmT0_T1_jT2_SS_T4_T3_P12ihipStream_tbEUlT_E_NS1_11comp_targetILNS1_3genE9ELNS1_11target_archE1100ELNS1_3gpuE3ELNS1_3repE0EEENS1_30default_config_static_selectorELNS0_4arch9wavefront6targetE0EEEvSR_.numbered_sgpr, 0
	.set _ZN7rocprim17ROCPRIM_400000_NS6detail17trampoline_kernelINS0_14default_configENS1_32segmented_reduce_config_selectorIN3c108BFloat16EEEZNS1_21segmented_reduce_implIS3_PKS6_PS6_PKlS6_N6hipcub16HIPCUB_304000_NS6detail27convert_result_type_wrapperISA_SB_N2at6native12_GLOBAL__N_19CustomMinEEEEE10hipError_tPvRmT0_T1_jT2_SS_T4_T3_P12ihipStream_tbEUlT_E_NS1_11comp_targetILNS1_3genE9ELNS1_11target_archE1100ELNS1_3gpuE3ELNS1_3repE0EEENS1_30default_config_static_selectorELNS0_4arch9wavefront6targetE0EEEvSR_.num_named_barrier, 0
	.set _ZN7rocprim17ROCPRIM_400000_NS6detail17trampoline_kernelINS0_14default_configENS1_32segmented_reduce_config_selectorIN3c108BFloat16EEEZNS1_21segmented_reduce_implIS3_PKS6_PS6_PKlS6_N6hipcub16HIPCUB_304000_NS6detail27convert_result_type_wrapperISA_SB_N2at6native12_GLOBAL__N_19CustomMinEEEEE10hipError_tPvRmT0_T1_jT2_SS_T4_T3_P12ihipStream_tbEUlT_E_NS1_11comp_targetILNS1_3genE9ELNS1_11target_archE1100ELNS1_3gpuE3ELNS1_3repE0EEENS1_30default_config_static_selectorELNS0_4arch9wavefront6targetE0EEEvSR_.private_seg_size, 0
	.set _ZN7rocprim17ROCPRIM_400000_NS6detail17trampoline_kernelINS0_14default_configENS1_32segmented_reduce_config_selectorIN3c108BFloat16EEEZNS1_21segmented_reduce_implIS3_PKS6_PS6_PKlS6_N6hipcub16HIPCUB_304000_NS6detail27convert_result_type_wrapperISA_SB_N2at6native12_GLOBAL__N_19CustomMinEEEEE10hipError_tPvRmT0_T1_jT2_SS_T4_T3_P12ihipStream_tbEUlT_E_NS1_11comp_targetILNS1_3genE9ELNS1_11target_archE1100ELNS1_3gpuE3ELNS1_3repE0EEENS1_30default_config_static_selectorELNS0_4arch9wavefront6targetE0EEEvSR_.uses_vcc, 0
	.set _ZN7rocprim17ROCPRIM_400000_NS6detail17trampoline_kernelINS0_14default_configENS1_32segmented_reduce_config_selectorIN3c108BFloat16EEEZNS1_21segmented_reduce_implIS3_PKS6_PS6_PKlS6_N6hipcub16HIPCUB_304000_NS6detail27convert_result_type_wrapperISA_SB_N2at6native12_GLOBAL__N_19CustomMinEEEEE10hipError_tPvRmT0_T1_jT2_SS_T4_T3_P12ihipStream_tbEUlT_E_NS1_11comp_targetILNS1_3genE9ELNS1_11target_archE1100ELNS1_3gpuE3ELNS1_3repE0EEENS1_30default_config_static_selectorELNS0_4arch9wavefront6targetE0EEEvSR_.uses_flat_scratch, 0
	.set _ZN7rocprim17ROCPRIM_400000_NS6detail17trampoline_kernelINS0_14default_configENS1_32segmented_reduce_config_selectorIN3c108BFloat16EEEZNS1_21segmented_reduce_implIS3_PKS6_PS6_PKlS6_N6hipcub16HIPCUB_304000_NS6detail27convert_result_type_wrapperISA_SB_N2at6native12_GLOBAL__N_19CustomMinEEEEE10hipError_tPvRmT0_T1_jT2_SS_T4_T3_P12ihipStream_tbEUlT_E_NS1_11comp_targetILNS1_3genE9ELNS1_11target_archE1100ELNS1_3gpuE3ELNS1_3repE0EEENS1_30default_config_static_selectorELNS0_4arch9wavefront6targetE0EEEvSR_.has_dyn_sized_stack, 0
	.set _ZN7rocprim17ROCPRIM_400000_NS6detail17trampoline_kernelINS0_14default_configENS1_32segmented_reduce_config_selectorIN3c108BFloat16EEEZNS1_21segmented_reduce_implIS3_PKS6_PS6_PKlS6_N6hipcub16HIPCUB_304000_NS6detail27convert_result_type_wrapperISA_SB_N2at6native12_GLOBAL__N_19CustomMinEEEEE10hipError_tPvRmT0_T1_jT2_SS_T4_T3_P12ihipStream_tbEUlT_E_NS1_11comp_targetILNS1_3genE9ELNS1_11target_archE1100ELNS1_3gpuE3ELNS1_3repE0EEENS1_30default_config_static_selectorELNS0_4arch9wavefront6targetE0EEEvSR_.has_recursion, 0
	.set _ZN7rocprim17ROCPRIM_400000_NS6detail17trampoline_kernelINS0_14default_configENS1_32segmented_reduce_config_selectorIN3c108BFloat16EEEZNS1_21segmented_reduce_implIS3_PKS6_PS6_PKlS6_N6hipcub16HIPCUB_304000_NS6detail27convert_result_type_wrapperISA_SB_N2at6native12_GLOBAL__N_19CustomMinEEEEE10hipError_tPvRmT0_T1_jT2_SS_T4_T3_P12ihipStream_tbEUlT_E_NS1_11comp_targetILNS1_3genE9ELNS1_11target_archE1100ELNS1_3gpuE3ELNS1_3repE0EEENS1_30default_config_static_selectorELNS0_4arch9wavefront6targetE0EEEvSR_.has_indirect_call, 0
	.section	.AMDGPU.csdata,"",@progbits
; Kernel info:
; codeLenInByte = 0
; TotalNumSgprs: 0
; NumVgprs: 0
; ScratchSize: 0
; MemoryBound: 0
; FloatMode: 240
; IeeeMode: 1
; LDSByteSize: 0 bytes/workgroup (compile time only)
; SGPRBlocks: 0
; VGPRBlocks: 0
; NumSGPRsForWavesPerEU: 1
; NumVGPRsForWavesPerEU: 1
; NamedBarCnt: 0
; Occupancy: 16
; WaveLimiterHint : 0
; COMPUTE_PGM_RSRC2:SCRATCH_EN: 0
; COMPUTE_PGM_RSRC2:USER_SGPR: 2
; COMPUTE_PGM_RSRC2:TRAP_HANDLER: 0
; COMPUTE_PGM_RSRC2:TGID_X_EN: 1
; COMPUTE_PGM_RSRC2:TGID_Y_EN: 0
; COMPUTE_PGM_RSRC2:TGID_Z_EN: 0
; COMPUTE_PGM_RSRC2:TIDIG_COMP_CNT: 0
	.section	.text._ZN7rocprim17ROCPRIM_400000_NS6detail17trampoline_kernelINS0_14default_configENS1_32segmented_reduce_config_selectorIN3c108BFloat16EEEZNS1_21segmented_reduce_implIS3_PKS6_PS6_PKlS6_N6hipcub16HIPCUB_304000_NS6detail27convert_result_type_wrapperISA_SB_N2at6native12_GLOBAL__N_19CustomMinEEEEE10hipError_tPvRmT0_T1_jT2_SS_T4_T3_P12ihipStream_tbEUlT_E_NS1_11comp_targetILNS1_3genE8ELNS1_11target_archE1030ELNS1_3gpuE2ELNS1_3repE0EEENS1_30default_config_static_selectorELNS0_4arch9wavefront6targetE0EEEvSR_,"axG",@progbits,_ZN7rocprim17ROCPRIM_400000_NS6detail17trampoline_kernelINS0_14default_configENS1_32segmented_reduce_config_selectorIN3c108BFloat16EEEZNS1_21segmented_reduce_implIS3_PKS6_PS6_PKlS6_N6hipcub16HIPCUB_304000_NS6detail27convert_result_type_wrapperISA_SB_N2at6native12_GLOBAL__N_19CustomMinEEEEE10hipError_tPvRmT0_T1_jT2_SS_T4_T3_P12ihipStream_tbEUlT_E_NS1_11comp_targetILNS1_3genE8ELNS1_11target_archE1030ELNS1_3gpuE2ELNS1_3repE0EEENS1_30default_config_static_selectorELNS0_4arch9wavefront6targetE0EEEvSR_,comdat
	.globl	_ZN7rocprim17ROCPRIM_400000_NS6detail17trampoline_kernelINS0_14default_configENS1_32segmented_reduce_config_selectorIN3c108BFloat16EEEZNS1_21segmented_reduce_implIS3_PKS6_PS6_PKlS6_N6hipcub16HIPCUB_304000_NS6detail27convert_result_type_wrapperISA_SB_N2at6native12_GLOBAL__N_19CustomMinEEEEE10hipError_tPvRmT0_T1_jT2_SS_T4_T3_P12ihipStream_tbEUlT_E_NS1_11comp_targetILNS1_3genE8ELNS1_11target_archE1030ELNS1_3gpuE2ELNS1_3repE0EEENS1_30default_config_static_selectorELNS0_4arch9wavefront6targetE0EEEvSR_ ; -- Begin function _ZN7rocprim17ROCPRIM_400000_NS6detail17trampoline_kernelINS0_14default_configENS1_32segmented_reduce_config_selectorIN3c108BFloat16EEEZNS1_21segmented_reduce_implIS3_PKS6_PS6_PKlS6_N6hipcub16HIPCUB_304000_NS6detail27convert_result_type_wrapperISA_SB_N2at6native12_GLOBAL__N_19CustomMinEEEEE10hipError_tPvRmT0_T1_jT2_SS_T4_T3_P12ihipStream_tbEUlT_E_NS1_11comp_targetILNS1_3genE8ELNS1_11target_archE1030ELNS1_3gpuE2ELNS1_3repE0EEENS1_30default_config_static_selectorELNS0_4arch9wavefront6targetE0EEEvSR_
	.p2align	8
	.type	_ZN7rocprim17ROCPRIM_400000_NS6detail17trampoline_kernelINS0_14default_configENS1_32segmented_reduce_config_selectorIN3c108BFloat16EEEZNS1_21segmented_reduce_implIS3_PKS6_PS6_PKlS6_N6hipcub16HIPCUB_304000_NS6detail27convert_result_type_wrapperISA_SB_N2at6native12_GLOBAL__N_19CustomMinEEEEE10hipError_tPvRmT0_T1_jT2_SS_T4_T3_P12ihipStream_tbEUlT_E_NS1_11comp_targetILNS1_3genE8ELNS1_11target_archE1030ELNS1_3gpuE2ELNS1_3repE0EEENS1_30default_config_static_selectorELNS0_4arch9wavefront6targetE0EEEvSR_,@function
_ZN7rocprim17ROCPRIM_400000_NS6detail17trampoline_kernelINS0_14default_configENS1_32segmented_reduce_config_selectorIN3c108BFloat16EEEZNS1_21segmented_reduce_implIS3_PKS6_PS6_PKlS6_N6hipcub16HIPCUB_304000_NS6detail27convert_result_type_wrapperISA_SB_N2at6native12_GLOBAL__N_19CustomMinEEEEE10hipError_tPvRmT0_T1_jT2_SS_T4_T3_P12ihipStream_tbEUlT_E_NS1_11comp_targetILNS1_3genE8ELNS1_11target_archE1030ELNS1_3gpuE2ELNS1_3repE0EEENS1_30default_config_static_selectorELNS0_4arch9wavefront6targetE0EEEvSR_: ; @_ZN7rocprim17ROCPRIM_400000_NS6detail17trampoline_kernelINS0_14default_configENS1_32segmented_reduce_config_selectorIN3c108BFloat16EEEZNS1_21segmented_reduce_implIS3_PKS6_PS6_PKlS6_N6hipcub16HIPCUB_304000_NS6detail27convert_result_type_wrapperISA_SB_N2at6native12_GLOBAL__N_19CustomMinEEEEE10hipError_tPvRmT0_T1_jT2_SS_T4_T3_P12ihipStream_tbEUlT_E_NS1_11comp_targetILNS1_3genE8ELNS1_11target_archE1030ELNS1_3gpuE2ELNS1_3repE0EEENS1_30default_config_static_selectorELNS0_4arch9wavefront6targetE0EEEvSR_
; %bb.0:
	.section	.rodata,"a",@progbits
	.p2align	6, 0x0
	.amdhsa_kernel _ZN7rocprim17ROCPRIM_400000_NS6detail17trampoline_kernelINS0_14default_configENS1_32segmented_reduce_config_selectorIN3c108BFloat16EEEZNS1_21segmented_reduce_implIS3_PKS6_PS6_PKlS6_N6hipcub16HIPCUB_304000_NS6detail27convert_result_type_wrapperISA_SB_N2at6native12_GLOBAL__N_19CustomMinEEEEE10hipError_tPvRmT0_T1_jT2_SS_T4_T3_P12ihipStream_tbEUlT_E_NS1_11comp_targetILNS1_3genE8ELNS1_11target_archE1030ELNS1_3gpuE2ELNS1_3repE0EEENS1_30default_config_static_selectorELNS0_4arch9wavefront6targetE0EEEvSR_
		.amdhsa_group_segment_fixed_size 0
		.amdhsa_private_segment_fixed_size 0
		.amdhsa_kernarg_size 48
		.amdhsa_user_sgpr_count 2
		.amdhsa_user_sgpr_dispatch_ptr 0
		.amdhsa_user_sgpr_queue_ptr 0
		.amdhsa_user_sgpr_kernarg_segment_ptr 1
		.amdhsa_user_sgpr_dispatch_id 0
		.amdhsa_user_sgpr_kernarg_preload_length 0
		.amdhsa_user_sgpr_kernarg_preload_offset 0
		.amdhsa_user_sgpr_private_segment_size 0
		.amdhsa_wavefront_size32 1
		.amdhsa_uses_dynamic_stack 0
		.amdhsa_enable_private_segment 0
		.amdhsa_system_sgpr_workgroup_id_x 1
		.amdhsa_system_sgpr_workgroup_id_y 0
		.amdhsa_system_sgpr_workgroup_id_z 0
		.amdhsa_system_sgpr_workgroup_info 0
		.amdhsa_system_vgpr_workitem_id 0
		.amdhsa_next_free_vgpr 1
		.amdhsa_next_free_sgpr 1
		.amdhsa_named_barrier_count 0
		.amdhsa_reserve_vcc 0
		.amdhsa_float_round_mode_32 0
		.amdhsa_float_round_mode_16_64 0
		.amdhsa_float_denorm_mode_32 3
		.amdhsa_float_denorm_mode_16_64 3
		.amdhsa_fp16_overflow 0
		.amdhsa_memory_ordered 1
		.amdhsa_forward_progress 1
		.amdhsa_inst_pref_size 0
		.amdhsa_round_robin_scheduling 0
		.amdhsa_exception_fp_ieee_invalid_op 0
		.amdhsa_exception_fp_denorm_src 0
		.amdhsa_exception_fp_ieee_div_zero 0
		.amdhsa_exception_fp_ieee_overflow 0
		.amdhsa_exception_fp_ieee_underflow 0
		.amdhsa_exception_fp_ieee_inexact 0
		.amdhsa_exception_int_div_zero 0
	.end_amdhsa_kernel
	.section	.text._ZN7rocprim17ROCPRIM_400000_NS6detail17trampoline_kernelINS0_14default_configENS1_32segmented_reduce_config_selectorIN3c108BFloat16EEEZNS1_21segmented_reduce_implIS3_PKS6_PS6_PKlS6_N6hipcub16HIPCUB_304000_NS6detail27convert_result_type_wrapperISA_SB_N2at6native12_GLOBAL__N_19CustomMinEEEEE10hipError_tPvRmT0_T1_jT2_SS_T4_T3_P12ihipStream_tbEUlT_E_NS1_11comp_targetILNS1_3genE8ELNS1_11target_archE1030ELNS1_3gpuE2ELNS1_3repE0EEENS1_30default_config_static_selectorELNS0_4arch9wavefront6targetE0EEEvSR_,"axG",@progbits,_ZN7rocprim17ROCPRIM_400000_NS6detail17trampoline_kernelINS0_14default_configENS1_32segmented_reduce_config_selectorIN3c108BFloat16EEEZNS1_21segmented_reduce_implIS3_PKS6_PS6_PKlS6_N6hipcub16HIPCUB_304000_NS6detail27convert_result_type_wrapperISA_SB_N2at6native12_GLOBAL__N_19CustomMinEEEEE10hipError_tPvRmT0_T1_jT2_SS_T4_T3_P12ihipStream_tbEUlT_E_NS1_11comp_targetILNS1_3genE8ELNS1_11target_archE1030ELNS1_3gpuE2ELNS1_3repE0EEENS1_30default_config_static_selectorELNS0_4arch9wavefront6targetE0EEEvSR_,comdat
.Lfunc_end271:
	.size	_ZN7rocprim17ROCPRIM_400000_NS6detail17trampoline_kernelINS0_14default_configENS1_32segmented_reduce_config_selectorIN3c108BFloat16EEEZNS1_21segmented_reduce_implIS3_PKS6_PS6_PKlS6_N6hipcub16HIPCUB_304000_NS6detail27convert_result_type_wrapperISA_SB_N2at6native12_GLOBAL__N_19CustomMinEEEEE10hipError_tPvRmT0_T1_jT2_SS_T4_T3_P12ihipStream_tbEUlT_E_NS1_11comp_targetILNS1_3genE8ELNS1_11target_archE1030ELNS1_3gpuE2ELNS1_3repE0EEENS1_30default_config_static_selectorELNS0_4arch9wavefront6targetE0EEEvSR_, .Lfunc_end271-_ZN7rocprim17ROCPRIM_400000_NS6detail17trampoline_kernelINS0_14default_configENS1_32segmented_reduce_config_selectorIN3c108BFloat16EEEZNS1_21segmented_reduce_implIS3_PKS6_PS6_PKlS6_N6hipcub16HIPCUB_304000_NS6detail27convert_result_type_wrapperISA_SB_N2at6native12_GLOBAL__N_19CustomMinEEEEE10hipError_tPvRmT0_T1_jT2_SS_T4_T3_P12ihipStream_tbEUlT_E_NS1_11comp_targetILNS1_3genE8ELNS1_11target_archE1030ELNS1_3gpuE2ELNS1_3repE0EEENS1_30default_config_static_selectorELNS0_4arch9wavefront6targetE0EEEvSR_
                                        ; -- End function
	.set _ZN7rocprim17ROCPRIM_400000_NS6detail17trampoline_kernelINS0_14default_configENS1_32segmented_reduce_config_selectorIN3c108BFloat16EEEZNS1_21segmented_reduce_implIS3_PKS6_PS6_PKlS6_N6hipcub16HIPCUB_304000_NS6detail27convert_result_type_wrapperISA_SB_N2at6native12_GLOBAL__N_19CustomMinEEEEE10hipError_tPvRmT0_T1_jT2_SS_T4_T3_P12ihipStream_tbEUlT_E_NS1_11comp_targetILNS1_3genE8ELNS1_11target_archE1030ELNS1_3gpuE2ELNS1_3repE0EEENS1_30default_config_static_selectorELNS0_4arch9wavefront6targetE0EEEvSR_.num_vgpr, 0
	.set _ZN7rocprim17ROCPRIM_400000_NS6detail17trampoline_kernelINS0_14default_configENS1_32segmented_reduce_config_selectorIN3c108BFloat16EEEZNS1_21segmented_reduce_implIS3_PKS6_PS6_PKlS6_N6hipcub16HIPCUB_304000_NS6detail27convert_result_type_wrapperISA_SB_N2at6native12_GLOBAL__N_19CustomMinEEEEE10hipError_tPvRmT0_T1_jT2_SS_T4_T3_P12ihipStream_tbEUlT_E_NS1_11comp_targetILNS1_3genE8ELNS1_11target_archE1030ELNS1_3gpuE2ELNS1_3repE0EEENS1_30default_config_static_selectorELNS0_4arch9wavefront6targetE0EEEvSR_.num_agpr, 0
	.set _ZN7rocprim17ROCPRIM_400000_NS6detail17trampoline_kernelINS0_14default_configENS1_32segmented_reduce_config_selectorIN3c108BFloat16EEEZNS1_21segmented_reduce_implIS3_PKS6_PS6_PKlS6_N6hipcub16HIPCUB_304000_NS6detail27convert_result_type_wrapperISA_SB_N2at6native12_GLOBAL__N_19CustomMinEEEEE10hipError_tPvRmT0_T1_jT2_SS_T4_T3_P12ihipStream_tbEUlT_E_NS1_11comp_targetILNS1_3genE8ELNS1_11target_archE1030ELNS1_3gpuE2ELNS1_3repE0EEENS1_30default_config_static_selectorELNS0_4arch9wavefront6targetE0EEEvSR_.numbered_sgpr, 0
	.set _ZN7rocprim17ROCPRIM_400000_NS6detail17trampoline_kernelINS0_14default_configENS1_32segmented_reduce_config_selectorIN3c108BFloat16EEEZNS1_21segmented_reduce_implIS3_PKS6_PS6_PKlS6_N6hipcub16HIPCUB_304000_NS6detail27convert_result_type_wrapperISA_SB_N2at6native12_GLOBAL__N_19CustomMinEEEEE10hipError_tPvRmT0_T1_jT2_SS_T4_T3_P12ihipStream_tbEUlT_E_NS1_11comp_targetILNS1_3genE8ELNS1_11target_archE1030ELNS1_3gpuE2ELNS1_3repE0EEENS1_30default_config_static_selectorELNS0_4arch9wavefront6targetE0EEEvSR_.num_named_barrier, 0
	.set _ZN7rocprim17ROCPRIM_400000_NS6detail17trampoline_kernelINS0_14default_configENS1_32segmented_reduce_config_selectorIN3c108BFloat16EEEZNS1_21segmented_reduce_implIS3_PKS6_PS6_PKlS6_N6hipcub16HIPCUB_304000_NS6detail27convert_result_type_wrapperISA_SB_N2at6native12_GLOBAL__N_19CustomMinEEEEE10hipError_tPvRmT0_T1_jT2_SS_T4_T3_P12ihipStream_tbEUlT_E_NS1_11comp_targetILNS1_3genE8ELNS1_11target_archE1030ELNS1_3gpuE2ELNS1_3repE0EEENS1_30default_config_static_selectorELNS0_4arch9wavefront6targetE0EEEvSR_.private_seg_size, 0
	.set _ZN7rocprim17ROCPRIM_400000_NS6detail17trampoline_kernelINS0_14default_configENS1_32segmented_reduce_config_selectorIN3c108BFloat16EEEZNS1_21segmented_reduce_implIS3_PKS6_PS6_PKlS6_N6hipcub16HIPCUB_304000_NS6detail27convert_result_type_wrapperISA_SB_N2at6native12_GLOBAL__N_19CustomMinEEEEE10hipError_tPvRmT0_T1_jT2_SS_T4_T3_P12ihipStream_tbEUlT_E_NS1_11comp_targetILNS1_3genE8ELNS1_11target_archE1030ELNS1_3gpuE2ELNS1_3repE0EEENS1_30default_config_static_selectorELNS0_4arch9wavefront6targetE0EEEvSR_.uses_vcc, 0
	.set _ZN7rocprim17ROCPRIM_400000_NS6detail17trampoline_kernelINS0_14default_configENS1_32segmented_reduce_config_selectorIN3c108BFloat16EEEZNS1_21segmented_reduce_implIS3_PKS6_PS6_PKlS6_N6hipcub16HIPCUB_304000_NS6detail27convert_result_type_wrapperISA_SB_N2at6native12_GLOBAL__N_19CustomMinEEEEE10hipError_tPvRmT0_T1_jT2_SS_T4_T3_P12ihipStream_tbEUlT_E_NS1_11comp_targetILNS1_3genE8ELNS1_11target_archE1030ELNS1_3gpuE2ELNS1_3repE0EEENS1_30default_config_static_selectorELNS0_4arch9wavefront6targetE0EEEvSR_.uses_flat_scratch, 0
	.set _ZN7rocprim17ROCPRIM_400000_NS6detail17trampoline_kernelINS0_14default_configENS1_32segmented_reduce_config_selectorIN3c108BFloat16EEEZNS1_21segmented_reduce_implIS3_PKS6_PS6_PKlS6_N6hipcub16HIPCUB_304000_NS6detail27convert_result_type_wrapperISA_SB_N2at6native12_GLOBAL__N_19CustomMinEEEEE10hipError_tPvRmT0_T1_jT2_SS_T4_T3_P12ihipStream_tbEUlT_E_NS1_11comp_targetILNS1_3genE8ELNS1_11target_archE1030ELNS1_3gpuE2ELNS1_3repE0EEENS1_30default_config_static_selectorELNS0_4arch9wavefront6targetE0EEEvSR_.has_dyn_sized_stack, 0
	.set _ZN7rocprim17ROCPRIM_400000_NS6detail17trampoline_kernelINS0_14default_configENS1_32segmented_reduce_config_selectorIN3c108BFloat16EEEZNS1_21segmented_reduce_implIS3_PKS6_PS6_PKlS6_N6hipcub16HIPCUB_304000_NS6detail27convert_result_type_wrapperISA_SB_N2at6native12_GLOBAL__N_19CustomMinEEEEE10hipError_tPvRmT0_T1_jT2_SS_T4_T3_P12ihipStream_tbEUlT_E_NS1_11comp_targetILNS1_3genE8ELNS1_11target_archE1030ELNS1_3gpuE2ELNS1_3repE0EEENS1_30default_config_static_selectorELNS0_4arch9wavefront6targetE0EEEvSR_.has_recursion, 0
	.set _ZN7rocprim17ROCPRIM_400000_NS6detail17trampoline_kernelINS0_14default_configENS1_32segmented_reduce_config_selectorIN3c108BFloat16EEEZNS1_21segmented_reduce_implIS3_PKS6_PS6_PKlS6_N6hipcub16HIPCUB_304000_NS6detail27convert_result_type_wrapperISA_SB_N2at6native12_GLOBAL__N_19CustomMinEEEEE10hipError_tPvRmT0_T1_jT2_SS_T4_T3_P12ihipStream_tbEUlT_E_NS1_11comp_targetILNS1_3genE8ELNS1_11target_archE1030ELNS1_3gpuE2ELNS1_3repE0EEENS1_30default_config_static_selectorELNS0_4arch9wavefront6targetE0EEEvSR_.has_indirect_call, 0
	.section	.AMDGPU.csdata,"",@progbits
; Kernel info:
; codeLenInByte = 0
; TotalNumSgprs: 0
; NumVgprs: 0
; ScratchSize: 0
; MemoryBound: 0
; FloatMode: 240
; IeeeMode: 1
; LDSByteSize: 0 bytes/workgroup (compile time only)
; SGPRBlocks: 0
; VGPRBlocks: 0
; NumSGPRsForWavesPerEU: 1
; NumVGPRsForWavesPerEU: 1
; NamedBarCnt: 0
; Occupancy: 16
; WaveLimiterHint : 0
; COMPUTE_PGM_RSRC2:SCRATCH_EN: 0
; COMPUTE_PGM_RSRC2:USER_SGPR: 2
; COMPUTE_PGM_RSRC2:TRAP_HANDLER: 0
; COMPUTE_PGM_RSRC2:TGID_X_EN: 1
; COMPUTE_PGM_RSRC2:TGID_Y_EN: 0
; COMPUTE_PGM_RSRC2:TGID_Z_EN: 0
; COMPUTE_PGM_RSRC2:TIDIG_COMP_CNT: 0
	.section	.text._ZN7rocprim17ROCPRIM_400000_NS6detail17trampoline_kernelINS0_14default_configENS1_32segmented_reduce_config_selectorIN3c108BFloat16EEEZNS1_21segmented_reduce_implIS3_PKS6_PS6_PKlS6_N6hipcub16HIPCUB_304000_NS6detail27convert_result_type_wrapperISA_SB_N2at6native12_GLOBAL__N_110CustomProdEEEEE10hipError_tPvRmT0_T1_jT2_SS_T4_T3_P12ihipStream_tbEUlT_E_NS1_11comp_targetILNS1_3genE0ELNS1_11target_archE4294967295ELNS1_3gpuE0ELNS1_3repE0EEENS1_30default_config_static_selectorELNS0_4arch9wavefront6targetE0EEEvSR_,"axG",@progbits,_ZN7rocprim17ROCPRIM_400000_NS6detail17trampoline_kernelINS0_14default_configENS1_32segmented_reduce_config_selectorIN3c108BFloat16EEEZNS1_21segmented_reduce_implIS3_PKS6_PS6_PKlS6_N6hipcub16HIPCUB_304000_NS6detail27convert_result_type_wrapperISA_SB_N2at6native12_GLOBAL__N_110CustomProdEEEEE10hipError_tPvRmT0_T1_jT2_SS_T4_T3_P12ihipStream_tbEUlT_E_NS1_11comp_targetILNS1_3genE0ELNS1_11target_archE4294967295ELNS1_3gpuE0ELNS1_3repE0EEENS1_30default_config_static_selectorELNS0_4arch9wavefront6targetE0EEEvSR_,comdat
	.globl	_ZN7rocprim17ROCPRIM_400000_NS6detail17trampoline_kernelINS0_14default_configENS1_32segmented_reduce_config_selectorIN3c108BFloat16EEEZNS1_21segmented_reduce_implIS3_PKS6_PS6_PKlS6_N6hipcub16HIPCUB_304000_NS6detail27convert_result_type_wrapperISA_SB_N2at6native12_GLOBAL__N_110CustomProdEEEEE10hipError_tPvRmT0_T1_jT2_SS_T4_T3_P12ihipStream_tbEUlT_E_NS1_11comp_targetILNS1_3genE0ELNS1_11target_archE4294967295ELNS1_3gpuE0ELNS1_3repE0EEENS1_30default_config_static_selectorELNS0_4arch9wavefront6targetE0EEEvSR_ ; -- Begin function _ZN7rocprim17ROCPRIM_400000_NS6detail17trampoline_kernelINS0_14default_configENS1_32segmented_reduce_config_selectorIN3c108BFloat16EEEZNS1_21segmented_reduce_implIS3_PKS6_PS6_PKlS6_N6hipcub16HIPCUB_304000_NS6detail27convert_result_type_wrapperISA_SB_N2at6native12_GLOBAL__N_110CustomProdEEEEE10hipError_tPvRmT0_T1_jT2_SS_T4_T3_P12ihipStream_tbEUlT_E_NS1_11comp_targetILNS1_3genE0ELNS1_11target_archE4294967295ELNS1_3gpuE0ELNS1_3repE0EEENS1_30default_config_static_selectorELNS0_4arch9wavefront6targetE0EEEvSR_
	.p2align	8
	.type	_ZN7rocprim17ROCPRIM_400000_NS6detail17trampoline_kernelINS0_14default_configENS1_32segmented_reduce_config_selectorIN3c108BFloat16EEEZNS1_21segmented_reduce_implIS3_PKS6_PS6_PKlS6_N6hipcub16HIPCUB_304000_NS6detail27convert_result_type_wrapperISA_SB_N2at6native12_GLOBAL__N_110CustomProdEEEEE10hipError_tPvRmT0_T1_jT2_SS_T4_T3_P12ihipStream_tbEUlT_E_NS1_11comp_targetILNS1_3genE0ELNS1_11target_archE4294967295ELNS1_3gpuE0ELNS1_3repE0EEENS1_30default_config_static_selectorELNS0_4arch9wavefront6targetE0EEEvSR_,@function
_ZN7rocprim17ROCPRIM_400000_NS6detail17trampoline_kernelINS0_14default_configENS1_32segmented_reduce_config_selectorIN3c108BFloat16EEEZNS1_21segmented_reduce_implIS3_PKS6_PS6_PKlS6_N6hipcub16HIPCUB_304000_NS6detail27convert_result_type_wrapperISA_SB_N2at6native12_GLOBAL__N_110CustomProdEEEEE10hipError_tPvRmT0_T1_jT2_SS_T4_T3_P12ihipStream_tbEUlT_E_NS1_11comp_targetILNS1_3genE0ELNS1_11target_archE4294967295ELNS1_3gpuE0ELNS1_3repE0EEENS1_30default_config_static_selectorELNS0_4arch9wavefront6targetE0EEEvSR_: ; @_ZN7rocprim17ROCPRIM_400000_NS6detail17trampoline_kernelINS0_14default_configENS1_32segmented_reduce_config_selectorIN3c108BFloat16EEEZNS1_21segmented_reduce_implIS3_PKS6_PS6_PKlS6_N6hipcub16HIPCUB_304000_NS6detail27convert_result_type_wrapperISA_SB_N2at6native12_GLOBAL__N_110CustomProdEEEEE10hipError_tPvRmT0_T1_jT2_SS_T4_T3_P12ihipStream_tbEUlT_E_NS1_11comp_targetILNS1_3genE0ELNS1_11target_archE4294967295ELNS1_3gpuE0ELNS1_3repE0EEENS1_30default_config_static_selectorELNS0_4arch9wavefront6targetE0EEEvSR_
; %bb.0:
	v_mov_b32_e32 v1, 0
	s_clause 0x1
	s_load_b256 s[16:23], s[0:1], 0x0
	s_load_b64 s[2:3], s[0:1], 0x20
	s_bfe_u32 s4, ttmp6, 0x4000c
	s_and_b32 s5, ttmp6, 15
	s_add_co_i32 s4, s4, 1
	global_load_u16 v6, v1, s[0:1] offset:42
	s_mul_i32 s4, ttmp9, s4
	s_getreg_b32 s6, hwreg(HW_REG_IB_STS2, 6, 4)
	s_add_co_i32 s7, s5, s4
	s_mov_b32 s15, 0
	s_wait_kmcnt 0x0
	s_lshl_b64 s[0:1], s[20:21], 3
	s_cmp_eq_u32 s6, 0
	s_add_nc_u64 s[4:5], s[22:23], s[0:1]
	s_cselect_b32 s22, ttmp9, s7
	s_add_nc_u64 s[0:1], s[2:3], s[0:1]
	s_load_b64 s[26:27], s[4:5], s22 offset:0x0 scale_offset
	s_load_b64 s[24:25], s[0:1], s22 offset:0x0 scale_offset
	s_mov_b32 s23, 0
	s_wait_xcnt 0x0
	s_mov_b32 s1, -1
	s_wait_kmcnt 0x0
	v_cmp_gt_i64_e64 s0, s[24:25], s[26:27]
	s_and_b32 vcc_lo, exec_lo, s0
	v_cmp_eq_u32_e64 s0, 0, v0
	s_cbranch_vccz .LBB272_4
; %bb.1:
	s_and_not1_b32 vcc_lo, exec_lo, s1
	s_cbranch_vccz .LBB272_5
.LBB272_2:
	s_and_saveexec_b32 s0, s15
	s_cbranch_execnz .LBB272_116
.LBB272_3:
	s_endpgm
.LBB272_4:
	s_and_b32 s15, s0, exec_lo
	s_cbranch_execnz .LBB272_2
.LBB272_5:
	s_add_nc_u64 s[0:1], s[26:27], 0x1000
	s_delay_alu instid0(SALU_CYCLE_1)
	v_cmp_le_i64_e64 s2, s[0:1], s[24:25]
	s_and_b32 vcc_lo, exec_lo, s2
	s_cbranch_vccz .LBB272_62
; %bb.6:
	s_lshl_b64 s[2:3], s[26:27], 1
	s_add_nc_u64 s[4:5], s[26:27], 0x2000
	s_add_nc_u64 s[2:3], s[16:17], s[2:3]
	v_cmp_ge_i64_e64 s4, s[4:5], s[24:25]
	s_clause 0xf
	global_load_u16 v19, v0, s[2:3] scale_offset
	global_load_u16 v18, v0, s[2:3] offset:512 scale_offset
	global_load_u16 v17, v0, s[2:3] offset:1024 scale_offset
	;; [unrolled: 1-line block ×15, first 2 shown]
	s_wait_loadcnt 0xe
	v_dual_lshlrev_b32 v2, 16, v19 :: v_dual_lshlrev_b32 v3, 16, v18
	s_wait_loadcnt 0xd
	s_delay_alu instid0(VALU_DEP_1) | instskip(NEXT) | instid1(VALU_DEP_1)
	v_dual_lshlrev_b32 v20, 16, v17 :: v_dual_mul_f32 v2, v3, v2
	v_bfe_u32 v3, v2, 16, 1
	v_cmp_o_f32_e32 vcc_lo, v2, v2
	s_delay_alu instid0(VALU_DEP_2) | instskip(NEXT) | instid1(VALU_DEP_1)
	v_add3_u32 v3, v2, v3, 0x7fff
	v_and_b32_e32 v3, 0xffff0000, v3
	s_delay_alu instid0(VALU_DEP_1) | instskip(NEXT) | instid1(VALU_DEP_1)
	v_cndmask_b32_e32 v2, 0x7fc00000, v3, vcc_lo
	v_mul_f32_e32 v2, v2, v20
	s_wait_loadcnt 0xc
	v_lshlrev_b32_e32 v20, 16, v16
	s_delay_alu instid0(VALU_DEP_2) | instskip(SKIP_1) | instid1(VALU_DEP_2)
	v_bfe_u32 v3, v2, 16, 1
	v_cmp_o_f32_e32 vcc_lo, v2, v2
	v_add3_u32 v3, v2, v3, 0x7fff
	s_delay_alu instid0(VALU_DEP_1) | instskip(NEXT) | instid1(VALU_DEP_1)
	v_and_b32_e32 v3, 0xffff0000, v3
	v_cndmask_b32_e32 v2, 0x7fc00000, v3, vcc_lo
	s_wait_loadcnt 0xb
	s_delay_alu instid0(VALU_DEP_1) | instskip(NEXT) | instid1(VALU_DEP_1)
	v_dual_mul_f32 v2, v2, v20 :: v_dual_lshlrev_b32 v20, 16, v15
	v_bfe_u32 v3, v2, 16, 1
	v_cmp_o_f32_e32 vcc_lo, v2, v2
	s_delay_alu instid0(VALU_DEP_2) | instskip(NEXT) | instid1(VALU_DEP_1)
	v_add3_u32 v3, v2, v3, 0x7fff
	v_and_b32_e32 v3, 0xffff0000, v3
	s_delay_alu instid0(VALU_DEP_1) | instskip(SKIP_1) | instid1(VALU_DEP_1)
	v_cndmask_b32_e32 v2, 0x7fc00000, v3, vcc_lo
	s_wait_loadcnt 0xa
	v_dual_mul_f32 v2, v2, v20 :: v_dual_lshlrev_b32 v20, 16, v14
	s_delay_alu instid0(VALU_DEP_1) | instskip(SKIP_1) | instid1(VALU_DEP_2)
	v_bfe_u32 v3, v2, 16, 1
	v_cmp_o_f32_e32 vcc_lo, v2, v2
	v_add3_u32 v3, v2, v3, 0x7fff
	s_delay_alu instid0(VALU_DEP_1) | instskip(NEXT) | instid1(VALU_DEP_1)
	v_and_b32_e32 v3, 0xffff0000, v3
	v_cndmask_b32_e32 v2, 0x7fc00000, v3, vcc_lo
	s_wait_loadcnt 0x9
	s_delay_alu instid0(VALU_DEP_1) | instskip(NEXT) | instid1(VALU_DEP_1)
	v_dual_mul_f32 v2, v2, v20 :: v_dual_lshlrev_b32 v20, 16, v13
	v_bfe_u32 v3, v2, 16, 1
	v_cmp_o_f32_e32 vcc_lo, v2, v2
	s_delay_alu instid0(VALU_DEP_2) | instskip(NEXT) | instid1(VALU_DEP_1)
	v_add3_u32 v3, v2, v3, 0x7fff
	v_and_b32_e32 v3, 0xffff0000, v3
	s_delay_alu instid0(VALU_DEP_1) | instskip(NEXT) | instid1(VALU_DEP_1)
	v_cndmask_b32_e32 v2, 0x7fc00000, v3, vcc_lo
	v_mul_f32_e32 v2, v2, v20
	s_wait_loadcnt 0x8
	v_lshlrev_b32_e32 v20, 16, v12
	s_delay_alu instid0(VALU_DEP_2) | instskip(SKIP_1) | instid1(VALU_DEP_2)
	v_bfe_u32 v3, v2, 16, 1
	v_cmp_o_f32_e32 vcc_lo, v2, v2
	v_add3_u32 v3, v2, v3, 0x7fff
	s_delay_alu instid0(VALU_DEP_1) | instskip(NEXT) | instid1(VALU_DEP_1)
	v_and_b32_e32 v3, 0xffff0000, v3
	v_cndmask_b32_e32 v2, 0x7fc00000, v3, vcc_lo
	s_wait_loadcnt 0x7
	s_delay_alu instid0(VALU_DEP_1) | instskip(NEXT) | instid1(VALU_DEP_1)
	v_dual_mul_f32 v2, v2, v20 :: v_dual_lshlrev_b32 v20, 16, v11
	v_bfe_u32 v3, v2, 16, 1
	v_cmp_o_f32_e32 vcc_lo, v2, v2
	s_delay_alu instid0(VALU_DEP_2) | instskip(NEXT) | instid1(VALU_DEP_1)
	v_add3_u32 v3, v2, v3, 0x7fff
	v_and_b32_e32 v3, 0xffff0000, v3
	s_delay_alu instid0(VALU_DEP_1) | instskip(SKIP_1) | instid1(VALU_DEP_1)
	v_cndmask_b32_e32 v2, 0x7fc00000, v3, vcc_lo
	s_wait_loadcnt 0x6
	v_dual_mul_f32 v2, v2, v20 :: v_dual_lshlrev_b32 v20, 16, v10
	s_delay_alu instid0(VALU_DEP_1) | instskip(SKIP_1) | instid1(VALU_DEP_2)
	v_bfe_u32 v3, v2, 16, 1
	v_cmp_o_f32_e32 vcc_lo, v2, v2
	v_add3_u32 v3, v2, v3, 0x7fff
	s_delay_alu instid0(VALU_DEP_1) | instskip(NEXT) | instid1(VALU_DEP_1)
	v_and_b32_e32 v3, 0xffff0000, v3
	v_cndmask_b32_e32 v2, 0x7fc00000, v3, vcc_lo
	s_wait_loadcnt 0x5
	s_delay_alu instid0(VALU_DEP_1) | instskip(NEXT) | instid1(VALU_DEP_1)
	v_dual_mul_f32 v2, v2, v20 :: v_dual_lshlrev_b32 v20, 16, v9
	v_bfe_u32 v3, v2, 16, 1
	v_cmp_o_f32_e32 vcc_lo, v2, v2
	s_delay_alu instid0(VALU_DEP_2) | instskip(NEXT) | instid1(VALU_DEP_1)
	v_add3_u32 v3, v2, v3, 0x7fff
	v_and_b32_e32 v3, 0xffff0000, v3
	s_delay_alu instid0(VALU_DEP_1) | instskip(NEXT) | instid1(VALU_DEP_1)
	v_cndmask_b32_e32 v2, 0x7fc00000, v3, vcc_lo
	v_mul_f32_e32 v2, v2, v20
	s_wait_loadcnt 0x4
	v_lshlrev_b32_e32 v20, 16, v8
	s_delay_alu instid0(VALU_DEP_2) | instskip(SKIP_1) | instid1(VALU_DEP_2)
	v_bfe_u32 v3, v2, 16, 1
	v_cmp_o_f32_e32 vcc_lo, v2, v2
	v_add3_u32 v3, v2, v3, 0x7fff
	s_delay_alu instid0(VALU_DEP_1) | instskip(NEXT) | instid1(VALU_DEP_1)
	v_and_b32_e32 v3, 0xffff0000, v3
	v_cndmask_b32_e32 v2, 0x7fc00000, v3, vcc_lo
	s_wait_loadcnt 0x3
	s_delay_alu instid0(VALU_DEP_1) | instskip(NEXT) | instid1(VALU_DEP_1)
	v_dual_mul_f32 v2, v2, v20 :: v_dual_lshlrev_b32 v20, 16, v7
	v_bfe_u32 v3, v2, 16, 1
	v_cmp_o_f32_e32 vcc_lo, v2, v2
	s_delay_alu instid0(VALU_DEP_2) | instskip(NEXT) | instid1(VALU_DEP_1)
	v_add3_u32 v3, v2, v3, 0x7fff
	v_and_b32_e32 v3, 0xffff0000, v3
	s_delay_alu instid0(VALU_DEP_1) | instskip(SKIP_1) | instid1(VALU_DEP_1)
	v_cndmask_b32_e32 v2, 0x7fc00000, v3, vcc_lo
	s_wait_loadcnt 0x2
	v_dual_mul_f32 v2, v2, v20 :: v_dual_lshlrev_b32 v20, 16, v5
	s_delay_alu instid0(VALU_DEP_1) | instskip(SKIP_1) | instid1(VALU_DEP_2)
	v_bfe_u32 v3, v2, 16, 1
	v_cmp_o_f32_e32 vcc_lo, v2, v2
	v_add3_u32 v3, v2, v3, 0x7fff
	s_delay_alu instid0(VALU_DEP_1) | instskip(NEXT) | instid1(VALU_DEP_1)
	v_and_b32_e32 v3, 0xffff0000, v3
	v_cndmask_b32_e32 v2, 0x7fc00000, v3, vcc_lo
	s_wait_loadcnt 0x1
	s_delay_alu instid0(VALU_DEP_1) | instskip(NEXT) | instid1(VALU_DEP_1)
	v_dual_mul_f32 v2, v2, v20 :: v_dual_lshlrev_b32 v20, 16, v1
	v_bfe_u32 v3, v2, 16, 1
	v_cmp_o_f32_e32 vcc_lo, v2, v2
	s_delay_alu instid0(VALU_DEP_2) | instskip(NEXT) | instid1(VALU_DEP_1)
	v_add3_u32 v3, v2, v3, 0x7fff
	v_and_b32_e32 v3, 0xffff0000, v3
	s_delay_alu instid0(VALU_DEP_1) | instskip(NEXT) | instid1(VALU_DEP_1)
	v_cndmask_b32_e32 v2, 0x7fc00000, v3, vcc_lo
	v_mul_f32_e32 v2, v2, v20
	s_wait_loadcnt 0x0
	v_lshlrev_b32_e32 v20, 16, v4
	s_delay_alu instid0(VALU_DEP_2) | instskip(SKIP_1) | instid1(VALU_DEP_2)
	v_bfe_u32 v3, v2, 16, 1
	v_cmp_o_f32_e32 vcc_lo, v2, v2
	v_add3_u32 v3, v2, v3, 0x7fff
	s_delay_alu instid0(VALU_DEP_1) | instskip(NEXT) | instid1(VALU_DEP_1)
	v_and_b32_e32 v3, 0xffff0000, v3
	v_cndmask_b32_e32 v2, 0x7fc00000, v3, vcc_lo
	s_delay_alu instid0(VALU_DEP_1) | instskip(NEXT) | instid1(VALU_DEP_1)
	v_mul_f32_e32 v2, v2, v20
	v_bfe_u32 v3, v2, 16, 1
	v_cmp_o_f32_e32 vcc_lo, v2, v2
	s_delay_alu instid0(VALU_DEP_2) | instskip(NEXT) | instid1(VALU_DEP_1)
	v_add3_u32 v3, v2, v3, 0x7fff
	v_dual_mov_b32 v3, 0 :: v_dual_lshrrev_b32 v20, 16, v3
	s_delay_alu instid0(VALU_DEP_1)
	v_cndmask_b32_e32 v20, 0x7fc0, v20, vcc_lo
	s_and_b32 vcc_lo, exec_lo, s4
	s_cbranch_vccnz .LBB272_9
; %bb.7:
	v_lshlrev_b32_e32 v2, 1, v0
	s_delay_alu instid0(VALU_DEP_1) | instskip(NEXT) | instid1(VALU_DEP_1)
	v_add_nc_u64_e32 v[2:3], s[2:3], v[2:3]
	v_add_nc_u64_e32 v[2:3], 0x2000, v[2:3]
.LBB272_8:                              ; =>This Inner Loop Header: Depth=1
	s_clause 0xc
	global_load_u16 v19, v[2:3], off
	global_load_u16 v18, v[2:3], off offset:512
	global_load_u16 v17, v[2:3], off offset:1024
	;; [unrolled: 1-line block ×12, first 2 shown]
	v_lshlrev_b32_e32 v1, 16, v20
	global_load_u16 v5, v[2:3], off offset:6656
	s_mov_b64 s[2:3], s[0:1]
	s_add_nc_u64 s[0:1], s[0:1], 0x2000
	s_delay_alu instid0(SALU_CYCLE_1) | instskip(SKIP_4) | instid1(VALU_DEP_2)
	v_cmp_lt_i64_e64 s0, s[0:1], s[24:25]
	s_wait_loadcnt 0xc
	v_dual_lshlrev_b32 v4, 16, v19 :: v_dual_lshlrev_b32 v20, 16, v18
	s_wait_loadcnt 0xa
	v_dual_lshlrev_b32 v21, 16, v17 :: v_dual_lshlrev_b32 v22, 16, v16
	v_mul_f32_e32 v1, v4, v1
	s_delay_alu instid0(VALU_DEP_1) | instskip(SKIP_1) | instid1(VALU_DEP_2)
	v_bfe_u32 v4, v1, 16, 1
	v_cmp_o_f32_e32 vcc_lo, v1, v1
	v_add3_u32 v4, v1, v4, 0x7fff
	global_load_u16 v1, v[2:3], off offset:7168
	v_and_b32_e32 v4, 0xffff0000, v4
	s_delay_alu instid0(VALU_DEP_1) | instskip(NEXT) | instid1(VALU_DEP_1)
	v_cndmask_b32_e32 v4, 0x7fc00000, v4, vcc_lo
	v_mul_f32_e32 v4, v4, v20
	s_delay_alu instid0(VALU_DEP_1) | instskip(SKIP_1) | instid1(VALU_DEP_2)
	v_bfe_u32 v20, v4, 16, 1
	v_cmp_o_f32_e32 vcc_lo, v4, v4
	v_add3_u32 v20, v4, v20, 0x7fff
	global_load_u16 v4, v[2:3], off offset:7680
	s_wait_xcnt 0x0
	v_add_nc_u64_e32 v[2:3], 0x2000, v[2:3]
	v_and_b32_e32 v20, 0xffff0000, v20
	s_delay_alu instid0(VALU_DEP_1) | instskip(NEXT) | instid1(VALU_DEP_1)
	v_cndmask_b32_e32 v20, 0x7fc00000, v20, vcc_lo
	v_mul_f32_e32 v20, v20, v21
	s_delay_alu instid0(VALU_DEP_1) | instskip(SKIP_1) | instid1(VALU_DEP_2)
	v_bfe_u32 v21, v20, 16, 1
	v_cmp_o_f32_e32 vcc_lo, v20, v20
	v_add3_u32 v21, v20, v21, 0x7fff
	s_delay_alu instid0(VALU_DEP_1) | instskip(NEXT) | instid1(VALU_DEP_1)
	v_and_b32_e32 v21, 0xffff0000, v21
	v_cndmask_b32_e32 v20, 0x7fc00000, v21, vcc_lo
	s_wait_loadcnt 0xb
	s_delay_alu instid0(VALU_DEP_1) | instskip(NEXT) | instid1(VALU_DEP_1)
	v_dual_mul_f32 v20, v20, v22 :: v_dual_lshlrev_b32 v22, 16, v15
	v_bfe_u32 v21, v20, 16, 1
	v_cmp_o_f32_e32 vcc_lo, v20, v20
	s_delay_alu instid0(VALU_DEP_2) | instskip(NEXT) | instid1(VALU_DEP_1)
	v_add3_u32 v21, v20, v21, 0x7fff
	v_and_b32_e32 v21, 0xffff0000, v21
	s_delay_alu instid0(VALU_DEP_1) | instskip(NEXT) | instid1(VALU_DEP_1)
	v_cndmask_b32_e32 v20, 0x7fc00000, v21, vcc_lo
	v_mul_f32_e32 v20, v20, v22
	s_wait_loadcnt 0xa
	v_lshlrev_b32_e32 v22, 16, v14
	s_delay_alu instid0(VALU_DEP_2) | instskip(SKIP_1) | instid1(VALU_DEP_2)
	v_bfe_u32 v21, v20, 16, 1
	v_cmp_o_f32_e32 vcc_lo, v20, v20
	v_add3_u32 v21, v20, v21, 0x7fff
	s_delay_alu instid0(VALU_DEP_1) | instskip(NEXT) | instid1(VALU_DEP_1)
	v_and_b32_e32 v21, 0xffff0000, v21
	v_cndmask_b32_e32 v20, 0x7fc00000, v21, vcc_lo
	s_wait_loadcnt 0x9
	s_delay_alu instid0(VALU_DEP_1) | instskip(NEXT) | instid1(VALU_DEP_1)
	v_dual_mul_f32 v20, v20, v22 :: v_dual_lshlrev_b32 v22, 16, v13
	v_bfe_u32 v21, v20, 16, 1
	v_cmp_o_f32_e32 vcc_lo, v20, v20
	s_delay_alu instid0(VALU_DEP_2) | instskip(NEXT) | instid1(VALU_DEP_1)
	v_add3_u32 v21, v20, v21, 0x7fff
	v_and_b32_e32 v21, 0xffff0000, v21
	s_delay_alu instid0(VALU_DEP_1) | instskip(SKIP_1) | instid1(VALU_DEP_1)
	v_cndmask_b32_e32 v20, 0x7fc00000, v21, vcc_lo
	s_wait_loadcnt 0x8
	v_dual_mul_f32 v20, v20, v22 :: v_dual_lshlrev_b32 v22, 16, v12
	s_delay_alu instid0(VALU_DEP_1) | instskip(SKIP_1) | instid1(VALU_DEP_2)
	v_bfe_u32 v21, v20, 16, 1
	v_cmp_o_f32_e32 vcc_lo, v20, v20
	v_add3_u32 v21, v20, v21, 0x7fff
	s_delay_alu instid0(VALU_DEP_1) | instskip(NEXT) | instid1(VALU_DEP_1)
	v_and_b32_e32 v21, 0xffff0000, v21
	v_cndmask_b32_e32 v20, 0x7fc00000, v21, vcc_lo
	s_wait_loadcnt 0x7
	s_delay_alu instid0(VALU_DEP_1) | instskip(NEXT) | instid1(VALU_DEP_1)
	v_dual_mul_f32 v20, v20, v22 :: v_dual_lshlrev_b32 v22, 16, v11
	v_bfe_u32 v21, v20, 16, 1
	v_cmp_o_f32_e32 vcc_lo, v20, v20
	s_delay_alu instid0(VALU_DEP_2) | instskip(NEXT) | instid1(VALU_DEP_1)
	v_add3_u32 v21, v20, v21, 0x7fff
	v_and_b32_e32 v21, 0xffff0000, v21
	s_delay_alu instid0(VALU_DEP_1) | instskip(NEXT) | instid1(VALU_DEP_1)
	v_cndmask_b32_e32 v20, 0x7fc00000, v21, vcc_lo
	v_mul_f32_e32 v20, v20, v22
	s_wait_loadcnt 0x6
	v_lshlrev_b32_e32 v22, 16, v10
	s_delay_alu instid0(VALU_DEP_2) | instskip(SKIP_1) | instid1(VALU_DEP_2)
	v_bfe_u32 v21, v20, 16, 1
	v_cmp_o_f32_e32 vcc_lo, v20, v20
	v_add3_u32 v21, v20, v21, 0x7fff
	s_delay_alu instid0(VALU_DEP_1) | instskip(NEXT) | instid1(VALU_DEP_1)
	v_and_b32_e32 v21, 0xffff0000, v21
	v_cndmask_b32_e32 v20, 0x7fc00000, v21, vcc_lo
	s_wait_loadcnt 0x5
	s_delay_alu instid0(VALU_DEP_1) | instskip(NEXT) | instid1(VALU_DEP_1)
	v_dual_mul_f32 v20, v20, v22 :: v_dual_lshlrev_b32 v22, 16, v9
	v_bfe_u32 v21, v20, 16, 1
	v_cmp_o_f32_e32 vcc_lo, v20, v20
	s_delay_alu instid0(VALU_DEP_2) | instskip(NEXT) | instid1(VALU_DEP_1)
	v_add3_u32 v21, v20, v21, 0x7fff
	v_and_b32_e32 v21, 0xffff0000, v21
	s_delay_alu instid0(VALU_DEP_1) | instskip(SKIP_1) | instid1(VALU_DEP_1)
	v_cndmask_b32_e32 v20, 0x7fc00000, v21, vcc_lo
	s_wait_loadcnt 0x4
	v_dual_mul_f32 v20, v20, v22 :: v_dual_lshlrev_b32 v22, 16, v8
	s_delay_alu instid0(VALU_DEP_1) | instskip(SKIP_1) | instid1(VALU_DEP_2)
	v_bfe_u32 v21, v20, 16, 1
	v_cmp_o_f32_e32 vcc_lo, v20, v20
	v_add3_u32 v21, v20, v21, 0x7fff
	s_delay_alu instid0(VALU_DEP_1) | instskip(NEXT) | instid1(VALU_DEP_1)
	v_and_b32_e32 v21, 0xffff0000, v21
	v_cndmask_b32_e32 v20, 0x7fc00000, v21, vcc_lo
	s_wait_loadcnt 0x3
	s_delay_alu instid0(VALU_DEP_1) | instskip(NEXT) | instid1(VALU_DEP_1)
	v_dual_mul_f32 v20, v20, v22 :: v_dual_lshlrev_b32 v22, 16, v7
	v_bfe_u32 v21, v20, 16, 1
	v_cmp_o_f32_e32 vcc_lo, v20, v20
	s_delay_alu instid0(VALU_DEP_2) | instskip(NEXT) | instid1(VALU_DEP_1)
	v_add3_u32 v21, v20, v21, 0x7fff
	v_and_b32_e32 v21, 0xffff0000, v21
	s_delay_alu instid0(VALU_DEP_1) | instskip(SKIP_1) | instid1(VALU_DEP_1)
	v_cndmask_b32_e32 v20, 0x7fc00000, v21, vcc_lo
	s_wait_loadcnt 0x2
	v_dual_mul_f32 v20, v20, v22 :: v_dual_lshlrev_b32 v22, 16, v5
	s_delay_alu instid0(VALU_DEP_1) | instskip(SKIP_1) | instid1(VALU_DEP_2)
	v_bfe_u32 v21, v20, 16, 1
	v_cmp_o_f32_e32 vcc_lo, v20, v20
	v_add3_u32 v21, v20, v21, 0x7fff
	s_delay_alu instid0(VALU_DEP_1) | instskip(NEXT) | instid1(VALU_DEP_1)
	v_and_b32_e32 v21, 0xffff0000, v21
	v_cndmask_b32_e32 v20, 0x7fc00000, v21, vcc_lo
	s_delay_alu instid0(VALU_DEP_1) | instskip(NEXT) | instid1(VALU_DEP_1)
	v_mul_f32_e32 v20, v20, v22
	v_bfe_u32 v21, v20, 16, 1
	v_cmp_o_f32_e32 vcc_lo, v20, v20
	s_wait_loadcnt 0x1
	v_lshlrev_b32_e32 v22, 16, v1
	s_delay_alu instid0(VALU_DEP_3) | instskip(NEXT) | instid1(VALU_DEP_1)
	v_add3_u32 v21, v20, v21, 0x7fff
	v_and_b32_e32 v21, 0xffff0000, v21
	s_delay_alu instid0(VALU_DEP_1) | instskip(NEXT) | instid1(VALU_DEP_1)
	v_cndmask_b32_e32 v20, 0x7fc00000, v21, vcc_lo
	v_mul_f32_e32 v20, v20, v22
	s_delay_alu instid0(VALU_DEP_1) | instskip(SKIP_3) | instid1(VALU_DEP_3)
	v_bfe_u32 v21, v20, 16, 1
	v_cmp_o_f32_e32 vcc_lo, v20, v20
	s_wait_loadcnt 0x0
	v_lshlrev_b32_e32 v22, 16, v4
	v_add3_u32 v21, v20, v21, 0x7fff
	s_delay_alu instid0(VALU_DEP_1) | instskip(NEXT) | instid1(VALU_DEP_1)
	v_and_b32_e32 v21, 0xffff0000, v21
	v_cndmask_b32_e32 v20, 0x7fc00000, v21, vcc_lo
	s_and_b32 vcc_lo, exec_lo, s0
	s_delay_alu instid0(VALU_DEP_1) | instskip(NEXT) | instid1(VALU_DEP_1)
	v_mul_f32_e32 v20, v20, v22
	v_bfe_u32 v21, v20, 16, 1
	v_cmp_o_f32_e64 s0, v20, v20
	s_delay_alu instid0(VALU_DEP_2) | instskip(NEXT) | instid1(VALU_DEP_1)
	v_add3_u32 v21, v20, v21, 0x7fff
	v_lshrrev_b32_e32 v21, 16, v21
	s_delay_alu instid0(VALU_DEP_1)
	v_cndmask_b32_e64 v20, 0x7fc0, v21, s0
	s_add_nc_u64 s[0:1], s[2:3], 0x1000
	s_cbranch_vccnz .LBB272_8
.LBB272_9:
	s_sub_co_i32 s30, s24, s0
	s_lshl_b64 s[0:1], s[0:1], 1
	v_cmp_gt_u32_e64 s14, s30, v0
	s_add_nc_u64 s[28:29], s[16:17], s[0:1]
	s_and_saveexec_b32 s0, s14
	s_cbranch_execz .LBB272_11
; %bb.10:
	global_load_u16 v19, v0, s[28:29] scale_offset
.LBB272_11:
	s_wait_xcnt 0x0
	s_or_b32 exec_lo, exec_lo, s0
	v_or_b32_e32 v2, 0x100, v0
	s_delay_alu instid0(VALU_DEP_1)
	v_cmp_gt_u32_e64 s13, s30, v2
	s_and_saveexec_b32 s0, s13
	s_cbranch_execz .LBB272_13
; %bb.12:
	global_load_u16 v18, v0, s[28:29] offset:512 scale_offset
.LBB272_13:
	s_wait_xcnt 0x0
	s_or_b32 exec_lo, exec_lo, s0
	v_or_b32_e32 v2, 0x200, v0
	s_delay_alu instid0(VALU_DEP_1)
	v_cmp_gt_u32_e64 s12, s30, v2
	s_and_saveexec_b32 s0, s12
	s_cbranch_execz .LBB272_15
; %bb.14:
	global_load_u16 v17, v0, s[28:29] offset:1024 scale_offset
.LBB272_15:
	;; [unrolled: 10-line block ×14, first 2 shown]
	s_wait_xcnt 0x0
	s_or_b32 exec_lo, exec_lo, s31
	v_or_b32_e32 v2, 0xf00, v0
	s_delay_alu instid0(VALU_DEP_1)
	v_cmp_gt_u32_e32 vcc_lo, s30, v2
	s_and_saveexec_b32 s30, vcc_lo
	s_cbranch_execnz .LBB272_91
; %bb.40:
	s_or_b32 exec_lo, exec_lo, s30
	s_and_saveexec_b32 s28, s14
	s_cbranch_execnz .LBB272_92
.LBB272_41:
	s_or_b32 exec_lo, exec_lo, s28
	s_and_saveexec_b32 s14, s13
	s_cbranch_execnz .LBB272_93
.LBB272_42:
	s_or_b32 exec_lo, exec_lo, s14
	s_and_saveexec_b32 s13, s12
	s_cbranch_execnz .LBB272_94
.LBB272_43:
	s_or_b32 exec_lo, exec_lo, s13
	s_and_saveexec_b32 s12, s11
	s_cbranch_execnz .LBB272_95
.LBB272_44:
	s_or_b32 exec_lo, exec_lo, s12
	s_and_saveexec_b32 s11, s10
	s_cbranch_execnz .LBB272_96
.LBB272_45:
	s_or_b32 exec_lo, exec_lo, s11
	s_and_saveexec_b32 s10, s9
	s_cbranch_execnz .LBB272_97
.LBB272_46:
	s_or_b32 exec_lo, exec_lo, s10
	s_and_saveexec_b32 s9, s8
	s_cbranch_execnz .LBB272_98
.LBB272_47:
	s_or_b32 exec_lo, exec_lo, s9
	s_and_saveexec_b32 s8, s7
	s_cbranch_execnz .LBB272_99
.LBB272_48:
	s_or_b32 exec_lo, exec_lo, s8
	s_and_saveexec_b32 s7, s6
	s_cbranch_execnz .LBB272_100
.LBB272_49:
	s_or_b32 exec_lo, exec_lo, s7
	s_and_saveexec_b32 s6, s5
	s_cbranch_execnz .LBB272_101
.LBB272_50:
	s_or_b32 exec_lo, exec_lo, s6
	s_and_saveexec_b32 s5, s4
	s_cbranch_execnz .LBB272_102
.LBB272_51:
	s_or_b32 exec_lo, exec_lo, s5
	s_and_saveexec_b32 s4, s3
	s_cbranch_execnz .LBB272_103
.LBB272_52:
	s_or_b32 exec_lo, exec_lo, s4
	s_and_saveexec_b32 s3, s2
	s_cbranch_execnz .LBB272_104
.LBB272_53:
	s_or_b32 exec_lo, exec_lo, s3
	s_and_saveexec_b32 s2, s1
	s_cbranch_execnz .LBB272_105
.LBB272_54:
	s_or_b32 exec_lo, exec_lo, s2
	s_and_saveexec_b32 s1, s0
	s_cbranch_execnz .LBB272_106
.LBB272_55:
	s_or_b32 exec_lo, exec_lo, s1
	s_and_saveexec_b32 s0, vcc_lo
	s_cbranch_execz .LBB272_57
.LBB272_56:
	s_wait_loadcnt 0x0
	v_lshlrev_b32_e32 v1, 16, v4
	v_lshlrev_b32_e32 v2, 16, v20
	s_delay_alu instid0(VALU_DEP_1) | instskip(NEXT) | instid1(VALU_DEP_1)
	v_mul_f32_e32 v1, v2, v1
	v_bfe_u32 v2, v1, 16, 1
	v_cmp_o_f32_e32 vcc_lo, v1, v1
	s_delay_alu instid0(VALU_DEP_2) | instskip(NEXT) | instid1(VALU_DEP_1)
	v_add3_u32 v2, v1, v2, 0x7fff
	v_lshrrev_b32_e32 v2, 16, v2
	s_delay_alu instid0(VALU_DEP_1)
	v_cndmask_b32_e32 v20, 0x7fc0, v2, vcc_lo
.LBB272_57:
	s_or_b32 exec_lo, exec_lo, s0
	s_wait_loadcnt 0x0
	s_delay_alu instid0(VALU_DEP_1) | instskip(SKIP_1) | instid1(VALU_DEP_1)
	v_and_b32_e32 v1, 0xffff, v20
	s_mov_b32 s0, exec_lo
	v_mov_b32_dpp v1, v1 quad_perm:[1,0,3,2] row_mask:0xf bank_mask:0xf
	s_delay_alu instid0(VALU_DEP_1) | instskip(NEXT) | instid1(VALU_DEP_1)
	v_dual_lshlrev_b32 v2, 16, v20 :: v_dual_lshlrev_b32 v1, 16, v1
	v_mul_f32_e32 v1, v1, v2
	s_delay_alu instid0(VALU_DEP_1) | instskip(NEXT) | instid1(VALU_DEP_1)
	v_bfe_u32 v2, v1, 16, 1
	v_add3_u32 v2, v1, v2, 0x7fff
	s_delay_alu instid0(VALU_DEP_1) | instskip(SKIP_1) | instid1(VALU_DEP_2)
	v_lshrrev_b32_e32 v2, 16, v2
	v_cmp_o_f32_e32 vcc_lo, v1, v1
	v_cndmask_b32_e32 v1, 0x7fc0, v2, vcc_lo
	s_delay_alu instid0(VALU_DEP_1) | instskip(NEXT) | instid1(VALU_DEP_1)
	v_mov_b32_dpp v2, v1 quad_perm:[2,3,0,1] row_mask:0xf bank_mask:0xf
	v_dual_lshlrev_b32 v2, 16, v2 :: v_dual_lshlrev_b32 v1, 16, v1
	s_delay_alu instid0(VALU_DEP_1) | instskip(NEXT) | instid1(VALU_DEP_1)
	v_mul_f32_e32 v1, v1, v2
	v_bfe_u32 v2, v1, 16, 1
	v_cmp_o_f32_e32 vcc_lo, v1, v1
	s_delay_alu instid0(VALU_DEP_2) | instskip(NEXT) | instid1(VALU_DEP_1)
	v_add3_u32 v2, v1, v2, 0x7fff
	v_lshrrev_b32_e32 v2, 16, v2
	s_delay_alu instid0(VALU_DEP_1) | instskip(NEXT) | instid1(VALU_DEP_1)
	v_cndmask_b32_e32 v1, 0x7fc0, v2, vcc_lo
	v_mov_b32_dpp v2, v1 row_ror:4 row_mask:0xf bank_mask:0xf
	s_delay_alu instid0(VALU_DEP_1) | instskip(NEXT) | instid1(VALU_DEP_1)
	v_dual_lshlrev_b32 v1, 16, v1 :: v_dual_lshlrev_b32 v2, 16, v2
	v_mul_f32_e32 v1, v1, v2
	s_delay_alu instid0(VALU_DEP_1) | instskip(SKIP_1) | instid1(VALU_DEP_2)
	v_bfe_u32 v2, v1, 16, 1
	v_cmp_o_f32_e32 vcc_lo, v1, v1
	v_add3_u32 v2, v1, v2, 0x7fff
	s_delay_alu instid0(VALU_DEP_1) | instskip(NEXT) | instid1(VALU_DEP_1)
	v_lshrrev_b32_e32 v2, 16, v2
	v_cndmask_b32_e32 v1, 0x7fc0, v2, vcc_lo
	s_delay_alu instid0(VALU_DEP_1) | instskip(NEXT) | instid1(VALU_DEP_1)
	v_mov_b32_dpp v2, v1 row_ror:8 row_mask:0xf bank_mask:0xf
	v_dual_lshlrev_b32 v1, 16, v1 :: v_dual_lshlrev_b32 v2, 16, v2
	s_delay_alu instid0(VALU_DEP_1) | instskip(NEXT) | instid1(VALU_DEP_1)
	v_mul_f32_e32 v1, v1, v2
	v_bfe_u32 v2, v1, 16, 1
	v_cmp_o_f32_e32 vcc_lo, v1, v1
	s_delay_alu instid0(VALU_DEP_2) | instskip(NEXT) | instid1(VALU_DEP_1)
	v_add3_u32 v2, v1, v2, 0x7fff
	v_lshrrev_b32_e32 v2, 16, v2
	s_delay_alu instid0(VALU_DEP_1) | instskip(SKIP_3) | instid1(VALU_DEP_1)
	v_cndmask_b32_e32 v1, 0x7fc0, v2, vcc_lo
	ds_swizzle_b32 v2, v1 offset:swizzle(BROADCAST,32,15)
	s_wait_dscnt 0x0
	v_dual_lshlrev_b32 v1, 16, v1 :: v_dual_lshlrev_b32 v2, 16, v2
	v_mul_f32_e32 v1, v1, v2
	s_delay_alu instid0(VALU_DEP_1) | instskip(SKIP_1) | instid1(VALU_DEP_2)
	v_bfe_u32 v2, v1, 16, 1
	v_cmp_o_f32_e32 vcc_lo, v1, v1
	v_add3_u32 v2, v1, v2, 0x7fff
	s_delay_alu instid0(VALU_DEP_1) | instskip(NEXT) | instid1(VALU_DEP_1)
	v_lshrrev_b32_e32 v2, 16, v2
	v_dual_cndmask_b32 v1, 0x7fc0, v2 :: v_dual_mov_b32 v2, 0
	ds_bpermute_b32 v2, v2, v1 offset:124
	v_mbcnt_lo_u32_b32 v1, -1, 0
	s_delay_alu instid0(VALU_DEP_1)
	v_cmpx_eq_u32_e32 0, v1
	s_xor_b32 s0, exec_lo, s0
	s_cbranch_execz .LBB272_59
; %bb.58:
	v_lshrrev_b32_e32 v3, 4, v0
	s_delay_alu instid0(VALU_DEP_1)
	v_and_b32_e32 v3, 14, v3
	s_wait_dscnt 0x0
	ds_store_b16 v3, v2
.LBB272_59:
	s_or_b32 exec_lo, exec_lo, s0
	s_delay_alu instid0(SALU_CYCLE_1)
	s_mov_b32 s0, exec_lo
	s_wait_dscnt 0x0
	s_barrier_signal -1
	s_barrier_wait -1
	v_cmpx_gt_u32_e32 32, v0
	s_cbranch_execz .LBB272_61
; %bb.60:
	v_and_b32_e32 v2, 7, v1
	s_delay_alu instid0(VALU_DEP_1) | instskip(SKIP_1) | instid1(VALU_DEP_1)
	v_cmp_ne_u32_e32 vcc_lo, 7, v2
	v_add_co_ci_u32_e64 v4, null, 0, v1, vcc_lo
	v_dual_lshlrev_b32 v4, 2, v4 :: v_dual_lshlrev_b32 v3, 1, v2
	v_cmp_gt_u32_e32 vcc_lo, 6, v2
	ds_load_u16 v3, v3
	v_cndmask_b32_e64 v2, 0, 2, vcc_lo
	s_delay_alu instid0(VALU_DEP_1) | instskip(SKIP_1) | instid1(VALU_DEP_1)
	v_add_lshl_u32 v2, v2, v1, 2
	v_lshlrev_b32_e32 v1, 2, v1
	v_or_b32_e32 v1, 16, v1
	s_wait_dscnt 0x0
	ds_bpermute_b32 v4, v4, v3
	s_wait_dscnt 0x0
	v_dual_lshlrev_b32 v3, 16, v3 :: v_dual_lshlrev_b32 v4, 16, v4
	s_delay_alu instid0(VALU_DEP_1) | instskip(NEXT) | instid1(VALU_DEP_1)
	v_mul_f32_e32 v3, v4, v3
	v_bfe_u32 v4, v3, 16, 1
	v_cmp_o_f32_e32 vcc_lo, v3, v3
	s_delay_alu instid0(VALU_DEP_2) | instskip(NEXT) | instid1(VALU_DEP_1)
	v_add3_u32 v4, v3, v4, 0x7fff
	v_lshrrev_b32_e32 v4, 16, v4
	s_delay_alu instid0(VALU_DEP_1) | instskip(SKIP_3) | instid1(VALU_DEP_1)
	v_cndmask_b32_e32 v3, 0x7fc0, v4, vcc_lo
	ds_bpermute_b32 v2, v2, v3
	s_wait_dscnt 0x0
	v_dual_lshlrev_b32 v3, 16, v3 :: v_dual_lshlrev_b32 v2, 16, v2
	v_mul_f32_e32 v2, v3, v2
	s_delay_alu instid0(VALU_DEP_1) | instskip(NEXT) | instid1(VALU_DEP_1)
	v_bfe_u32 v3, v2, 16, 1
	v_add3_u32 v3, v2, v3, 0x7fff
	s_delay_alu instid0(VALU_DEP_1) | instskip(SKIP_1) | instid1(VALU_DEP_2)
	v_lshrrev_b32_e32 v3, 16, v3
	v_cmp_o_f32_e32 vcc_lo, v2, v2
	v_cndmask_b32_e32 v2, 0x7fc0, v3, vcc_lo
	ds_bpermute_b32 v1, v1, v2
	s_wait_dscnt 0x0
	v_dual_lshlrev_b32 v1, 16, v1 :: v_dual_lshlrev_b32 v2, 16, v2
	s_delay_alu instid0(VALU_DEP_1) | instskip(NEXT) | instid1(VALU_DEP_1)
	v_mul_f32_e32 v1, v2, v1
	v_bfe_u32 v2, v1, 16, 1
	v_cmp_o_f32_e32 vcc_lo, v1, v1
	s_delay_alu instid0(VALU_DEP_2) | instskip(NEXT) | instid1(VALU_DEP_1)
	v_add3_u32 v2, v1, v2, 0x7fff
	v_lshrrev_b32_e32 v2, 16, v2
	s_delay_alu instid0(VALU_DEP_1)
	v_cndmask_b32_e32 v2, 0x7fc0, v2, vcc_lo
.LBB272_61:
	s_or_b32 exec_lo, exec_lo, s0
	s_branch .LBB272_113
.LBB272_62:
                                        ; implicit-def: $vgpr2
	s_cbranch_execz .LBB272_113
; %bb.63:
	s_sub_co_i32 s1, s24, s26
	s_mov_b32 s2, exec_lo
                                        ; implicit-def: $vgpr7
	v_cmpx_gt_u32_e64 s1, v0
	s_cbranch_execz .LBB272_69
; %bb.64:
	v_mov_b32_e32 v1, 0
	s_mov_b32 s3, exec_lo
	s_delay_alu instid0(VALU_DEP_1) | instskip(NEXT) | instid1(VALU_DEP_1)
	v_add_nc_u64_e32 v[2:3], s[26:27], v[0:1]
	v_lshl_add_u64 v[4:5], v[2:3], 1, s[16:17]
	v_add_nc_u64_e32 v[2:3], 0x100, v[2:3]
	global_load_u16 v7, v[4:5], off
	s_wait_xcnt 0x0
	v_cmpx_gt_i64_e64 s[24:25], v[2:3]
	s_cbranch_execz .LBB272_68
; %bb.65:
	v_add_nc_u64_e32 v[4:5], 0x200, v[4:5]
	s_mov_b32 s4, 0
.LBB272_66:                             ; =>This Inner Loop Header: Depth=1
	global_load_u16 v1, v[4:5], off
	s_wait_loadcnt 0x1
	v_lshlrev_b32_e32 v7, 16, v7
	v_add_nc_u64_e32 v[2:3], 0x100, v[2:3]
	s_wait_xcnt 0x0
	v_add_nc_u64_e32 v[4:5], 0x200, v[4:5]
	s_delay_alu instid0(VALU_DEP_2) | instskip(SKIP_3) | instid1(VALU_DEP_1)
	v_cmp_le_i64_e32 vcc_lo, s[24:25], v[2:3]
	s_or_b32 s4, vcc_lo, s4
	s_wait_loadcnt 0x0
	v_lshlrev_b32_e32 v1, 16, v1
	v_mul_f32_e32 v1, v1, v7
	s_delay_alu instid0(VALU_DEP_1) | instskip(NEXT) | instid1(VALU_DEP_1)
	v_bfe_u32 v7, v1, 16, 1
	v_add3_u32 v7, v1, v7, 0x7fff
	s_delay_alu instid0(VALU_DEP_1) | instskip(SKIP_1) | instid1(VALU_DEP_1)
	v_lshrrev_b32_e32 v7, 16, v7
	v_cmp_o_f32_e64 s0, v1, v1
	v_cndmask_b32_e64 v7, 0x7fc0, v7, s0
	s_and_not1_b32 exec_lo, exec_lo, s4
	s_cbranch_execnz .LBB272_66
; %bb.67:
	s_or_b32 exec_lo, exec_lo, s4
.LBB272_68:
	s_delay_alu instid0(SALU_CYCLE_1)
	s_or_b32 exec_lo, exec_lo, s3
.LBB272_69:
	s_delay_alu instid0(SALU_CYCLE_1)
	s_or_b32 exec_lo, exec_lo, s2
	v_mbcnt_lo_u32_b32 v1, -1, 0
	s_wait_loadcnt 0x0
	v_and_b32_e32 v3, 0xffff, v7
	s_cmp_lt_u32 s1, 0x100
	s_cbranch_scc0 .LBB272_107
; %bb.70:
	v_cmp_ne_u32_e32 vcc_lo, 31, v1
	s_delay_alu instid0(VALU_DEP_2) | instskip(SKIP_1) | instid1(VALU_DEP_1)
	v_mov_b32_e32 v8, v3
	v_add_co_ci_u32_e64 v2, null, 0, v1, vcc_lo
	v_lshlrev_b32_e32 v2, 2, v2
	ds_bpermute_b32 v5, v2, v3
	v_and_b32_e32 v2, 0xe0, v0
	s_delay_alu instid0(VALU_DEP_1) | instskip(SKIP_1) | instid1(VALU_DEP_1)
	v_sub_nc_u32_e64 v4, s1, v2 clamp
	v_add_nc_u32_e32 v2, 1, v1
	v_cmp_lt_u32_e32 vcc_lo, v2, v4
	v_mov_b32_e32 v2, v7
	s_and_saveexec_b32 s0, vcc_lo
	s_cbranch_execz .LBB272_72
; %bb.71:
	s_wait_dscnt 0x0
	v_dual_lshlrev_b32 v2, 16, v3 :: v_dual_lshlrev_b32 v5, 16, v5
	s_delay_alu instid0(VALU_DEP_1) | instskip(NEXT) | instid1(VALU_DEP_1)
	v_mul_f32_e32 v2, v5, v2
	v_bfe_u32 v5, v2, 16, 1
	s_delay_alu instid0(VALU_DEP_1) | instskip(NEXT) | instid1(VALU_DEP_1)
	v_add3_u32 v5, v2, v5, 0x7fff
	v_lshrrev_b32_e32 v5, 16, v5
	v_cmp_o_f32_e32 vcc_lo, v2, v2
	s_delay_alu instid0(VALU_DEP_2) | instskip(NEXT) | instid1(VALU_DEP_1)
	v_cndmask_b32_e32 v2, 0x7fc0, v5, vcc_lo
	v_and_b32_e32 v8, 0xffff, v2
.LBB272_72:
	s_or_b32 exec_lo, exec_lo, s0
	v_cmp_gt_u32_e32 vcc_lo, 30, v1
	v_add_nc_u32_e32 v9, 2, v1
	s_mov_b32 s0, exec_lo
	s_wait_dscnt 0x0
	v_cndmask_b32_e64 v5, 0, 2, vcc_lo
	s_delay_alu instid0(VALU_DEP_1)
	v_add_lshl_u32 v5, v5, v1, 2
	ds_bpermute_b32 v5, v5, v8
	v_cmpx_lt_u32_e64 v9, v4
	s_cbranch_execz .LBB272_74
; %bb.73:
	s_wait_dscnt 0x0
	v_dual_lshlrev_b32 v2, 16, v8 :: v_dual_lshlrev_b32 v5, 16, v5
	s_delay_alu instid0(VALU_DEP_1) | instskip(NEXT) | instid1(VALU_DEP_1)
	v_mul_f32_e32 v2, v5, v2
	v_bfe_u32 v5, v2, 16, 1
	s_delay_alu instid0(VALU_DEP_1) | instskip(NEXT) | instid1(VALU_DEP_1)
	v_add3_u32 v5, v2, v5, 0x7fff
	v_lshrrev_b32_e32 v5, 16, v5
	v_cmp_o_f32_e32 vcc_lo, v2, v2
	s_delay_alu instid0(VALU_DEP_2) | instskip(NEXT) | instid1(VALU_DEP_1)
	v_cndmask_b32_e32 v2, 0x7fc0, v5, vcc_lo
	v_and_b32_e32 v8, 0xffff, v2
.LBB272_74:
	s_or_b32 exec_lo, exec_lo, s0
	v_cmp_gt_u32_e32 vcc_lo, 28, v1
	v_add_nc_u32_e32 v9, 4, v1
	s_mov_b32 s0, exec_lo
	s_wait_dscnt 0x0
	v_cndmask_b32_e64 v5, 0, 4, vcc_lo
	s_delay_alu instid0(VALU_DEP_1)
	v_add_lshl_u32 v5, v5, v1, 2
	ds_bpermute_b32 v5, v5, v8
	v_cmpx_lt_u32_e64 v9, v4
	;; [unrolled: 25-line block ×3, first 2 shown]
	s_cbranch_execz .LBB272_78
; %bb.77:
	s_wait_dscnt 0x0
	v_dual_lshlrev_b32 v2, 16, v8 :: v_dual_lshlrev_b32 v5, 16, v5
	s_delay_alu instid0(VALU_DEP_1) | instskip(NEXT) | instid1(VALU_DEP_1)
	v_mul_f32_e32 v2, v5, v2
	v_bfe_u32 v5, v2, 16, 1
	s_delay_alu instid0(VALU_DEP_1) | instskip(NEXT) | instid1(VALU_DEP_1)
	v_add3_u32 v5, v2, v5, 0x7fff
	v_lshrrev_b32_e32 v5, 16, v5
	v_cmp_o_f32_e32 vcc_lo, v2, v2
	s_delay_alu instid0(VALU_DEP_2) | instskip(NEXT) | instid1(VALU_DEP_1)
	v_cndmask_b32_e32 v2, 0x7fc0, v5, vcc_lo
	v_and_b32_e32 v8, 0xffff, v2
.LBB272_78:
	s_or_b32 exec_lo, exec_lo, s0
	s_wait_dscnt 0x0
	v_dual_lshlrev_b32 v5, 2, v1 :: v_dual_add_nc_u32 v10, 16, v1
	s_mov_b32 s0, exec_lo
	s_delay_alu instid0(VALU_DEP_1)
	v_or_b32_e32 v9, 64, v5
	ds_bpermute_b32 v9, v9, v8
	v_cmpx_lt_u32_e64 v10, v4
	s_cbranch_execz .LBB272_80
; %bb.79:
	s_wait_dscnt 0x0
	v_dual_lshlrev_b32 v2, 16, v8 :: v_dual_lshlrev_b32 v4, 16, v9
	s_delay_alu instid0(VALU_DEP_1) | instskip(NEXT) | instid1(VALU_DEP_1)
	v_mul_f32_e32 v2, v4, v2
	v_bfe_u32 v4, v2, 16, 1
	s_delay_alu instid0(VALU_DEP_1) | instskip(NEXT) | instid1(VALU_DEP_1)
	v_add3_u32 v4, v2, v4, 0x7fff
	v_lshrrev_b32_e32 v4, 16, v4
	v_cmp_o_f32_e32 vcc_lo, v2, v2
	s_delay_alu instid0(VALU_DEP_2)
	v_cndmask_b32_e32 v2, 0x7fc0, v4, vcc_lo
.LBB272_80:
	s_or_b32 exec_lo, exec_lo, s0
	s_delay_alu instid0(SALU_CYCLE_1)
	s_mov_b32 s0, exec_lo
	v_cmpx_eq_u32_e32 0, v1
; %bb.81:
	v_lshrrev_b32_e32 v4, 4, v0
	s_delay_alu instid0(VALU_DEP_1)
	v_and_b32_e32 v4, 14, v4
	ds_store_b16 v4, v2
; %bb.82:
	s_or_b32 exec_lo, exec_lo, s0
	s_delay_alu instid0(SALU_CYCLE_1)
	s_mov_b32 s0, exec_lo
	s_wait_dscnt 0x0
	s_barrier_signal -1
	s_barrier_wait -1
	v_cmpx_gt_u32_e32 8, v0
	s_cbranch_execz .LBB272_90
; %bb.83:
	v_dual_lshlrev_b32 v2, 1, v1 :: v_dual_bitop2_b32 v4, 7, v1 bitop3:0x40
	s_add_co_i32 s1, s1, 31
	s_mov_b32 s2, exec_lo
	s_lshr_b32 s1, s1, 5
	ds_load_u16 v2, v2
	v_cmp_ne_u32_e32 vcc_lo, 7, v4
	v_add_nc_u32_e32 v10, 1, v4
	v_add_co_ci_u32_e64 v8, null, 0, v1, vcc_lo
	s_delay_alu instid0(VALU_DEP_1)
	v_lshlrev_b32_e32 v9, 2, v8
	s_wait_dscnt 0x0
	v_and_b32_e32 v8, 0xffff, v2
	ds_bpermute_b32 v9, v9, v8
	v_cmpx_gt_u32_e64 s1, v10
	s_cbranch_execz .LBB272_85
; %bb.84:
	s_wait_dscnt 0x0
	v_dual_lshlrev_b32 v2, 16, v8 :: v_dual_lshlrev_b32 v8, 16, v9
	s_delay_alu instid0(VALU_DEP_1) | instskip(NEXT) | instid1(VALU_DEP_1)
	v_mul_f32_e32 v2, v8, v2
	v_bfe_u32 v8, v2, 16, 1
	s_delay_alu instid0(VALU_DEP_1) | instskip(NEXT) | instid1(VALU_DEP_1)
	v_add3_u32 v8, v2, v8, 0x7fff
	v_lshrrev_b32_e32 v8, 16, v8
	v_cmp_o_f32_e32 vcc_lo, v2, v2
	s_delay_alu instid0(VALU_DEP_2) | instskip(NEXT) | instid1(VALU_DEP_1)
	v_cndmask_b32_e32 v2, 0x7fc0, v8, vcc_lo
	v_and_b32_e32 v8, 0xffff, v2
.LBB272_85:
	s_or_b32 exec_lo, exec_lo, s2
	v_cmp_gt_u32_e32 vcc_lo, 6, v4
	v_add_nc_u32_e32 v10, 2, v4
	s_mov_b32 s2, exec_lo
	s_wait_dscnt 0x0
	v_cndmask_b32_e64 v9, 0, 2, vcc_lo
	s_delay_alu instid0(VALU_DEP_1)
	v_add_lshl_u32 v9, v9, v1, 2
	ds_bpermute_b32 v9, v9, v8
	v_cmpx_gt_u32_e64 s1, v10
	s_cbranch_execz .LBB272_87
; %bb.86:
	s_wait_dscnt 0x0
	v_dual_lshlrev_b32 v2, 16, v8 :: v_dual_lshlrev_b32 v8, 16, v9
	s_delay_alu instid0(VALU_DEP_1) | instskip(NEXT) | instid1(VALU_DEP_1)
	v_mul_f32_e32 v2, v8, v2
	v_bfe_u32 v8, v2, 16, 1
	s_delay_alu instid0(VALU_DEP_1) | instskip(NEXT) | instid1(VALU_DEP_1)
	v_add3_u32 v8, v2, v8, 0x7fff
	v_lshrrev_b32_e32 v8, 16, v8
	v_cmp_o_f32_e32 vcc_lo, v2, v2
	s_delay_alu instid0(VALU_DEP_2) | instskip(NEXT) | instid1(VALU_DEP_1)
	v_cndmask_b32_e32 v2, 0x7fc0, v8, vcc_lo
	v_and_b32_e32 v8, 0xffff, v2
.LBB272_87:
	s_or_b32 exec_lo, exec_lo, s2
	v_dual_add_nc_u32 v4, 4, v4 :: v_dual_bitop2_b32 v5, 16, v5 bitop3:0x54
	ds_bpermute_b32 v5, v5, v8
	v_cmp_gt_u32_e32 vcc_lo, s1, v4
	s_and_saveexec_b32 s1, vcc_lo
	s_cbranch_execz .LBB272_89
; %bb.88:
	s_wait_dscnt 0x0
	v_dual_lshlrev_b32 v2, 16, v8 :: v_dual_lshlrev_b32 v4, 16, v5
	s_delay_alu instid0(VALU_DEP_1) | instskip(NEXT) | instid1(VALU_DEP_1)
	v_mul_f32_e32 v2, v4, v2
	v_bfe_u32 v4, v2, 16, 1
	s_delay_alu instid0(VALU_DEP_1) | instskip(NEXT) | instid1(VALU_DEP_1)
	v_add3_u32 v4, v2, v4, 0x7fff
	v_lshrrev_b32_e32 v4, 16, v4
	v_cmp_o_f32_e32 vcc_lo, v2, v2
	s_delay_alu instid0(VALU_DEP_2)
	v_cndmask_b32_e32 v2, 0x7fc0, v4, vcc_lo
.LBB272_89:
	s_or_b32 exec_lo, exec_lo, s1
.LBB272_90:
	s_delay_alu instid0(SALU_CYCLE_1)
	s_or_b32 exec_lo, exec_lo, s0
	s_branch .LBB272_113
.LBB272_91:
	global_load_u16 v4, v0, s[28:29] offset:7680 scale_offset
	s_wait_xcnt 0x0
	s_or_b32 exec_lo, exec_lo, s30
	s_and_saveexec_b32 s28, s14
	s_cbranch_execz .LBB272_41
.LBB272_92:
	s_wait_loadcnt 0x0
	v_dual_lshlrev_b32 v2, 16, v20 :: v_dual_lshlrev_b32 v3, 16, v19
	s_delay_alu instid0(VALU_DEP_1) | instskip(NEXT) | instid1(VALU_DEP_1)
	v_mul_f32_e32 v2, v3, v2
	v_bfe_u32 v3, v2, 16, 1
	s_delay_alu instid0(VALU_DEP_1) | instskip(NEXT) | instid1(VALU_DEP_1)
	v_add3_u32 v3, v2, v3, 0x7fff
	v_lshrrev_b32_e32 v3, 16, v3
	v_cmp_o_f32_e64 s14, v2, v2
	s_delay_alu instid0(VALU_DEP_1)
	v_cndmask_b32_e64 v20, 0x7fc0, v3, s14
	s_or_b32 exec_lo, exec_lo, s28
	s_and_saveexec_b32 s14, s13
	s_cbranch_execz .LBB272_42
.LBB272_93:
	s_wait_loadcnt 0x0
	v_dual_lshlrev_b32 v2, 16, v18 :: v_dual_lshlrev_b32 v3, 16, v20
	s_delay_alu instid0(VALU_DEP_1) | instskip(NEXT) | instid1(VALU_DEP_1)
	v_mul_f32_e32 v2, v3, v2
	v_bfe_u32 v3, v2, 16, 1
	s_delay_alu instid0(VALU_DEP_1) | instskip(NEXT) | instid1(VALU_DEP_1)
	v_add3_u32 v3, v2, v3, 0x7fff
	v_lshrrev_b32_e32 v3, 16, v3
	v_cmp_o_f32_e64 s13, v2, v2
	s_delay_alu instid0(VALU_DEP_1)
	v_cndmask_b32_e64 v20, 0x7fc0, v3, s13
	s_or_b32 exec_lo, exec_lo, s14
	s_and_saveexec_b32 s13, s12
	s_cbranch_execz .LBB272_43
.LBB272_94:
	s_wait_loadcnt 0x0
	v_dual_lshlrev_b32 v2, 16, v17 :: v_dual_lshlrev_b32 v3, 16, v20
	s_delay_alu instid0(VALU_DEP_1) | instskip(NEXT) | instid1(VALU_DEP_1)
	v_mul_f32_e32 v2, v3, v2
	v_bfe_u32 v3, v2, 16, 1
	s_delay_alu instid0(VALU_DEP_1) | instskip(NEXT) | instid1(VALU_DEP_1)
	v_add3_u32 v3, v2, v3, 0x7fff
	v_lshrrev_b32_e32 v3, 16, v3
	v_cmp_o_f32_e64 s12, v2, v2
	s_delay_alu instid0(VALU_DEP_1)
	v_cndmask_b32_e64 v20, 0x7fc0, v3, s12
	s_or_b32 exec_lo, exec_lo, s13
	s_and_saveexec_b32 s12, s11
	s_cbranch_execz .LBB272_44
.LBB272_95:
	s_wait_loadcnt 0x0
	v_lshlrev_b32_e32 v2, 16, v16
	v_lshlrev_b32_e32 v3, 16, v20
	s_delay_alu instid0(VALU_DEP_1) | instskip(NEXT) | instid1(VALU_DEP_1)
	v_mul_f32_e32 v2, v3, v2
	v_bfe_u32 v3, v2, 16, 1
	v_cmp_o_f32_e64 s11, v2, v2
	s_delay_alu instid0(VALU_DEP_2) | instskip(NEXT) | instid1(VALU_DEP_1)
	v_add3_u32 v3, v2, v3, 0x7fff
	v_lshrrev_b32_e32 v3, 16, v3
	s_delay_alu instid0(VALU_DEP_1)
	v_cndmask_b32_e64 v20, 0x7fc0, v3, s11
	s_or_b32 exec_lo, exec_lo, s12
	s_and_saveexec_b32 s11, s10
	s_cbranch_execz .LBB272_45
.LBB272_96:
	s_wait_loadcnt 0x0
	v_dual_lshlrev_b32 v2, 16, v15 :: v_dual_lshlrev_b32 v3, 16, v20
	s_delay_alu instid0(VALU_DEP_1) | instskip(NEXT) | instid1(VALU_DEP_1)
	v_mul_f32_e32 v2, v3, v2
	v_bfe_u32 v3, v2, 16, 1
	s_delay_alu instid0(VALU_DEP_1) | instskip(NEXT) | instid1(VALU_DEP_1)
	v_add3_u32 v3, v2, v3, 0x7fff
	v_lshrrev_b32_e32 v3, 16, v3
	v_cmp_o_f32_e64 s10, v2, v2
	s_delay_alu instid0(VALU_DEP_1)
	v_cndmask_b32_e64 v20, 0x7fc0, v3, s10
	s_or_b32 exec_lo, exec_lo, s11
	s_and_saveexec_b32 s10, s9
	s_cbranch_execz .LBB272_46
.LBB272_97:
	s_wait_loadcnt 0x0
	v_dual_lshlrev_b32 v2, 16, v14 :: v_dual_lshlrev_b32 v3, 16, v20
	s_delay_alu instid0(VALU_DEP_1) | instskip(NEXT) | instid1(VALU_DEP_1)
	v_mul_f32_e32 v2, v3, v2
	v_bfe_u32 v3, v2, 16, 1
	s_delay_alu instid0(VALU_DEP_1) | instskip(NEXT) | instid1(VALU_DEP_1)
	v_add3_u32 v3, v2, v3, 0x7fff
	v_lshrrev_b32_e32 v3, 16, v3
	v_cmp_o_f32_e64 s9, v2, v2
	s_delay_alu instid0(VALU_DEP_1)
	v_cndmask_b32_e64 v20, 0x7fc0, v3, s9
	s_or_b32 exec_lo, exec_lo, s10
	s_and_saveexec_b32 s9, s8
	s_cbranch_execz .LBB272_47
.LBB272_98:
	s_wait_loadcnt 0x0
	v_dual_lshlrev_b32 v2, 16, v13 :: v_dual_lshlrev_b32 v3, 16, v20
	s_delay_alu instid0(VALU_DEP_1) | instskip(NEXT) | instid1(VALU_DEP_1)
	v_mul_f32_e32 v2, v3, v2
	v_bfe_u32 v3, v2, 16, 1
	s_delay_alu instid0(VALU_DEP_1) | instskip(NEXT) | instid1(VALU_DEP_1)
	v_add3_u32 v3, v2, v3, 0x7fff
	v_lshrrev_b32_e32 v3, 16, v3
	v_cmp_o_f32_e64 s8, v2, v2
	s_delay_alu instid0(VALU_DEP_1)
	v_cndmask_b32_e64 v20, 0x7fc0, v3, s8
	s_or_b32 exec_lo, exec_lo, s9
	s_and_saveexec_b32 s8, s7
	s_cbranch_execz .LBB272_48
.LBB272_99:
	s_wait_loadcnt 0x0
	v_lshlrev_b32_e32 v2, 16, v12
	v_lshlrev_b32_e32 v3, 16, v20
	s_delay_alu instid0(VALU_DEP_1) | instskip(NEXT) | instid1(VALU_DEP_1)
	v_mul_f32_e32 v2, v3, v2
	v_bfe_u32 v3, v2, 16, 1
	v_cmp_o_f32_e64 s7, v2, v2
	s_delay_alu instid0(VALU_DEP_2) | instskip(NEXT) | instid1(VALU_DEP_1)
	v_add3_u32 v3, v2, v3, 0x7fff
	v_lshrrev_b32_e32 v3, 16, v3
	s_delay_alu instid0(VALU_DEP_1)
	v_cndmask_b32_e64 v20, 0x7fc0, v3, s7
	s_or_b32 exec_lo, exec_lo, s8
	s_and_saveexec_b32 s7, s6
	s_cbranch_execz .LBB272_49
.LBB272_100:
	s_wait_loadcnt 0x0
	v_dual_lshlrev_b32 v2, 16, v11 :: v_dual_lshlrev_b32 v3, 16, v20
	s_delay_alu instid0(VALU_DEP_1) | instskip(NEXT) | instid1(VALU_DEP_1)
	v_mul_f32_e32 v2, v3, v2
	v_bfe_u32 v3, v2, 16, 1
	s_delay_alu instid0(VALU_DEP_1) | instskip(NEXT) | instid1(VALU_DEP_1)
	v_add3_u32 v3, v2, v3, 0x7fff
	v_lshrrev_b32_e32 v3, 16, v3
	v_cmp_o_f32_e64 s6, v2, v2
	s_delay_alu instid0(VALU_DEP_1)
	v_cndmask_b32_e64 v20, 0x7fc0, v3, s6
	s_or_b32 exec_lo, exec_lo, s7
	s_and_saveexec_b32 s6, s5
	s_cbranch_execz .LBB272_50
.LBB272_101:
	s_wait_loadcnt 0x0
	v_dual_lshlrev_b32 v2, 16, v10 :: v_dual_lshlrev_b32 v3, 16, v20
	s_delay_alu instid0(VALU_DEP_1) | instskip(NEXT) | instid1(VALU_DEP_1)
	v_mul_f32_e32 v2, v3, v2
	v_bfe_u32 v3, v2, 16, 1
	s_delay_alu instid0(VALU_DEP_1) | instskip(NEXT) | instid1(VALU_DEP_1)
	v_add3_u32 v3, v2, v3, 0x7fff
	v_lshrrev_b32_e32 v3, 16, v3
	v_cmp_o_f32_e64 s5, v2, v2
	s_delay_alu instid0(VALU_DEP_1)
	v_cndmask_b32_e64 v20, 0x7fc0, v3, s5
	s_or_b32 exec_lo, exec_lo, s6
	s_and_saveexec_b32 s5, s4
	s_cbranch_execz .LBB272_51
.LBB272_102:
	s_wait_loadcnt 0x0
	v_dual_lshlrev_b32 v2, 16, v9 :: v_dual_lshlrev_b32 v3, 16, v20
	s_delay_alu instid0(VALU_DEP_1) | instskip(NEXT) | instid1(VALU_DEP_1)
	v_mul_f32_e32 v2, v3, v2
	v_bfe_u32 v3, v2, 16, 1
	s_delay_alu instid0(VALU_DEP_1) | instskip(NEXT) | instid1(VALU_DEP_1)
	v_add3_u32 v3, v2, v3, 0x7fff
	v_lshrrev_b32_e32 v3, 16, v3
	v_cmp_o_f32_e64 s4, v2, v2
	s_delay_alu instid0(VALU_DEP_1)
	v_cndmask_b32_e64 v20, 0x7fc0, v3, s4
	s_or_b32 exec_lo, exec_lo, s5
	s_and_saveexec_b32 s4, s3
	s_cbranch_execz .LBB272_52
.LBB272_103:
	s_wait_loadcnt 0x0
	v_lshlrev_b32_e32 v2, 16, v8
	v_lshlrev_b32_e32 v3, 16, v20
	s_delay_alu instid0(VALU_DEP_1) | instskip(NEXT) | instid1(VALU_DEP_1)
	v_mul_f32_e32 v2, v3, v2
	v_bfe_u32 v3, v2, 16, 1
	v_cmp_o_f32_e64 s3, v2, v2
	s_delay_alu instid0(VALU_DEP_2) | instskip(NEXT) | instid1(VALU_DEP_1)
	v_add3_u32 v3, v2, v3, 0x7fff
	v_lshrrev_b32_e32 v3, 16, v3
	s_delay_alu instid0(VALU_DEP_1)
	v_cndmask_b32_e64 v20, 0x7fc0, v3, s3
	s_or_b32 exec_lo, exec_lo, s4
	s_and_saveexec_b32 s3, s2
	s_cbranch_execz .LBB272_53
.LBB272_104:
	s_wait_loadcnt 0x0
	v_dual_lshlrev_b32 v2, 16, v7 :: v_dual_lshlrev_b32 v3, 16, v20
	s_delay_alu instid0(VALU_DEP_1) | instskip(NEXT) | instid1(VALU_DEP_1)
	v_mul_f32_e32 v2, v3, v2
	v_bfe_u32 v3, v2, 16, 1
	s_delay_alu instid0(VALU_DEP_1) | instskip(NEXT) | instid1(VALU_DEP_1)
	v_add3_u32 v3, v2, v3, 0x7fff
	v_lshrrev_b32_e32 v3, 16, v3
	v_cmp_o_f32_e64 s2, v2, v2
	s_delay_alu instid0(VALU_DEP_1)
	v_cndmask_b32_e64 v20, 0x7fc0, v3, s2
	s_or_b32 exec_lo, exec_lo, s3
	s_and_saveexec_b32 s2, s1
	s_cbranch_execz .LBB272_54
.LBB272_105:
	s_wait_loadcnt 0x0
	v_dual_lshlrev_b32 v2, 16, v5 :: v_dual_lshlrev_b32 v3, 16, v20
	s_delay_alu instid0(VALU_DEP_1) | instskip(NEXT) | instid1(VALU_DEP_1)
	v_mul_f32_e32 v2, v3, v2
	v_bfe_u32 v3, v2, 16, 1
	s_delay_alu instid0(VALU_DEP_1) | instskip(NEXT) | instid1(VALU_DEP_1)
	v_add3_u32 v3, v2, v3, 0x7fff
	v_lshrrev_b32_e32 v3, 16, v3
	v_cmp_o_f32_e64 s1, v2, v2
	s_delay_alu instid0(VALU_DEP_1)
	v_cndmask_b32_e64 v20, 0x7fc0, v3, s1
	s_or_b32 exec_lo, exec_lo, s2
	s_and_saveexec_b32 s1, s0
	s_cbranch_execz .LBB272_55
.LBB272_106:
	s_wait_loadcnt 0x0
	v_dual_lshlrev_b32 v1, 16, v1 :: v_dual_lshlrev_b32 v2, 16, v20
	s_delay_alu instid0(VALU_DEP_1) | instskip(NEXT) | instid1(VALU_DEP_1)
	v_mul_f32_e32 v1, v2, v1
	v_bfe_u32 v2, v1, 16, 1
	s_delay_alu instid0(VALU_DEP_1) | instskip(NEXT) | instid1(VALU_DEP_1)
	v_add3_u32 v2, v1, v2, 0x7fff
	v_lshrrev_b32_e32 v2, 16, v2
	v_cmp_o_f32_e64 s0, v1, v1
	s_delay_alu instid0(VALU_DEP_1)
	v_cndmask_b32_e64 v20, 0x7fc0, v2, s0
	s_or_b32 exec_lo, exec_lo, s1
	s_and_saveexec_b32 s0, vcc_lo
	s_cbranch_execnz .LBB272_56
	s_branch .LBB272_57
.LBB272_107:
                                        ; implicit-def: $vgpr2
	s_cbranch_execz .LBB272_113
; %bb.108:
	s_delay_alu instid0(VALU_DEP_1) | instskip(SKIP_2) | instid1(VALU_DEP_2)
	v_mov_b32_dpp v2, v3 quad_perm:[1,0,3,2] row_mask:0xf bank_mask:0xf
	v_lshlrev_b32_e32 v3, 16, v7
	s_mov_b32 s0, exec_lo
	v_lshlrev_b32_e32 v2, 16, v2
	s_delay_alu instid0(VALU_DEP_1) | instskip(NEXT) | instid1(VALU_DEP_1)
	v_mul_f32_e32 v2, v2, v3
	v_bfe_u32 v3, v2, 16, 1
	s_delay_alu instid0(VALU_DEP_1) | instskip(NEXT) | instid1(VALU_DEP_1)
	v_add3_u32 v3, v2, v3, 0x7fff
	v_lshrrev_b32_e32 v3, 16, v3
	v_cmp_o_f32_e32 vcc_lo, v2, v2
	s_delay_alu instid0(VALU_DEP_2) | instskip(NEXT) | instid1(VALU_DEP_1)
	v_cndmask_b32_e32 v2, 0x7fc0, v3, vcc_lo
	v_mov_b32_dpp v3, v2 quad_perm:[2,3,0,1] row_mask:0xf bank_mask:0xf
	s_delay_alu instid0(VALU_DEP_1) | instskip(NEXT) | instid1(VALU_DEP_1)
	v_dual_lshlrev_b32 v3, 16, v3 :: v_dual_lshlrev_b32 v2, 16, v2
	v_mul_f32_e32 v2, v2, v3
	s_delay_alu instid0(VALU_DEP_1) | instskip(SKIP_1) | instid1(VALU_DEP_2)
	v_bfe_u32 v3, v2, 16, 1
	v_cmp_o_f32_e32 vcc_lo, v2, v2
	v_add3_u32 v3, v2, v3, 0x7fff
	s_delay_alu instid0(VALU_DEP_1) | instskip(NEXT) | instid1(VALU_DEP_1)
	v_lshrrev_b32_e32 v3, 16, v3
	v_cndmask_b32_e32 v2, 0x7fc0, v3, vcc_lo
	s_delay_alu instid0(VALU_DEP_1) | instskip(NEXT) | instid1(VALU_DEP_1)
	v_mov_b32_dpp v3, v2 row_ror:4 row_mask:0xf bank_mask:0xf
	v_dual_lshlrev_b32 v2, 16, v2 :: v_dual_lshlrev_b32 v3, 16, v3
	s_delay_alu instid0(VALU_DEP_1) | instskip(NEXT) | instid1(VALU_DEP_1)
	v_mul_f32_e32 v2, v2, v3
	v_bfe_u32 v3, v2, 16, 1
	v_cmp_o_f32_e32 vcc_lo, v2, v2
	s_delay_alu instid0(VALU_DEP_2) | instskip(NEXT) | instid1(VALU_DEP_1)
	v_add3_u32 v3, v2, v3, 0x7fff
	v_lshrrev_b32_e32 v3, 16, v3
	s_delay_alu instid0(VALU_DEP_1) | instskip(NEXT) | instid1(VALU_DEP_1)
	v_cndmask_b32_e32 v2, 0x7fc0, v3, vcc_lo
	v_mov_b32_dpp v3, v2 row_ror:8 row_mask:0xf bank_mask:0xf
	s_delay_alu instid0(VALU_DEP_1) | instskip(NEXT) | instid1(VALU_DEP_1)
	v_dual_lshlrev_b32 v2, 16, v2 :: v_dual_lshlrev_b32 v3, 16, v3
	v_mul_f32_e32 v2, v2, v3
	s_delay_alu instid0(VALU_DEP_1) | instskip(SKIP_1) | instid1(VALU_DEP_2)
	v_bfe_u32 v3, v2, 16, 1
	v_cmp_o_f32_e32 vcc_lo, v2, v2
	v_add3_u32 v3, v2, v3, 0x7fff
	s_delay_alu instid0(VALU_DEP_1) | instskip(NEXT) | instid1(VALU_DEP_1)
	v_lshrrev_b32_e32 v3, 16, v3
	v_cndmask_b32_e32 v2, 0x7fc0, v3, vcc_lo
	ds_swizzle_b32 v3, v2 offset:swizzle(BROADCAST,32,15)
	s_wait_dscnt 0x0
	v_dual_lshlrev_b32 v2, 16, v2 :: v_dual_lshlrev_b32 v3, 16, v3
	s_delay_alu instid0(VALU_DEP_1) | instskip(NEXT) | instid1(VALU_DEP_1)
	v_mul_f32_e32 v2, v2, v3
	v_bfe_u32 v3, v2, 16, 1
	v_cmp_o_f32_e32 vcc_lo, v2, v2
	s_delay_alu instid0(VALU_DEP_2) | instskip(NEXT) | instid1(VALU_DEP_1)
	v_add3_u32 v3, v2, v3, 0x7fff
	v_lshrrev_b32_e32 v3, 16, v3
	s_delay_alu instid0(VALU_DEP_1)
	v_dual_cndmask_b32 v2, 0x7fc0, v3 :: v_dual_mov_b32 v3, 0
	ds_bpermute_b32 v2, v3, v2 offset:124
	v_cmpx_eq_u32_e32 0, v1
	s_cbranch_execz .LBB272_110
; %bb.109:
	v_lshrrev_b32_e32 v3, 4, v0
	s_delay_alu instid0(VALU_DEP_1)
	v_and_b32_e32 v3, 14, v3
	s_wait_dscnt 0x0
	ds_store_b16 v3, v2
.LBB272_110:
	s_or_b32 exec_lo, exec_lo, s0
	s_delay_alu instid0(SALU_CYCLE_1)
	s_mov_b32 s0, exec_lo
	s_wait_dscnt 0x0
	s_barrier_signal -1
	s_barrier_wait -1
	v_cmpx_gt_u32_e32 32, v0
	s_cbranch_execz .LBB272_112
; %bb.111:
	v_and_b32_e32 v2, 7, v1
	s_delay_alu instid0(VALU_DEP_1) | instskip(SKIP_1) | instid1(VALU_DEP_1)
	v_cmp_ne_u32_e32 vcc_lo, 7, v2
	v_add_co_ci_u32_e64 v4, null, 0, v1, vcc_lo
	v_dual_lshlrev_b32 v4, 2, v4 :: v_dual_lshlrev_b32 v3, 1, v2
	v_cmp_gt_u32_e32 vcc_lo, 6, v2
	ds_load_u16 v3, v3
	v_cndmask_b32_e64 v2, 0, 2, vcc_lo
	s_delay_alu instid0(VALU_DEP_1) | instskip(SKIP_1) | instid1(VALU_DEP_1)
	v_add_lshl_u32 v2, v2, v1, 2
	v_lshlrev_b32_e32 v1, 2, v1
	v_or_b32_e32 v1, 16, v1
	s_wait_dscnt 0x0
	ds_bpermute_b32 v4, v4, v3
	s_wait_dscnt 0x0
	v_dual_lshlrev_b32 v3, 16, v3 :: v_dual_lshlrev_b32 v4, 16, v4
	s_delay_alu instid0(VALU_DEP_1) | instskip(NEXT) | instid1(VALU_DEP_1)
	v_mul_f32_e32 v3, v4, v3
	v_bfe_u32 v4, v3, 16, 1
	v_cmp_o_f32_e32 vcc_lo, v3, v3
	s_delay_alu instid0(VALU_DEP_2) | instskip(NEXT) | instid1(VALU_DEP_1)
	v_add3_u32 v4, v3, v4, 0x7fff
	v_lshrrev_b32_e32 v4, 16, v4
	s_delay_alu instid0(VALU_DEP_1) | instskip(SKIP_3) | instid1(VALU_DEP_1)
	v_cndmask_b32_e32 v3, 0x7fc0, v4, vcc_lo
	ds_bpermute_b32 v2, v2, v3
	s_wait_dscnt 0x0
	v_dual_lshlrev_b32 v3, 16, v3 :: v_dual_lshlrev_b32 v2, 16, v2
	v_mul_f32_e32 v2, v3, v2
	s_delay_alu instid0(VALU_DEP_1) | instskip(NEXT) | instid1(VALU_DEP_1)
	v_bfe_u32 v3, v2, 16, 1
	v_add3_u32 v3, v2, v3, 0x7fff
	s_delay_alu instid0(VALU_DEP_1) | instskip(SKIP_1) | instid1(VALU_DEP_2)
	v_lshrrev_b32_e32 v3, 16, v3
	v_cmp_o_f32_e32 vcc_lo, v2, v2
	v_cndmask_b32_e32 v2, 0x7fc0, v3, vcc_lo
	ds_bpermute_b32 v1, v1, v2
	s_wait_dscnt 0x0
	v_dual_lshlrev_b32 v1, 16, v1 :: v_dual_lshlrev_b32 v2, 16, v2
	s_delay_alu instid0(VALU_DEP_1) | instskip(NEXT) | instid1(VALU_DEP_1)
	v_mul_f32_e32 v1, v2, v1
	v_bfe_u32 v2, v1, 16, 1
	v_cmp_o_f32_e32 vcc_lo, v1, v1
	s_delay_alu instid0(VALU_DEP_2) | instskip(NEXT) | instid1(VALU_DEP_1)
	v_add3_u32 v2, v1, v2, 0x7fff
	v_lshrrev_b32_e32 v2, 16, v2
	s_delay_alu instid0(VALU_DEP_1)
	v_cndmask_b32_e32 v2, 0x7fc0, v2, vcc_lo
.LBB272_112:
	s_or_b32 exec_lo, exec_lo, s0
.LBB272_113:
	s_delay_alu instid0(SALU_CYCLE_1)
	s_mov_b32 s0, exec_lo
	v_cmpx_eq_u32_e32 0, v0
	s_cbranch_execz .LBB272_115
; %bb.114:
	s_wait_loadcnt 0x0
	v_lshlrev_b32_e32 v0, 16, v6
	v_lshlrev_b32_e32 v1, 16, v2
	s_or_b32 s15, s15, exec_lo
	s_delay_alu instid0(VALU_DEP_1) | instskip(NEXT) | instid1(VALU_DEP_1)
	v_mul_f32_e32 v0, v1, v0
	v_bfe_u32 v1, v0, 16, 1
	v_cmp_o_f32_e32 vcc_lo, v0, v0
	s_delay_alu instid0(VALU_DEP_2) | instskip(NEXT) | instid1(VALU_DEP_1)
	v_add3_u32 v1, v0, v1, 0x7fff
	v_lshrrev_b32_e32 v1, 16, v1
	s_delay_alu instid0(VALU_DEP_1)
	v_cndmask_b32_e32 v6, 0x7fc0, v1, vcc_lo
.LBB272_115:
	s_or_b32 exec_lo, exec_lo, s0
	s_and_saveexec_b32 s0, s15
	s_cbranch_execz .LBB272_3
.LBB272_116:
	s_lshl_b64 s[0:1], s[20:21], 1
	v_mov_b32_e32 v0, 0
	s_add_nc_u64 s[0:1], s[18:19], s[0:1]
	s_lshl_b64 s[2:3], s[22:23], 1
	s_delay_alu instid0(SALU_CYCLE_1)
	s_add_nc_u64 s[0:1], s[0:1], s[2:3]
	s_wait_loadcnt 0x0
	global_store_b16 v0, v6, s[0:1]
	s_endpgm
	.section	.rodata,"a",@progbits
	.p2align	6, 0x0
	.amdhsa_kernel _ZN7rocprim17ROCPRIM_400000_NS6detail17trampoline_kernelINS0_14default_configENS1_32segmented_reduce_config_selectorIN3c108BFloat16EEEZNS1_21segmented_reduce_implIS3_PKS6_PS6_PKlS6_N6hipcub16HIPCUB_304000_NS6detail27convert_result_type_wrapperISA_SB_N2at6native12_GLOBAL__N_110CustomProdEEEEE10hipError_tPvRmT0_T1_jT2_SS_T4_T3_P12ihipStream_tbEUlT_E_NS1_11comp_targetILNS1_3genE0ELNS1_11target_archE4294967295ELNS1_3gpuE0ELNS1_3repE0EEENS1_30default_config_static_selectorELNS0_4arch9wavefront6targetE0EEEvSR_
		.amdhsa_group_segment_fixed_size 16
		.amdhsa_private_segment_fixed_size 0
		.amdhsa_kernarg_size 48
		.amdhsa_user_sgpr_count 2
		.amdhsa_user_sgpr_dispatch_ptr 0
		.amdhsa_user_sgpr_queue_ptr 0
		.amdhsa_user_sgpr_kernarg_segment_ptr 1
		.amdhsa_user_sgpr_dispatch_id 0
		.amdhsa_user_sgpr_kernarg_preload_length 0
		.amdhsa_user_sgpr_kernarg_preload_offset 0
		.amdhsa_user_sgpr_private_segment_size 0
		.amdhsa_wavefront_size32 1
		.amdhsa_uses_dynamic_stack 0
		.amdhsa_enable_private_segment 0
		.amdhsa_system_sgpr_workgroup_id_x 1
		.amdhsa_system_sgpr_workgroup_id_y 0
		.amdhsa_system_sgpr_workgroup_id_z 0
		.amdhsa_system_sgpr_workgroup_info 0
		.amdhsa_system_vgpr_workitem_id 0
		.amdhsa_next_free_vgpr 23
		.amdhsa_next_free_sgpr 32
		.amdhsa_named_barrier_count 0
		.amdhsa_reserve_vcc 1
		.amdhsa_float_round_mode_32 0
		.amdhsa_float_round_mode_16_64 0
		.amdhsa_float_denorm_mode_32 3
		.amdhsa_float_denorm_mode_16_64 3
		.amdhsa_fp16_overflow 0
		.amdhsa_memory_ordered 1
		.amdhsa_forward_progress 1
		.amdhsa_inst_pref_size 64
		.amdhsa_round_robin_scheduling 0
		.amdhsa_exception_fp_ieee_invalid_op 0
		.amdhsa_exception_fp_denorm_src 0
		.amdhsa_exception_fp_ieee_div_zero 0
		.amdhsa_exception_fp_ieee_overflow 0
		.amdhsa_exception_fp_ieee_underflow 0
		.amdhsa_exception_fp_ieee_inexact 0
		.amdhsa_exception_int_div_zero 0
	.end_amdhsa_kernel
	.section	.text._ZN7rocprim17ROCPRIM_400000_NS6detail17trampoline_kernelINS0_14default_configENS1_32segmented_reduce_config_selectorIN3c108BFloat16EEEZNS1_21segmented_reduce_implIS3_PKS6_PS6_PKlS6_N6hipcub16HIPCUB_304000_NS6detail27convert_result_type_wrapperISA_SB_N2at6native12_GLOBAL__N_110CustomProdEEEEE10hipError_tPvRmT0_T1_jT2_SS_T4_T3_P12ihipStream_tbEUlT_E_NS1_11comp_targetILNS1_3genE0ELNS1_11target_archE4294967295ELNS1_3gpuE0ELNS1_3repE0EEENS1_30default_config_static_selectorELNS0_4arch9wavefront6targetE0EEEvSR_,"axG",@progbits,_ZN7rocprim17ROCPRIM_400000_NS6detail17trampoline_kernelINS0_14default_configENS1_32segmented_reduce_config_selectorIN3c108BFloat16EEEZNS1_21segmented_reduce_implIS3_PKS6_PS6_PKlS6_N6hipcub16HIPCUB_304000_NS6detail27convert_result_type_wrapperISA_SB_N2at6native12_GLOBAL__N_110CustomProdEEEEE10hipError_tPvRmT0_T1_jT2_SS_T4_T3_P12ihipStream_tbEUlT_E_NS1_11comp_targetILNS1_3genE0ELNS1_11target_archE4294967295ELNS1_3gpuE0ELNS1_3repE0EEENS1_30default_config_static_selectorELNS0_4arch9wavefront6targetE0EEEvSR_,comdat
.Lfunc_end272:
	.size	_ZN7rocprim17ROCPRIM_400000_NS6detail17trampoline_kernelINS0_14default_configENS1_32segmented_reduce_config_selectorIN3c108BFloat16EEEZNS1_21segmented_reduce_implIS3_PKS6_PS6_PKlS6_N6hipcub16HIPCUB_304000_NS6detail27convert_result_type_wrapperISA_SB_N2at6native12_GLOBAL__N_110CustomProdEEEEE10hipError_tPvRmT0_T1_jT2_SS_T4_T3_P12ihipStream_tbEUlT_E_NS1_11comp_targetILNS1_3genE0ELNS1_11target_archE4294967295ELNS1_3gpuE0ELNS1_3repE0EEENS1_30default_config_static_selectorELNS0_4arch9wavefront6targetE0EEEvSR_, .Lfunc_end272-_ZN7rocprim17ROCPRIM_400000_NS6detail17trampoline_kernelINS0_14default_configENS1_32segmented_reduce_config_selectorIN3c108BFloat16EEEZNS1_21segmented_reduce_implIS3_PKS6_PS6_PKlS6_N6hipcub16HIPCUB_304000_NS6detail27convert_result_type_wrapperISA_SB_N2at6native12_GLOBAL__N_110CustomProdEEEEE10hipError_tPvRmT0_T1_jT2_SS_T4_T3_P12ihipStream_tbEUlT_E_NS1_11comp_targetILNS1_3genE0ELNS1_11target_archE4294967295ELNS1_3gpuE0ELNS1_3repE0EEENS1_30default_config_static_selectorELNS0_4arch9wavefront6targetE0EEEvSR_
                                        ; -- End function
	.set _ZN7rocprim17ROCPRIM_400000_NS6detail17trampoline_kernelINS0_14default_configENS1_32segmented_reduce_config_selectorIN3c108BFloat16EEEZNS1_21segmented_reduce_implIS3_PKS6_PS6_PKlS6_N6hipcub16HIPCUB_304000_NS6detail27convert_result_type_wrapperISA_SB_N2at6native12_GLOBAL__N_110CustomProdEEEEE10hipError_tPvRmT0_T1_jT2_SS_T4_T3_P12ihipStream_tbEUlT_E_NS1_11comp_targetILNS1_3genE0ELNS1_11target_archE4294967295ELNS1_3gpuE0ELNS1_3repE0EEENS1_30default_config_static_selectorELNS0_4arch9wavefront6targetE0EEEvSR_.num_vgpr, 23
	.set _ZN7rocprim17ROCPRIM_400000_NS6detail17trampoline_kernelINS0_14default_configENS1_32segmented_reduce_config_selectorIN3c108BFloat16EEEZNS1_21segmented_reduce_implIS3_PKS6_PS6_PKlS6_N6hipcub16HIPCUB_304000_NS6detail27convert_result_type_wrapperISA_SB_N2at6native12_GLOBAL__N_110CustomProdEEEEE10hipError_tPvRmT0_T1_jT2_SS_T4_T3_P12ihipStream_tbEUlT_E_NS1_11comp_targetILNS1_3genE0ELNS1_11target_archE4294967295ELNS1_3gpuE0ELNS1_3repE0EEENS1_30default_config_static_selectorELNS0_4arch9wavefront6targetE0EEEvSR_.num_agpr, 0
	.set _ZN7rocprim17ROCPRIM_400000_NS6detail17trampoline_kernelINS0_14default_configENS1_32segmented_reduce_config_selectorIN3c108BFloat16EEEZNS1_21segmented_reduce_implIS3_PKS6_PS6_PKlS6_N6hipcub16HIPCUB_304000_NS6detail27convert_result_type_wrapperISA_SB_N2at6native12_GLOBAL__N_110CustomProdEEEEE10hipError_tPvRmT0_T1_jT2_SS_T4_T3_P12ihipStream_tbEUlT_E_NS1_11comp_targetILNS1_3genE0ELNS1_11target_archE4294967295ELNS1_3gpuE0ELNS1_3repE0EEENS1_30default_config_static_selectorELNS0_4arch9wavefront6targetE0EEEvSR_.numbered_sgpr, 32
	.set _ZN7rocprim17ROCPRIM_400000_NS6detail17trampoline_kernelINS0_14default_configENS1_32segmented_reduce_config_selectorIN3c108BFloat16EEEZNS1_21segmented_reduce_implIS3_PKS6_PS6_PKlS6_N6hipcub16HIPCUB_304000_NS6detail27convert_result_type_wrapperISA_SB_N2at6native12_GLOBAL__N_110CustomProdEEEEE10hipError_tPvRmT0_T1_jT2_SS_T4_T3_P12ihipStream_tbEUlT_E_NS1_11comp_targetILNS1_3genE0ELNS1_11target_archE4294967295ELNS1_3gpuE0ELNS1_3repE0EEENS1_30default_config_static_selectorELNS0_4arch9wavefront6targetE0EEEvSR_.num_named_barrier, 0
	.set _ZN7rocprim17ROCPRIM_400000_NS6detail17trampoline_kernelINS0_14default_configENS1_32segmented_reduce_config_selectorIN3c108BFloat16EEEZNS1_21segmented_reduce_implIS3_PKS6_PS6_PKlS6_N6hipcub16HIPCUB_304000_NS6detail27convert_result_type_wrapperISA_SB_N2at6native12_GLOBAL__N_110CustomProdEEEEE10hipError_tPvRmT0_T1_jT2_SS_T4_T3_P12ihipStream_tbEUlT_E_NS1_11comp_targetILNS1_3genE0ELNS1_11target_archE4294967295ELNS1_3gpuE0ELNS1_3repE0EEENS1_30default_config_static_selectorELNS0_4arch9wavefront6targetE0EEEvSR_.private_seg_size, 0
	.set _ZN7rocprim17ROCPRIM_400000_NS6detail17trampoline_kernelINS0_14default_configENS1_32segmented_reduce_config_selectorIN3c108BFloat16EEEZNS1_21segmented_reduce_implIS3_PKS6_PS6_PKlS6_N6hipcub16HIPCUB_304000_NS6detail27convert_result_type_wrapperISA_SB_N2at6native12_GLOBAL__N_110CustomProdEEEEE10hipError_tPvRmT0_T1_jT2_SS_T4_T3_P12ihipStream_tbEUlT_E_NS1_11comp_targetILNS1_3genE0ELNS1_11target_archE4294967295ELNS1_3gpuE0ELNS1_3repE0EEENS1_30default_config_static_selectorELNS0_4arch9wavefront6targetE0EEEvSR_.uses_vcc, 1
	.set _ZN7rocprim17ROCPRIM_400000_NS6detail17trampoline_kernelINS0_14default_configENS1_32segmented_reduce_config_selectorIN3c108BFloat16EEEZNS1_21segmented_reduce_implIS3_PKS6_PS6_PKlS6_N6hipcub16HIPCUB_304000_NS6detail27convert_result_type_wrapperISA_SB_N2at6native12_GLOBAL__N_110CustomProdEEEEE10hipError_tPvRmT0_T1_jT2_SS_T4_T3_P12ihipStream_tbEUlT_E_NS1_11comp_targetILNS1_3genE0ELNS1_11target_archE4294967295ELNS1_3gpuE0ELNS1_3repE0EEENS1_30default_config_static_selectorELNS0_4arch9wavefront6targetE0EEEvSR_.uses_flat_scratch, 0
	.set _ZN7rocprim17ROCPRIM_400000_NS6detail17trampoline_kernelINS0_14default_configENS1_32segmented_reduce_config_selectorIN3c108BFloat16EEEZNS1_21segmented_reduce_implIS3_PKS6_PS6_PKlS6_N6hipcub16HIPCUB_304000_NS6detail27convert_result_type_wrapperISA_SB_N2at6native12_GLOBAL__N_110CustomProdEEEEE10hipError_tPvRmT0_T1_jT2_SS_T4_T3_P12ihipStream_tbEUlT_E_NS1_11comp_targetILNS1_3genE0ELNS1_11target_archE4294967295ELNS1_3gpuE0ELNS1_3repE0EEENS1_30default_config_static_selectorELNS0_4arch9wavefront6targetE0EEEvSR_.has_dyn_sized_stack, 0
	.set _ZN7rocprim17ROCPRIM_400000_NS6detail17trampoline_kernelINS0_14default_configENS1_32segmented_reduce_config_selectorIN3c108BFloat16EEEZNS1_21segmented_reduce_implIS3_PKS6_PS6_PKlS6_N6hipcub16HIPCUB_304000_NS6detail27convert_result_type_wrapperISA_SB_N2at6native12_GLOBAL__N_110CustomProdEEEEE10hipError_tPvRmT0_T1_jT2_SS_T4_T3_P12ihipStream_tbEUlT_E_NS1_11comp_targetILNS1_3genE0ELNS1_11target_archE4294967295ELNS1_3gpuE0ELNS1_3repE0EEENS1_30default_config_static_selectorELNS0_4arch9wavefront6targetE0EEEvSR_.has_recursion, 0
	.set _ZN7rocprim17ROCPRIM_400000_NS6detail17trampoline_kernelINS0_14default_configENS1_32segmented_reduce_config_selectorIN3c108BFloat16EEEZNS1_21segmented_reduce_implIS3_PKS6_PS6_PKlS6_N6hipcub16HIPCUB_304000_NS6detail27convert_result_type_wrapperISA_SB_N2at6native12_GLOBAL__N_110CustomProdEEEEE10hipError_tPvRmT0_T1_jT2_SS_T4_T3_P12ihipStream_tbEUlT_E_NS1_11comp_targetILNS1_3genE0ELNS1_11target_archE4294967295ELNS1_3gpuE0ELNS1_3repE0EEENS1_30default_config_static_selectorELNS0_4arch9wavefront6targetE0EEEvSR_.has_indirect_call, 0
	.section	.AMDGPU.csdata,"",@progbits
; Kernel info:
; codeLenInByte = 8172
; TotalNumSgprs: 34
; NumVgprs: 23
; ScratchSize: 0
; MemoryBound: 0
; FloatMode: 240
; IeeeMode: 1
; LDSByteSize: 16 bytes/workgroup (compile time only)
; SGPRBlocks: 0
; VGPRBlocks: 1
; NumSGPRsForWavesPerEU: 34
; NumVGPRsForWavesPerEU: 23
; NamedBarCnt: 0
; Occupancy: 16
; WaveLimiterHint : 1
; COMPUTE_PGM_RSRC2:SCRATCH_EN: 0
; COMPUTE_PGM_RSRC2:USER_SGPR: 2
; COMPUTE_PGM_RSRC2:TRAP_HANDLER: 0
; COMPUTE_PGM_RSRC2:TGID_X_EN: 1
; COMPUTE_PGM_RSRC2:TGID_Y_EN: 0
; COMPUTE_PGM_RSRC2:TGID_Z_EN: 0
; COMPUTE_PGM_RSRC2:TIDIG_COMP_CNT: 0
	.section	.text._ZN7rocprim17ROCPRIM_400000_NS6detail17trampoline_kernelINS0_14default_configENS1_32segmented_reduce_config_selectorIN3c108BFloat16EEEZNS1_21segmented_reduce_implIS3_PKS6_PS6_PKlS6_N6hipcub16HIPCUB_304000_NS6detail27convert_result_type_wrapperISA_SB_N2at6native12_GLOBAL__N_110CustomProdEEEEE10hipError_tPvRmT0_T1_jT2_SS_T4_T3_P12ihipStream_tbEUlT_E_NS1_11comp_targetILNS1_3genE5ELNS1_11target_archE942ELNS1_3gpuE9ELNS1_3repE0EEENS1_30default_config_static_selectorELNS0_4arch9wavefront6targetE0EEEvSR_,"axG",@progbits,_ZN7rocprim17ROCPRIM_400000_NS6detail17trampoline_kernelINS0_14default_configENS1_32segmented_reduce_config_selectorIN3c108BFloat16EEEZNS1_21segmented_reduce_implIS3_PKS6_PS6_PKlS6_N6hipcub16HIPCUB_304000_NS6detail27convert_result_type_wrapperISA_SB_N2at6native12_GLOBAL__N_110CustomProdEEEEE10hipError_tPvRmT0_T1_jT2_SS_T4_T3_P12ihipStream_tbEUlT_E_NS1_11comp_targetILNS1_3genE5ELNS1_11target_archE942ELNS1_3gpuE9ELNS1_3repE0EEENS1_30default_config_static_selectorELNS0_4arch9wavefront6targetE0EEEvSR_,comdat
	.globl	_ZN7rocprim17ROCPRIM_400000_NS6detail17trampoline_kernelINS0_14default_configENS1_32segmented_reduce_config_selectorIN3c108BFloat16EEEZNS1_21segmented_reduce_implIS3_PKS6_PS6_PKlS6_N6hipcub16HIPCUB_304000_NS6detail27convert_result_type_wrapperISA_SB_N2at6native12_GLOBAL__N_110CustomProdEEEEE10hipError_tPvRmT0_T1_jT2_SS_T4_T3_P12ihipStream_tbEUlT_E_NS1_11comp_targetILNS1_3genE5ELNS1_11target_archE942ELNS1_3gpuE9ELNS1_3repE0EEENS1_30default_config_static_selectorELNS0_4arch9wavefront6targetE0EEEvSR_ ; -- Begin function _ZN7rocprim17ROCPRIM_400000_NS6detail17trampoline_kernelINS0_14default_configENS1_32segmented_reduce_config_selectorIN3c108BFloat16EEEZNS1_21segmented_reduce_implIS3_PKS6_PS6_PKlS6_N6hipcub16HIPCUB_304000_NS6detail27convert_result_type_wrapperISA_SB_N2at6native12_GLOBAL__N_110CustomProdEEEEE10hipError_tPvRmT0_T1_jT2_SS_T4_T3_P12ihipStream_tbEUlT_E_NS1_11comp_targetILNS1_3genE5ELNS1_11target_archE942ELNS1_3gpuE9ELNS1_3repE0EEENS1_30default_config_static_selectorELNS0_4arch9wavefront6targetE0EEEvSR_
	.p2align	8
	.type	_ZN7rocprim17ROCPRIM_400000_NS6detail17trampoline_kernelINS0_14default_configENS1_32segmented_reduce_config_selectorIN3c108BFloat16EEEZNS1_21segmented_reduce_implIS3_PKS6_PS6_PKlS6_N6hipcub16HIPCUB_304000_NS6detail27convert_result_type_wrapperISA_SB_N2at6native12_GLOBAL__N_110CustomProdEEEEE10hipError_tPvRmT0_T1_jT2_SS_T4_T3_P12ihipStream_tbEUlT_E_NS1_11comp_targetILNS1_3genE5ELNS1_11target_archE942ELNS1_3gpuE9ELNS1_3repE0EEENS1_30default_config_static_selectorELNS0_4arch9wavefront6targetE0EEEvSR_,@function
_ZN7rocprim17ROCPRIM_400000_NS6detail17trampoline_kernelINS0_14default_configENS1_32segmented_reduce_config_selectorIN3c108BFloat16EEEZNS1_21segmented_reduce_implIS3_PKS6_PS6_PKlS6_N6hipcub16HIPCUB_304000_NS6detail27convert_result_type_wrapperISA_SB_N2at6native12_GLOBAL__N_110CustomProdEEEEE10hipError_tPvRmT0_T1_jT2_SS_T4_T3_P12ihipStream_tbEUlT_E_NS1_11comp_targetILNS1_3genE5ELNS1_11target_archE942ELNS1_3gpuE9ELNS1_3repE0EEENS1_30default_config_static_selectorELNS0_4arch9wavefront6targetE0EEEvSR_: ; @_ZN7rocprim17ROCPRIM_400000_NS6detail17trampoline_kernelINS0_14default_configENS1_32segmented_reduce_config_selectorIN3c108BFloat16EEEZNS1_21segmented_reduce_implIS3_PKS6_PS6_PKlS6_N6hipcub16HIPCUB_304000_NS6detail27convert_result_type_wrapperISA_SB_N2at6native12_GLOBAL__N_110CustomProdEEEEE10hipError_tPvRmT0_T1_jT2_SS_T4_T3_P12ihipStream_tbEUlT_E_NS1_11comp_targetILNS1_3genE5ELNS1_11target_archE942ELNS1_3gpuE9ELNS1_3repE0EEENS1_30default_config_static_selectorELNS0_4arch9wavefront6targetE0EEEvSR_
; %bb.0:
	.section	.rodata,"a",@progbits
	.p2align	6, 0x0
	.amdhsa_kernel _ZN7rocprim17ROCPRIM_400000_NS6detail17trampoline_kernelINS0_14default_configENS1_32segmented_reduce_config_selectorIN3c108BFloat16EEEZNS1_21segmented_reduce_implIS3_PKS6_PS6_PKlS6_N6hipcub16HIPCUB_304000_NS6detail27convert_result_type_wrapperISA_SB_N2at6native12_GLOBAL__N_110CustomProdEEEEE10hipError_tPvRmT0_T1_jT2_SS_T4_T3_P12ihipStream_tbEUlT_E_NS1_11comp_targetILNS1_3genE5ELNS1_11target_archE942ELNS1_3gpuE9ELNS1_3repE0EEENS1_30default_config_static_selectorELNS0_4arch9wavefront6targetE0EEEvSR_
		.amdhsa_group_segment_fixed_size 0
		.amdhsa_private_segment_fixed_size 0
		.amdhsa_kernarg_size 48
		.amdhsa_user_sgpr_count 2
		.amdhsa_user_sgpr_dispatch_ptr 0
		.amdhsa_user_sgpr_queue_ptr 0
		.amdhsa_user_sgpr_kernarg_segment_ptr 1
		.amdhsa_user_sgpr_dispatch_id 0
		.amdhsa_user_sgpr_kernarg_preload_length 0
		.amdhsa_user_sgpr_kernarg_preload_offset 0
		.amdhsa_user_sgpr_private_segment_size 0
		.amdhsa_wavefront_size32 1
		.amdhsa_uses_dynamic_stack 0
		.amdhsa_enable_private_segment 0
		.amdhsa_system_sgpr_workgroup_id_x 1
		.amdhsa_system_sgpr_workgroup_id_y 0
		.amdhsa_system_sgpr_workgroup_id_z 0
		.amdhsa_system_sgpr_workgroup_info 0
		.amdhsa_system_vgpr_workitem_id 0
		.amdhsa_next_free_vgpr 1
		.amdhsa_next_free_sgpr 1
		.amdhsa_named_barrier_count 0
		.amdhsa_reserve_vcc 0
		.amdhsa_float_round_mode_32 0
		.amdhsa_float_round_mode_16_64 0
		.amdhsa_float_denorm_mode_32 3
		.amdhsa_float_denorm_mode_16_64 3
		.amdhsa_fp16_overflow 0
		.amdhsa_memory_ordered 1
		.amdhsa_forward_progress 1
		.amdhsa_inst_pref_size 0
		.amdhsa_round_robin_scheduling 0
		.amdhsa_exception_fp_ieee_invalid_op 0
		.amdhsa_exception_fp_denorm_src 0
		.amdhsa_exception_fp_ieee_div_zero 0
		.amdhsa_exception_fp_ieee_overflow 0
		.amdhsa_exception_fp_ieee_underflow 0
		.amdhsa_exception_fp_ieee_inexact 0
		.amdhsa_exception_int_div_zero 0
	.end_amdhsa_kernel
	.section	.text._ZN7rocprim17ROCPRIM_400000_NS6detail17trampoline_kernelINS0_14default_configENS1_32segmented_reduce_config_selectorIN3c108BFloat16EEEZNS1_21segmented_reduce_implIS3_PKS6_PS6_PKlS6_N6hipcub16HIPCUB_304000_NS6detail27convert_result_type_wrapperISA_SB_N2at6native12_GLOBAL__N_110CustomProdEEEEE10hipError_tPvRmT0_T1_jT2_SS_T4_T3_P12ihipStream_tbEUlT_E_NS1_11comp_targetILNS1_3genE5ELNS1_11target_archE942ELNS1_3gpuE9ELNS1_3repE0EEENS1_30default_config_static_selectorELNS0_4arch9wavefront6targetE0EEEvSR_,"axG",@progbits,_ZN7rocprim17ROCPRIM_400000_NS6detail17trampoline_kernelINS0_14default_configENS1_32segmented_reduce_config_selectorIN3c108BFloat16EEEZNS1_21segmented_reduce_implIS3_PKS6_PS6_PKlS6_N6hipcub16HIPCUB_304000_NS6detail27convert_result_type_wrapperISA_SB_N2at6native12_GLOBAL__N_110CustomProdEEEEE10hipError_tPvRmT0_T1_jT2_SS_T4_T3_P12ihipStream_tbEUlT_E_NS1_11comp_targetILNS1_3genE5ELNS1_11target_archE942ELNS1_3gpuE9ELNS1_3repE0EEENS1_30default_config_static_selectorELNS0_4arch9wavefront6targetE0EEEvSR_,comdat
.Lfunc_end273:
	.size	_ZN7rocprim17ROCPRIM_400000_NS6detail17trampoline_kernelINS0_14default_configENS1_32segmented_reduce_config_selectorIN3c108BFloat16EEEZNS1_21segmented_reduce_implIS3_PKS6_PS6_PKlS6_N6hipcub16HIPCUB_304000_NS6detail27convert_result_type_wrapperISA_SB_N2at6native12_GLOBAL__N_110CustomProdEEEEE10hipError_tPvRmT0_T1_jT2_SS_T4_T3_P12ihipStream_tbEUlT_E_NS1_11comp_targetILNS1_3genE5ELNS1_11target_archE942ELNS1_3gpuE9ELNS1_3repE0EEENS1_30default_config_static_selectorELNS0_4arch9wavefront6targetE0EEEvSR_, .Lfunc_end273-_ZN7rocprim17ROCPRIM_400000_NS6detail17trampoline_kernelINS0_14default_configENS1_32segmented_reduce_config_selectorIN3c108BFloat16EEEZNS1_21segmented_reduce_implIS3_PKS6_PS6_PKlS6_N6hipcub16HIPCUB_304000_NS6detail27convert_result_type_wrapperISA_SB_N2at6native12_GLOBAL__N_110CustomProdEEEEE10hipError_tPvRmT0_T1_jT2_SS_T4_T3_P12ihipStream_tbEUlT_E_NS1_11comp_targetILNS1_3genE5ELNS1_11target_archE942ELNS1_3gpuE9ELNS1_3repE0EEENS1_30default_config_static_selectorELNS0_4arch9wavefront6targetE0EEEvSR_
                                        ; -- End function
	.set _ZN7rocprim17ROCPRIM_400000_NS6detail17trampoline_kernelINS0_14default_configENS1_32segmented_reduce_config_selectorIN3c108BFloat16EEEZNS1_21segmented_reduce_implIS3_PKS6_PS6_PKlS6_N6hipcub16HIPCUB_304000_NS6detail27convert_result_type_wrapperISA_SB_N2at6native12_GLOBAL__N_110CustomProdEEEEE10hipError_tPvRmT0_T1_jT2_SS_T4_T3_P12ihipStream_tbEUlT_E_NS1_11comp_targetILNS1_3genE5ELNS1_11target_archE942ELNS1_3gpuE9ELNS1_3repE0EEENS1_30default_config_static_selectorELNS0_4arch9wavefront6targetE0EEEvSR_.num_vgpr, 0
	.set _ZN7rocprim17ROCPRIM_400000_NS6detail17trampoline_kernelINS0_14default_configENS1_32segmented_reduce_config_selectorIN3c108BFloat16EEEZNS1_21segmented_reduce_implIS3_PKS6_PS6_PKlS6_N6hipcub16HIPCUB_304000_NS6detail27convert_result_type_wrapperISA_SB_N2at6native12_GLOBAL__N_110CustomProdEEEEE10hipError_tPvRmT0_T1_jT2_SS_T4_T3_P12ihipStream_tbEUlT_E_NS1_11comp_targetILNS1_3genE5ELNS1_11target_archE942ELNS1_3gpuE9ELNS1_3repE0EEENS1_30default_config_static_selectorELNS0_4arch9wavefront6targetE0EEEvSR_.num_agpr, 0
	.set _ZN7rocprim17ROCPRIM_400000_NS6detail17trampoline_kernelINS0_14default_configENS1_32segmented_reduce_config_selectorIN3c108BFloat16EEEZNS1_21segmented_reduce_implIS3_PKS6_PS6_PKlS6_N6hipcub16HIPCUB_304000_NS6detail27convert_result_type_wrapperISA_SB_N2at6native12_GLOBAL__N_110CustomProdEEEEE10hipError_tPvRmT0_T1_jT2_SS_T4_T3_P12ihipStream_tbEUlT_E_NS1_11comp_targetILNS1_3genE5ELNS1_11target_archE942ELNS1_3gpuE9ELNS1_3repE0EEENS1_30default_config_static_selectorELNS0_4arch9wavefront6targetE0EEEvSR_.numbered_sgpr, 0
	.set _ZN7rocprim17ROCPRIM_400000_NS6detail17trampoline_kernelINS0_14default_configENS1_32segmented_reduce_config_selectorIN3c108BFloat16EEEZNS1_21segmented_reduce_implIS3_PKS6_PS6_PKlS6_N6hipcub16HIPCUB_304000_NS6detail27convert_result_type_wrapperISA_SB_N2at6native12_GLOBAL__N_110CustomProdEEEEE10hipError_tPvRmT0_T1_jT2_SS_T4_T3_P12ihipStream_tbEUlT_E_NS1_11comp_targetILNS1_3genE5ELNS1_11target_archE942ELNS1_3gpuE9ELNS1_3repE0EEENS1_30default_config_static_selectorELNS0_4arch9wavefront6targetE0EEEvSR_.num_named_barrier, 0
	.set _ZN7rocprim17ROCPRIM_400000_NS6detail17trampoline_kernelINS0_14default_configENS1_32segmented_reduce_config_selectorIN3c108BFloat16EEEZNS1_21segmented_reduce_implIS3_PKS6_PS6_PKlS6_N6hipcub16HIPCUB_304000_NS6detail27convert_result_type_wrapperISA_SB_N2at6native12_GLOBAL__N_110CustomProdEEEEE10hipError_tPvRmT0_T1_jT2_SS_T4_T3_P12ihipStream_tbEUlT_E_NS1_11comp_targetILNS1_3genE5ELNS1_11target_archE942ELNS1_3gpuE9ELNS1_3repE0EEENS1_30default_config_static_selectorELNS0_4arch9wavefront6targetE0EEEvSR_.private_seg_size, 0
	.set _ZN7rocprim17ROCPRIM_400000_NS6detail17trampoline_kernelINS0_14default_configENS1_32segmented_reduce_config_selectorIN3c108BFloat16EEEZNS1_21segmented_reduce_implIS3_PKS6_PS6_PKlS6_N6hipcub16HIPCUB_304000_NS6detail27convert_result_type_wrapperISA_SB_N2at6native12_GLOBAL__N_110CustomProdEEEEE10hipError_tPvRmT0_T1_jT2_SS_T4_T3_P12ihipStream_tbEUlT_E_NS1_11comp_targetILNS1_3genE5ELNS1_11target_archE942ELNS1_3gpuE9ELNS1_3repE0EEENS1_30default_config_static_selectorELNS0_4arch9wavefront6targetE0EEEvSR_.uses_vcc, 0
	.set _ZN7rocprim17ROCPRIM_400000_NS6detail17trampoline_kernelINS0_14default_configENS1_32segmented_reduce_config_selectorIN3c108BFloat16EEEZNS1_21segmented_reduce_implIS3_PKS6_PS6_PKlS6_N6hipcub16HIPCUB_304000_NS6detail27convert_result_type_wrapperISA_SB_N2at6native12_GLOBAL__N_110CustomProdEEEEE10hipError_tPvRmT0_T1_jT2_SS_T4_T3_P12ihipStream_tbEUlT_E_NS1_11comp_targetILNS1_3genE5ELNS1_11target_archE942ELNS1_3gpuE9ELNS1_3repE0EEENS1_30default_config_static_selectorELNS0_4arch9wavefront6targetE0EEEvSR_.uses_flat_scratch, 0
	.set _ZN7rocprim17ROCPRIM_400000_NS6detail17trampoline_kernelINS0_14default_configENS1_32segmented_reduce_config_selectorIN3c108BFloat16EEEZNS1_21segmented_reduce_implIS3_PKS6_PS6_PKlS6_N6hipcub16HIPCUB_304000_NS6detail27convert_result_type_wrapperISA_SB_N2at6native12_GLOBAL__N_110CustomProdEEEEE10hipError_tPvRmT0_T1_jT2_SS_T4_T3_P12ihipStream_tbEUlT_E_NS1_11comp_targetILNS1_3genE5ELNS1_11target_archE942ELNS1_3gpuE9ELNS1_3repE0EEENS1_30default_config_static_selectorELNS0_4arch9wavefront6targetE0EEEvSR_.has_dyn_sized_stack, 0
	.set _ZN7rocprim17ROCPRIM_400000_NS6detail17trampoline_kernelINS0_14default_configENS1_32segmented_reduce_config_selectorIN3c108BFloat16EEEZNS1_21segmented_reduce_implIS3_PKS6_PS6_PKlS6_N6hipcub16HIPCUB_304000_NS6detail27convert_result_type_wrapperISA_SB_N2at6native12_GLOBAL__N_110CustomProdEEEEE10hipError_tPvRmT0_T1_jT2_SS_T4_T3_P12ihipStream_tbEUlT_E_NS1_11comp_targetILNS1_3genE5ELNS1_11target_archE942ELNS1_3gpuE9ELNS1_3repE0EEENS1_30default_config_static_selectorELNS0_4arch9wavefront6targetE0EEEvSR_.has_recursion, 0
	.set _ZN7rocprim17ROCPRIM_400000_NS6detail17trampoline_kernelINS0_14default_configENS1_32segmented_reduce_config_selectorIN3c108BFloat16EEEZNS1_21segmented_reduce_implIS3_PKS6_PS6_PKlS6_N6hipcub16HIPCUB_304000_NS6detail27convert_result_type_wrapperISA_SB_N2at6native12_GLOBAL__N_110CustomProdEEEEE10hipError_tPvRmT0_T1_jT2_SS_T4_T3_P12ihipStream_tbEUlT_E_NS1_11comp_targetILNS1_3genE5ELNS1_11target_archE942ELNS1_3gpuE9ELNS1_3repE0EEENS1_30default_config_static_selectorELNS0_4arch9wavefront6targetE0EEEvSR_.has_indirect_call, 0
	.section	.AMDGPU.csdata,"",@progbits
; Kernel info:
; codeLenInByte = 0
; TotalNumSgprs: 0
; NumVgprs: 0
; ScratchSize: 0
; MemoryBound: 0
; FloatMode: 240
; IeeeMode: 1
; LDSByteSize: 0 bytes/workgroup (compile time only)
; SGPRBlocks: 0
; VGPRBlocks: 0
; NumSGPRsForWavesPerEU: 1
; NumVGPRsForWavesPerEU: 1
; NamedBarCnt: 0
; Occupancy: 16
; WaveLimiterHint : 0
; COMPUTE_PGM_RSRC2:SCRATCH_EN: 0
; COMPUTE_PGM_RSRC2:USER_SGPR: 2
; COMPUTE_PGM_RSRC2:TRAP_HANDLER: 0
; COMPUTE_PGM_RSRC2:TGID_X_EN: 1
; COMPUTE_PGM_RSRC2:TGID_Y_EN: 0
; COMPUTE_PGM_RSRC2:TGID_Z_EN: 0
; COMPUTE_PGM_RSRC2:TIDIG_COMP_CNT: 0
	.section	.text._ZN7rocprim17ROCPRIM_400000_NS6detail17trampoline_kernelINS0_14default_configENS1_32segmented_reduce_config_selectorIN3c108BFloat16EEEZNS1_21segmented_reduce_implIS3_PKS6_PS6_PKlS6_N6hipcub16HIPCUB_304000_NS6detail27convert_result_type_wrapperISA_SB_N2at6native12_GLOBAL__N_110CustomProdEEEEE10hipError_tPvRmT0_T1_jT2_SS_T4_T3_P12ihipStream_tbEUlT_E_NS1_11comp_targetILNS1_3genE10ELNS1_11target_archE1201ELNS1_3gpuE5ELNS1_3repE0EEENS1_30default_config_static_selectorELNS0_4arch9wavefront6targetE0EEEvSR_,"axG",@progbits,_ZN7rocprim17ROCPRIM_400000_NS6detail17trampoline_kernelINS0_14default_configENS1_32segmented_reduce_config_selectorIN3c108BFloat16EEEZNS1_21segmented_reduce_implIS3_PKS6_PS6_PKlS6_N6hipcub16HIPCUB_304000_NS6detail27convert_result_type_wrapperISA_SB_N2at6native12_GLOBAL__N_110CustomProdEEEEE10hipError_tPvRmT0_T1_jT2_SS_T4_T3_P12ihipStream_tbEUlT_E_NS1_11comp_targetILNS1_3genE10ELNS1_11target_archE1201ELNS1_3gpuE5ELNS1_3repE0EEENS1_30default_config_static_selectorELNS0_4arch9wavefront6targetE0EEEvSR_,comdat
	.globl	_ZN7rocprim17ROCPRIM_400000_NS6detail17trampoline_kernelINS0_14default_configENS1_32segmented_reduce_config_selectorIN3c108BFloat16EEEZNS1_21segmented_reduce_implIS3_PKS6_PS6_PKlS6_N6hipcub16HIPCUB_304000_NS6detail27convert_result_type_wrapperISA_SB_N2at6native12_GLOBAL__N_110CustomProdEEEEE10hipError_tPvRmT0_T1_jT2_SS_T4_T3_P12ihipStream_tbEUlT_E_NS1_11comp_targetILNS1_3genE10ELNS1_11target_archE1201ELNS1_3gpuE5ELNS1_3repE0EEENS1_30default_config_static_selectorELNS0_4arch9wavefront6targetE0EEEvSR_ ; -- Begin function _ZN7rocprim17ROCPRIM_400000_NS6detail17trampoline_kernelINS0_14default_configENS1_32segmented_reduce_config_selectorIN3c108BFloat16EEEZNS1_21segmented_reduce_implIS3_PKS6_PS6_PKlS6_N6hipcub16HIPCUB_304000_NS6detail27convert_result_type_wrapperISA_SB_N2at6native12_GLOBAL__N_110CustomProdEEEEE10hipError_tPvRmT0_T1_jT2_SS_T4_T3_P12ihipStream_tbEUlT_E_NS1_11comp_targetILNS1_3genE10ELNS1_11target_archE1201ELNS1_3gpuE5ELNS1_3repE0EEENS1_30default_config_static_selectorELNS0_4arch9wavefront6targetE0EEEvSR_
	.p2align	8
	.type	_ZN7rocprim17ROCPRIM_400000_NS6detail17trampoline_kernelINS0_14default_configENS1_32segmented_reduce_config_selectorIN3c108BFloat16EEEZNS1_21segmented_reduce_implIS3_PKS6_PS6_PKlS6_N6hipcub16HIPCUB_304000_NS6detail27convert_result_type_wrapperISA_SB_N2at6native12_GLOBAL__N_110CustomProdEEEEE10hipError_tPvRmT0_T1_jT2_SS_T4_T3_P12ihipStream_tbEUlT_E_NS1_11comp_targetILNS1_3genE10ELNS1_11target_archE1201ELNS1_3gpuE5ELNS1_3repE0EEENS1_30default_config_static_selectorELNS0_4arch9wavefront6targetE0EEEvSR_,@function
_ZN7rocprim17ROCPRIM_400000_NS6detail17trampoline_kernelINS0_14default_configENS1_32segmented_reduce_config_selectorIN3c108BFloat16EEEZNS1_21segmented_reduce_implIS3_PKS6_PS6_PKlS6_N6hipcub16HIPCUB_304000_NS6detail27convert_result_type_wrapperISA_SB_N2at6native12_GLOBAL__N_110CustomProdEEEEE10hipError_tPvRmT0_T1_jT2_SS_T4_T3_P12ihipStream_tbEUlT_E_NS1_11comp_targetILNS1_3genE10ELNS1_11target_archE1201ELNS1_3gpuE5ELNS1_3repE0EEENS1_30default_config_static_selectorELNS0_4arch9wavefront6targetE0EEEvSR_: ; @_ZN7rocprim17ROCPRIM_400000_NS6detail17trampoline_kernelINS0_14default_configENS1_32segmented_reduce_config_selectorIN3c108BFloat16EEEZNS1_21segmented_reduce_implIS3_PKS6_PS6_PKlS6_N6hipcub16HIPCUB_304000_NS6detail27convert_result_type_wrapperISA_SB_N2at6native12_GLOBAL__N_110CustomProdEEEEE10hipError_tPvRmT0_T1_jT2_SS_T4_T3_P12ihipStream_tbEUlT_E_NS1_11comp_targetILNS1_3genE10ELNS1_11target_archE1201ELNS1_3gpuE5ELNS1_3repE0EEENS1_30default_config_static_selectorELNS0_4arch9wavefront6targetE0EEEvSR_
; %bb.0:
	.section	.rodata,"a",@progbits
	.p2align	6, 0x0
	.amdhsa_kernel _ZN7rocprim17ROCPRIM_400000_NS6detail17trampoline_kernelINS0_14default_configENS1_32segmented_reduce_config_selectorIN3c108BFloat16EEEZNS1_21segmented_reduce_implIS3_PKS6_PS6_PKlS6_N6hipcub16HIPCUB_304000_NS6detail27convert_result_type_wrapperISA_SB_N2at6native12_GLOBAL__N_110CustomProdEEEEE10hipError_tPvRmT0_T1_jT2_SS_T4_T3_P12ihipStream_tbEUlT_E_NS1_11comp_targetILNS1_3genE10ELNS1_11target_archE1201ELNS1_3gpuE5ELNS1_3repE0EEENS1_30default_config_static_selectorELNS0_4arch9wavefront6targetE0EEEvSR_
		.amdhsa_group_segment_fixed_size 0
		.amdhsa_private_segment_fixed_size 0
		.amdhsa_kernarg_size 48
		.amdhsa_user_sgpr_count 2
		.amdhsa_user_sgpr_dispatch_ptr 0
		.amdhsa_user_sgpr_queue_ptr 0
		.amdhsa_user_sgpr_kernarg_segment_ptr 1
		.amdhsa_user_sgpr_dispatch_id 0
		.amdhsa_user_sgpr_kernarg_preload_length 0
		.amdhsa_user_sgpr_kernarg_preload_offset 0
		.amdhsa_user_sgpr_private_segment_size 0
		.amdhsa_wavefront_size32 1
		.amdhsa_uses_dynamic_stack 0
		.amdhsa_enable_private_segment 0
		.amdhsa_system_sgpr_workgroup_id_x 1
		.amdhsa_system_sgpr_workgroup_id_y 0
		.amdhsa_system_sgpr_workgroup_id_z 0
		.amdhsa_system_sgpr_workgroup_info 0
		.amdhsa_system_vgpr_workitem_id 0
		.amdhsa_next_free_vgpr 1
		.amdhsa_next_free_sgpr 1
		.amdhsa_named_barrier_count 0
		.amdhsa_reserve_vcc 0
		.amdhsa_float_round_mode_32 0
		.amdhsa_float_round_mode_16_64 0
		.amdhsa_float_denorm_mode_32 3
		.amdhsa_float_denorm_mode_16_64 3
		.amdhsa_fp16_overflow 0
		.amdhsa_memory_ordered 1
		.amdhsa_forward_progress 1
		.amdhsa_inst_pref_size 0
		.amdhsa_round_robin_scheduling 0
		.amdhsa_exception_fp_ieee_invalid_op 0
		.amdhsa_exception_fp_denorm_src 0
		.amdhsa_exception_fp_ieee_div_zero 0
		.amdhsa_exception_fp_ieee_overflow 0
		.amdhsa_exception_fp_ieee_underflow 0
		.amdhsa_exception_fp_ieee_inexact 0
		.amdhsa_exception_int_div_zero 0
	.end_amdhsa_kernel
	.section	.text._ZN7rocprim17ROCPRIM_400000_NS6detail17trampoline_kernelINS0_14default_configENS1_32segmented_reduce_config_selectorIN3c108BFloat16EEEZNS1_21segmented_reduce_implIS3_PKS6_PS6_PKlS6_N6hipcub16HIPCUB_304000_NS6detail27convert_result_type_wrapperISA_SB_N2at6native12_GLOBAL__N_110CustomProdEEEEE10hipError_tPvRmT0_T1_jT2_SS_T4_T3_P12ihipStream_tbEUlT_E_NS1_11comp_targetILNS1_3genE10ELNS1_11target_archE1201ELNS1_3gpuE5ELNS1_3repE0EEENS1_30default_config_static_selectorELNS0_4arch9wavefront6targetE0EEEvSR_,"axG",@progbits,_ZN7rocprim17ROCPRIM_400000_NS6detail17trampoline_kernelINS0_14default_configENS1_32segmented_reduce_config_selectorIN3c108BFloat16EEEZNS1_21segmented_reduce_implIS3_PKS6_PS6_PKlS6_N6hipcub16HIPCUB_304000_NS6detail27convert_result_type_wrapperISA_SB_N2at6native12_GLOBAL__N_110CustomProdEEEEE10hipError_tPvRmT0_T1_jT2_SS_T4_T3_P12ihipStream_tbEUlT_E_NS1_11comp_targetILNS1_3genE10ELNS1_11target_archE1201ELNS1_3gpuE5ELNS1_3repE0EEENS1_30default_config_static_selectorELNS0_4arch9wavefront6targetE0EEEvSR_,comdat
.Lfunc_end274:
	.size	_ZN7rocprim17ROCPRIM_400000_NS6detail17trampoline_kernelINS0_14default_configENS1_32segmented_reduce_config_selectorIN3c108BFloat16EEEZNS1_21segmented_reduce_implIS3_PKS6_PS6_PKlS6_N6hipcub16HIPCUB_304000_NS6detail27convert_result_type_wrapperISA_SB_N2at6native12_GLOBAL__N_110CustomProdEEEEE10hipError_tPvRmT0_T1_jT2_SS_T4_T3_P12ihipStream_tbEUlT_E_NS1_11comp_targetILNS1_3genE10ELNS1_11target_archE1201ELNS1_3gpuE5ELNS1_3repE0EEENS1_30default_config_static_selectorELNS0_4arch9wavefront6targetE0EEEvSR_, .Lfunc_end274-_ZN7rocprim17ROCPRIM_400000_NS6detail17trampoline_kernelINS0_14default_configENS1_32segmented_reduce_config_selectorIN3c108BFloat16EEEZNS1_21segmented_reduce_implIS3_PKS6_PS6_PKlS6_N6hipcub16HIPCUB_304000_NS6detail27convert_result_type_wrapperISA_SB_N2at6native12_GLOBAL__N_110CustomProdEEEEE10hipError_tPvRmT0_T1_jT2_SS_T4_T3_P12ihipStream_tbEUlT_E_NS1_11comp_targetILNS1_3genE10ELNS1_11target_archE1201ELNS1_3gpuE5ELNS1_3repE0EEENS1_30default_config_static_selectorELNS0_4arch9wavefront6targetE0EEEvSR_
                                        ; -- End function
	.set _ZN7rocprim17ROCPRIM_400000_NS6detail17trampoline_kernelINS0_14default_configENS1_32segmented_reduce_config_selectorIN3c108BFloat16EEEZNS1_21segmented_reduce_implIS3_PKS6_PS6_PKlS6_N6hipcub16HIPCUB_304000_NS6detail27convert_result_type_wrapperISA_SB_N2at6native12_GLOBAL__N_110CustomProdEEEEE10hipError_tPvRmT0_T1_jT2_SS_T4_T3_P12ihipStream_tbEUlT_E_NS1_11comp_targetILNS1_3genE10ELNS1_11target_archE1201ELNS1_3gpuE5ELNS1_3repE0EEENS1_30default_config_static_selectorELNS0_4arch9wavefront6targetE0EEEvSR_.num_vgpr, 0
	.set _ZN7rocprim17ROCPRIM_400000_NS6detail17trampoline_kernelINS0_14default_configENS1_32segmented_reduce_config_selectorIN3c108BFloat16EEEZNS1_21segmented_reduce_implIS3_PKS6_PS6_PKlS6_N6hipcub16HIPCUB_304000_NS6detail27convert_result_type_wrapperISA_SB_N2at6native12_GLOBAL__N_110CustomProdEEEEE10hipError_tPvRmT0_T1_jT2_SS_T4_T3_P12ihipStream_tbEUlT_E_NS1_11comp_targetILNS1_3genE10ELNS1_11target_archE1201ELNS1_3gpuE5ELNS1_3repE0EEENS1_30default_config_static_selectorELNS0_4arch9wavefront6targetE0EEEvSR_.num_agpr, 0
	.set _ZN7rocprim17ROCPRIM_400000_NS6detail17trampoline_kernelINS0_14default_configENS1_32segmented_reduce_config_selectorIN3c108BFloat16EEEZNS1_21segmented_reduce_implIS3_PKS6_PS6_PKlS6_N6hipcub16HIPCUB_304000_NS6detail27convert_result_type_wrapperISA_SB_N2at6native12_GLOBAL__N_110CustomProdEEEEE10hipError_tPvRmT0_T1_jT2_SS_T4_T3_P12ihipStream_tbEUlT_E_NS1_11comp_targetILNS1_3genE10ELNS1_11target_archE1201ELNS1_3gpuE5ELNS1_3repE0EEENS1_30default_config_static_selectorELNS0_4arch9wavefront6targetE0EEEvSR_.numbered_sgpr, 0
	.set _ZN7rocprim17ROCPRIM_400000_NS6detail17trampoline_kernelINS0_14default_configENS1_32segmented_reduce_config_selectorIN3c108BFloat16EEEZNS1_21segmented_reduce_implIS3_PKS6_PS6_PKlS6_N6hipcub16HIPCUB_304000_NS6detail27convert_result_type_wrapperISA_SB_N2at6native12_GLOBAL__N_110CustomProdEEEEE10hipError_tPvRmT0_T1_jT2_SS_T4_T3_P12ihipStream_tbEUlT_E_NS1_11comp_targetILNS1_3genE10ELNS1_11target_archE1201ELNS1_3gpuE5ELNS1_3repE0EEENS1_30default_config_static_selectorELNS0_4arch9wavefront6targetE0EEEvSR_.num_named_barrier, 0
	.set _ZN7rocprim17ROCPRIM_400000_NS6detail17trampoline_kernelINS0_14default_configENS1_32segmented_reduce_config_selectorIN3c108BFloat16EEEZNS1_21segmented_reduce_implIS3_PKS6_PS6_PKlS6_N6hipcub16HIPCUB_304000_NS6detail27convert_result_type_wrapperISA_SB_N2at6native12_GLOBAL__N_110CustomProdEEEEE10hipError_tPvRmT0_T1_jT2_SS_T4_T3_P12ihipStream_tbEUlT_E_NS1_11comp_targetILNS1_3genE10ELNS1_11target_archE1201ELNS1_3gpuE5ELNS1_3repE0EEENS1_30default_config_static_selectorELNS0_4arch9wavefront6targetE0EEEvSR_.private_seg_size, 0
	.set _ZN7rocprim17ROCPRIM_400000_NS6detail17trampoline_kernelINS0_14default_configENS1_32segmented_reduce_config_selectorIN3c108BFloat16EEEZNS1_21segmented_reduce_implIS3_PKS6_PS6_PKlS6_N6hipcub16HIPCUB_304000_NS6detail27convert_result_type_wrapperISA_SB_N2at6native12_GLOBAL__N_110CustomProdEEEEE10hipError_tPvRmT0_T1_jT2_SS_T4_T3_P12ihipStream_tbEUlT_E_NS1_11comp_targetILNS1_3genE10ELNS1_11target_archE1201ELNS1_3gpuE5ELNS1_3repE0EEENS1_30default_config_static_selectorELNS0_4arch9wavefront6targetE0EEEvSR_.uses_vcc, 0
	.set _ZN7rocprim17ROCPRIM_400000_NS6detail17trampoline_kernelINS0_14default_configENS1_32segmented_reduce_config_selectorIN3c108BFloat16EEEZNS1_21segmented_reduce_implIS3_PKS6_PS6_PKlS6_N6hipcub16HIPCUB_304000_NS6detail27convert_result_type_wrapperISA_SB_N2at6native12_GLOBAL__N_110CustomProdEEEEE10hipError_tPvRmT0_T1_jT2_SS_T4_T3_P12ihipStream_tbEUlT_E_NS1_11comp_targetILNS1_3genE10ELNS1_11target_archE1201ELNS1_3gpuE5ELNS1_3repE0EEENS1_30default_config_static_selectorELNS0_4arch9wavefront6targetE0EEEvSR_.uses_flat_scratch, 0
	.set _ZN7rocprim17ROCPRIM_400000_NS6detail17trampoline_kernelINS0_14default_configENS1_32segmented_reduce_config_selectorIN3c108BFloat16EEEZNS1_21segmented_reduce_implIS3_PKS6_PS6_PKlS6_N6hipcub16HIPCUB_304000_NS6detail27convert_result_type_wrapperISA_SB_N2at6native12_GLOBAL__N_110CustomProdEEEEE10hipError_tPvRmT0_T1_jT2_SS_T4_T3_P12ihipStream_tbEUlT_E_NS1_11comp_targetILNS1_3genE10ELNS1_11target_archE1201ELNS1_3gpuE5ELNS1_3repE0EEENS1_30default_config_static_selectorELNS0_4arch9wavefront6targetE0EEEvSR_.has_dyn_sized_stack, 0
	.set _ZN7rocprim17ROCPRIM_400000_NS6detail17trampoline_kernelINS0_14default_configENS1_32segmented_reduce_config_selectorIN3c108BFloat16EEEZNS1_21segmented_reduce_implIS3_PKS6_PS6_PKlS6_N6hipcub16HIPCUB_304000_NS6detail27convert_result_type_wrapperISA_SB_N2at6native12_GLOBAL__N_110CustomProdEEEEE10hipError_tPvRmT0_T1_jT2_SS_T4_T3_P12ihipStream_tbEUlT_E_NS1_11comp_targetILNS1_3genE10ELNS1_11target_archE1201ELNS1_3gpuE5ELNS1_3repE0EEENS1_30default_config_static_selectorELNS0_4arch9wavefront6targetE0EEEvSR_.has_recursion, 0
	.set _ZN7rocprim17ROCPRIM_400000_NS6detail17trampoline_kernelINS0_14default_configENS1_32segmented_reduce_config_selectorIN3c108BFloat16EEEZNS1_21segmented_reduce_implIS3_PKS6_PS6_PKlS6_N6hipcub16HIPCUB_304000_NS6detail27convert_result_type_wrapperISA_SB_N2at6native12_GLOBAL__N_110CustomProdEEEEE10hipError_tPvRmT0_T1_jT2_SS_T4_T3_P12ihipStream_tbEUlT_E_NS1_11comp_targetILNS1_3genE10ELNS1_11target_archE1201ELNS1_3gpuE5ELNS1_3repE0EEENS1_30default_config_static_selectorELNS0_4arch9wavefront6targetE0EEEvSR_.has_indirect_call, 0
	.section	.AMDGPU.csdata,"",@progbits
; Kernel info:
; codeLenInByte = 0
; TotalNumSgprs: 0
; NumVgprs: 0
; ScratchSize: 0
; MemoryBound: 0
; FloatMode: 240
; IeeeMode: 1
; LDSByteSize: 0 bytes/workgroup (compile time only)
; SGPRBlocks: 0
; VGPRBlocks: 0
; NumSGPRsForWavesPerEU: 1
; NumVGPRsForWavesPerEU: 1
; NamedBarCnt: 0
; Occupancy: 16
; WaveLimiterHint : 0
; COMPUTE_PGM_RSRC2:SCRATCH_EN: 0
; COMPUTE_PGM_RSRC2:USER_SGPR: 2
; COMPUTE_PGM_RSRC2:TRAP_HANDLER: 0
; COMPUTE_PGM_RSRC2:TGID_X_EN: 1
; COMPUTE_PGM_RSRC2:TGID_Y_EN: 0
; COMPUTE_PGM_RSRC2:TGID_Z_EN: 0
; COMPUTE_PGM_RSRC2:TIDIG_COMP_CNT: 0
	.section	.text._ZN7rocprim17ROCPRIM_400000_NS6detail17trampoline_kernelINS0_14default_configENS1_32segmented_reduce_config_selectorIN3c108BFloat16EEEZNS1_21segmented_reduce_implIS3_PKS6_PS6_PKlS6_N6hipcub16HIPCUB_304000_NS6detail27convert_result_type_wrapperISA_SB_N2at6native12_GLOBAL__N_110CustomProdEEEEE10hipError_tPvRmT0_T1_jT2_SS_T4_T3_P12ihipStream_tbEUlT_E_NS1_11comp_targetILNS1_3genE4ELNS1_11target_archE910ELNS1_3gpuE8ELNS1_3repE0EEENS1_30default_config_static_selectorELNS0_4arch9wavefront6targetE0EEEvSR_,"axG",@progbits,_ZN7rocprim17ROCPRIM_400000_NS6detail17trampoline_kernelINS0_14default_configENS1_32segmented_reduce_config_selectorIN3c108BFloat16EEEZNS1_21segmented_reduce_implIS3_PKS6_PS6_PKlS6_N6hipcub16HIPCUB_304000_NS6detail27convert_result_type_wrapperISA_SB_N2at6native12_GLOBAL__N_110CustomProdEEEEE10hipError_tPvRmT0_T1_jT2_SS_T4_T3_P12ihipStream_tbEUlT_E_NS1_11comp_targetILNS1_3genE4ELNS1_11target_archE910ELNS1_3gpuE8ELNS1_3repE0EEENS1_30default_config_static_selectorELNS0_4arch9wavefront6targetE0EEEvSR_,comdat
	.globl	_ZN7rocprim17ROCPRIM_400000_NS6detail17trampoline_kernelINS0_14default_configENS1_32segmented_reduce_config_selectorIN3c108BFloat16EEEZNS1_21segmented_reduce_implIS3_PKS6_PS6_PKlS6_N6hipcub16HIPCUB_304000_NS6detail27convert_result_type_wrapperISA_SB_N2at6native12_GLOBAL__N_110CustomProdEEEEE10hipError_tPvRmT0_T1_jT2_SS_T4_T3_P12ihipStream_tbEUlT_E_NS1_11comp_targetILNS1_3genE4ELNS1_11target_archE910ELNS1_3gpuE8ELNS1_3repE0EEENS1_30default_config_static_selectorELNS0_4arch9wavefront6targetE0EEEvSR_ ; -- Begin function _ZN7rocprim17ROCPRIM_400000_NS6detail17trampoline_kernelINS0_14default_configENS1_32segmented_reduce_config_selectorIN3c108BFloat16EEEZNS1_21segmented_reduce_implIS3_PKS6_PS6_PKlS6_N6hipcub16HIPCUB_304000_NS6detail27convert_result_type_wrapperISA_SB_N2at6native12_GLOBAL__N_110CustomProdEEEEE10hipError_tPvRmT0_T1_jT2_SS_T4_T3_P12ihipStream_tbEUlT_E_NS1_11comp_targetILNS1_3genE4ELNS1_11target_archE910ELNS1_3gpuE8ELNS1_3repE0EEENS1_30default_config_static_selectorELNS0_4arch9wavefront6targetE0EEEvSR_
	.p2align	8
	.type	_ZN7rocprim17ROCPRIM_400000_NS6detail17trampoline_kernelINS0_14default_configENS1_32segmented_reduce_config_selectorIN3c108BFloat16EEEZNS1_21segmented_reduce_implIS3_PKS6_PS6_PKlS6_N6hipcub16HIPCUB_304000_NS6detail27convert_result_type_wrapperISA_SB_N2at6native12_GLOBAL__N_110CustomProdEEEEE10hipError_tPvRmT0_T1_jT2_SS_T4_T3_P12ihipStream_tbEUlT_E_NS1_11comp_targetILNS1_3genE4ELNS1_11target_archE910ELNS1_3gpuE8ELNS1_3repE0EEENS1_30default_config_static_selectorELNS0_4arch9wavefront6targetE0EEEvSR_,@function
_ZN7rocprim17ROCPRIM_400000_NS6detail17trampoline_kernelINS0_14default_configENS1_32segmented_reduce_config_selectorIN3c108BFloat16EEEZNS1_21segmented_reduce_implIS3_PKS6_PS6_PKlS6_N6hipcub16HIPCUB_304000_NS6detail27convert_result_type_wrapperISA_SB_N2at6native12_GLOBAL__N_110CustomProdEEEEE10hipError_tPvRmT0_T1_jT2_SS_T4_T3_P12ihipStream_tbEUlT_E_NS1_11comp_targetILNS1_3genE4ELNS1_11target_archE910ELNS1_3gpuE8ELNS1_3repE0EEENS1_30default_config_static_selectorELNS0_4arch9wavefront6targetE0EEEvSR_: ; @_ZN7rocprim17ROCPRIM_400000_NS6detail17trampoline_kernelINS0_14default_configENS1_32segmented_reduce_config_selectorIN3c108BFloat16EEEZNS1_21segmented_reduce_implIS3_PKS6_PS6_PKlS6_N6hipcub16HIPCUB_304000_NS6detail27convert_result_type_wrapperISA_SB_N2at6native12_GLOBAL__N_110CustomProdEEEEE10hipError_tPvRmT0_T1_jT2_SS_T4_T3_P12ihipStream_tbEUlT_E_NS1_11comp_targetILNS1_3genE4ELNS1_11target_archE910ELNS1_3gpuE8ELNS1_3repE0EEENS1_30default_config_static_selectorELNS0_4arch9wavefront6targetE0EEEvSR_
; %bb.0:
	.section	.rodata,"a",@progbits
	.p2align	6, 0x0
	.amdhsa_kernel _ZN7rocprim17ROCPRIM_400000_NS6detail17trampoline_kernelINS0_14default_configENS1_32segmented_reduce_config_selectorIN3c108BFloat16EEEZNS1_21segmented_reduce_implIS3_PKS6_PS6_PKlS6_N6hipcub16HIPCUB_304000_NS6detail27convert_result_type_wrapperISA_SB_N2at6native12_GLOBAL__N_110CustomProdEEEEE10hipError_tPvRmT0_T1_jT2_SS_T4_T3_P12ihipStream_tbEUlT_E_NS1_11comp_targetILNS1_3genE4ELNS1_11target_archE910ELNS1_3gpuE8ELNS1_3repE0EEENS1_30default_config_static_selectorELNS0_4arch9wavefront6targetE0EEEvSR_
		.amdhsa_group_segment_fixed_size 0
		.amdhsa_private_segment_fixed_size 0
		.amdhsa_kernarg_size 48
		.amdhsa_user_sgpr_count 2
		.amdhsa_user_sgpr_dispatch_ptr 0
		.amdhsa_user_sgpr_queue_ptr 0
		.amdhsa_user_sgpr_kernarg_segment_ptr 1
		.amdhsa_user_sgpr_dispatch_id 0
		.amdhsa_user_sgpr_kernarg_preload_length 0
		.amdhsa_user_sgpr_kernarg_preload_offset 0
		.amdhsa_user_sgpr_private_segment_size 0
		.amdhsa_wavefront_size32 1
		.amdhsa_uses_dynamic_stack 0
		.amdhsa_enable_private_segment 0
		.amdhsa_system_sgpr_workgroup_id_x 1
		.amdhsa_system_sgpr_workgroup_id_y 0
		.amdhsa_system_sgpr_workgroup_id_z 0
		.amdhsa_system_sgpr_workgroup_info 0
		.amdhsa_system_vgpr_workitem_id 0
		.amdhsa_next_free_vgpr 1
		.amdhsa_next_free_sgpr 1
		.amdhsa_named_barrier_count 0
		.amdhsa_reserve_vcc 0
		.amdhsa_float_round_mode_32 0
		.amdhsa_float_round_mode_16_64 0
		.amdhsa_float_denorm_mode_32 3
		.amdhsa_float_denorm_mode_16_64 3
		.amdhsa_fp16_overflow 0
		.amdhsa_memory_ordered 1
		.amdhsa_forward_progress 1
		.amdhsa_inst_pref_size 0
		.amdhsa_round_robin_scheduling 0
		.amdhsa_exception_fp_ieee_invalid_op 0
		.amdhsa_exception_fp_denorm_src 0
		.amdhsa_exception_fp_ieee_div_zero 0
		.amdhsa_exception_fp_ieee_overflow 0
		.amdhsa_exception_fp_ieee_underflow 0
		.amdhsa_exception_fp_ieee_inexact 0
		.amdhsa_exception_int_div_zero 0
	.end_amdhsa_kernel
	.section	.text._ZN7rocprim17ROCPRIM_400000_NS6detail17trampoline_kernelINS0_14default_configENS1_32segmented_reduce_config_selectorIN3c108BFloat16EEEZNS1_21segmented_reduce_implIS3_PKS6_PS6_PKlS6_N6hipcub16HIPCUB_304000_NS6detail27convert_result_type_wrapperISA_SB_N2at6native12_GLOBAL__N_110CustomProdEEEEE10hipError_tPvRmT0_T1_jT2_SS_T4_T3_P12ihipStream_tbEUlT_E_NS1_11comp_targetILNS1_3genE4ELNS1_11target_archE910ELNS1_3gpuE8ELNS1_3repE0EEENS1_30default_config_static_selectorELNS0_4arch9wavefront6targetE0EEEvSR_,"axG",@progbits,_ZN7rocprim17ROCPRIM_400000_NS6detail17trampoline_kernelINS0_14default_configENS1_32segmented_reduce_config_selectorIN3c108BFloat16EEEZNS1_21segmented_reduce_implIS3_PKS6_PS6_PKlS6_N6hipcub16HIPCUB_304000_NS6detail27convert_result_type_wrapperISA_SB_N2at6native12_GLOBAL__N_110CustomProdEEEEE10hipError_tPvRmT0_T1_jT2_SS_T4_T3_P12ihipStream_tbEUlT_E_NS1_11comp_targetILNS1_3genE4ELNS1_11target_archE910ELNS1_3gpuE8ELNS1_3repE0EEENS1_30default_config_static_selectorELNS0_4arch9wavefront6targetE0EEEvSR_,comdat
.Lfunc_end275:
	.size	_ZN7rocprim17ROCPRIM_400000_NS6detail17trampoline_kernelINS0_14default_configENS1_32segmented_reduce_config_selectorIN3c108BFloat16EEEZNS1_21segmented_reduce_implIS3_PKS6_PS6_PKlS6_N6hipcub16HIPCUB_304000_NS6detail27convert_result_type_wrapperISA_SB_N2at6native12_GLOBAL__N_110CustomProdEEEEE10hipError_tPvRmT0_T1_jT2_SS_T4_T3_P12ihipStream_tbEUlT_E_NS1_11comp_targetILNS1_3genE4ELNS1_11target_archE910ELNS1_3gpuE8ELNS1_3repE0EEENS1_30default_config_static_selectorELNS0_4arch9wavefront6targetE0EEEvSR_, .Lfunc_end275-_ZN7rocprim17ROCPRIM_400000_NS6detail17trampoline_kernelINS0_14default_configENS1_32segmented_reduce_config_selectorIN3c108BFloat16EEEZNS1_21segmented_reduce_implIS3_PKS6_PS6_PKlS6_N6hipcub16HIPCUB_304000_NS6detail27convert_result_type_wrapperISA_SB_N2at6native12_GLOBAL__N_110CustomProdEEEEE10hipError_tPvRmT0_T1_jT2_SS_T4_T3_P12ihipStream_tbEUlT_E_NS1_11comp_targetILNS1_3genE4ELNS1_11target_archE910ELNS1_3gpuE8ELNS1_3repE0EEENS1_30default_config_static_selectorELNS0_4arch9wavefront6targetE0EEEvSR_
                                        ; -- End function
	.set _ZN7rocprim17ROCPRIM_400000_NS6detail17trampoline_kernelINS0_14default_configENS1_32segmented_reduce_config_selectorIN3c108BFloat16EEEZNS1_21segmented_reduce_implIS3_PKS6_PS6_PKlS6_N6hipcub16HIPCUB_304000_NS6detail27convert_result_type_wrapperISA_SB_N2at6native12_GLOBAL__N_110CustomProdEEEEE10hipError_tPvRmT0_T1_jT2_SS_T4_T3_P12ihipStream_tbEUlT_E_NS1_11comp_targetILNS1_3genE4ELNS1_11target_archE910ELNS1_3gpuE8ELNS1_3repE0EEENS1_30default_config_static_selectorELNS0_4arch9wavefront6targetE0EEEvSR_.num_vgpr, 0
	.set _ZN7rocprim17ROCPRIM_400000_NS6detail17trampoline_kernelINS0_14default_configENS1_32segmented_reduce_config_selectorIN3c108BFloat16EEEZNS1_21segmented_reduce_implIS3_PKS6_PS6_PKlS6_N6hipcub16HIPCUB_304000_NS6detail27convert_result_type_wrapperISA_SB_N2at6native12_GLOBAL__N_110CustomProdEEEEE10hipError_tPvRmT0_T1_jT2_SS_T4_T3_P12ihipStream_tbEUlT_E_NS1_11comp_targetILNS1_3genE4ELNS1_11target_archE910ELNS1_3gpuE8ELNS1_3repE0EEENS1_30default_config_static_selectorELNS0_4arch9wavefront6targetE0EEEvSR_.num_agpr, 0
	.set _ZN7rocprim17ROCPRIM_400000_NS6detail17trampoline_kernelINS0_14default_configENS1_32segmented_reduce_config_selectorIN3c108BFloat16EEEZNS1_21segmented_reduce_implIS3_PKS6_PS6_PKlS6_N6hipcub16HIPCUB_304000_NS6detail27convert_result_type_wrapperISA_SB_N2at6native12_GLOBAL__N_110CustomProdEEEEE10hipError_tPvRmT0_T1_jT2_SS_T4_T3_P12ihipStream_tbEUlT_E_NS1_11comp_targetILNS1_3genE4ELNS1_11target_archE910ELNS1_3gpuE8ELNS1_3repE0EEENS1_30default_config_static_selectorELNS0_4arch9wavefront6targetE0EEEvSR_.numbered_sgpr, 0
	.set _ZN7rocprim17ROCPRIM_400000_NS6detail17trampoline_kernelINS0_14default_configENS1_32segmented_reduce_config_selectorIN3c108BFloat16EEEZNS1_21segmented_reduce_implIS3_PKS6_PS6_PKlS6_N6hipcub16HIPCUB_304000_NS6detail27convert_result_type_wrapperISA_SB_N2at6native12_GLOBAL__N_110CustomProdEEEEE10hipError_tPvRmT0_T1_jT2_SS_T4_T3_P12ihipStream_tbEUlT_E_NS1_11comp_targetILNS1_3genE4ELNS1_11target_archE910ELNS1_3gpuE8ELNS1_3repE0EEENS1_30default_config_static_selectorELNS0_4arch9wavefront6targetE0EEEvSR_.num_named_barrier, 0
	.set _ZN7rocprim17ROCPRIM_400000_NS6detail17trampoline_kernelINS0_14default_configENS1_32segmented_reduce_config_selectorIN3c108BFloat16EEEZNS1_21segmented_reduce_implIS3_PKS6_PS6_PKlS6_N6hipcub16HIPCUB_304000_NS6detail27convert_result_type_wrapperISA_SB_N2at6native12_GLOBAL__N_110CustomProdEEEEE10hipError_tPvRmT0_T1_jT2_SS_T4_T3_P12ihipStream_tbEUlT_E_NS1_11comp_targetILNS1_3genE4ELNS1_11target_archE910ELNS1_3gpuE8ELNS1_3repE0EEENS1_30default_config_static_selectorELNS0_4arch9wavefront6targetE0EEEvSR_.private_seg_size, 0
	.set _ZN7rocprim17ROCPRIM_400000_NS6detail17trampoline_kernelINS0_14default_configENS1_32segmented_reduce_config_selectorIN3c108BFloat16EEEZNS1_21segmented_reduce_implIS3_PKS6_PS6_PKlS6_N6hipcub16HIPCUB_304000_NS6detail27convert_result_type_wrapperISA_SB_N2at6native12_GLOBAL__N_110CustomProdEEEEE10hipError_tPvRmT0_T1_jT2_SS_T4_T3_P12ihipStream_tbEUlT_E_NS1_11comp_targetILNS1_3genE4ELNS1_11target_archE910ELNS1_3gpuE8ELNS1_3repE0EEENS1_30default_config_static_selectorELNS0_4arch9wavefront6targetE0EEEvSR_.uses_vcc, 0
	.set _ZN7rocprim17ROCPRIM_400000_NS6detail17trampoline_kernelINS0_14default_configENS1_32segmented_reduce_config_selectorIN3c108BFloat16EEEZNS1_21segmented_reduce_implIS3_PKS6_PS6_PKlS6_N6hipcub16HIPCUB_304000_NS6detail27convert_result_type_wrapperISA_SB_N2at6native12_GLOBAL__N_110CustomProdEEEEE10hipError_tPvRmT0_T1_jT2_SS_T4_T3_P12ihipStream_tbEUlT_E_NS1_11comp_targetILNS1_3genE4ELNS1_11target_archE910ELNS1_3gpuE8ELNS1_3repE0EEENS1_30default_config_static_selectorELNS0_4arch9wavefront6targetE0EEEvSR_.uses_flat_scratch, 0
	.set _ZN7rocprim17ROCPRIM_400000_NS6detail17trampoline_kernelINS0_14default_configENS1_32segmented_reduce_config_selectorIN3c108BFloat16EEEZNS1_21segmented_reduce_implIS3_PKS6_PS6_PKlS6_N6hipcub16HIPCUB_304000_NS6detail27convert_result_type_wrapperISA_SB_N2at6native12_GLOBAL__N_110CustomProdEEEEE10hipError_tPvRmT0_T1_jT2_SS_T4_T3_P12ihipStream_tbEUlT_E_NS1_11comp_targetILNS1_3genE4ELNS1_11target_archE910ELNS1_3gpuE8ELNS1_3repE0EEENS1_30default_config_static_selectorELNS0_4arch9wavefront6targetE0EEEvSR_.has_dyn_sized_stack, 0
	.set _ZN7rocprim17ROCPRIM_400000_NS6detail17trampoline_kernelINS0_14default_configENS1_32segmented_reduce_config_selectorIN3c108BFloat16EEEZNS1_21segmented_reduce_implIS3_PKS6_PS6_PKlS6_N6hipcub16HIPCUB_304000_NS6detail27convert_result_type_wrapperISA_SB_N2at6native12_GLOBAL__N_110CustomProdEEEEE10hipError_tPvRmT0_T1_jT2_SS_T4_T3_P12ihipStream_tbEUlT_E_NS1_11comp_targetILNS1_3genE4ELNS1_11target_archE910ELNS1_3gpuE8ELNS1_3repE0EEENS1_30default_config_static_selectorELNS0_4arch9wavefront6targetE0EEEvSR_.has_recursion, 0
	.set _ZN7rocprim17ROCPRIM_400000_NS6detail17trampoline_kernelINS0_14default_configENS1_32segmented_reduce_config_selectorIN3c108BFloat16EEEZNS1_21segmented_reduce_implIS3_PKS6_PS6_PKlS6_N6hipcub16HIPCUB_304000_NS6detail27convert_result_type_wrapperISA_SB_N2at6native12_GLOBAL__N_110CustomProdEEEEE10hipError_tPvRmT0_T1_jT2_SS_T4_T3_P12ihipStream_tbEUlT_E_NS1_11comp_targetILNS1_3genE4ELNS1_11target_archE910ELNS1_3gpuE8ELNS1_3repE0EEENS1_30default_config_static_selectorELNS0_4arch9wavefront6targetE0EEEvSR_.has_indirect_call, 0
	.section	.AMDGPU.csdata,"",@progbits
; Kernel info:
; codeLenInByte = 0
; TotalNumSgprs: 0
; NumVgprs: 0
; ScratchSize: 0
; MemoryBound: 0
; FloatMode: 240
; IeeeMode: 1
; LDSByteSize: 0 bytes/workgroup (compile time only)
; SGPRBlocks: 0
; VGPRBlocks: 0
; NumSGPRsForWavesPerEU: 1
; NumVGPRsForWavesPerEU: 1
; NamedBarCnt: 0
; Occupancy: 16
; WaveLimiterHint : 0
; COMPUTE_PGM_RSRC2:SCRATCH_EN: 0
; COMPUTE_PGM_RSRC2:USER_SGPR: 2
; COMPUTE_PGM_RSRC2:TRAP_HANDLER: 0
; COMPUTE_PGM_RSRC2:TGID_X_EN: 1
; COMPUTE_PGM_RSRC2:TGID_Y_EN: 0
; COMPUTE_PGM_RSRC2:TGID_Z_EN: 0
; COMPUTE_PGM_RSRC2:TIDIG_COMP_CNT: 0
	.section	.text._ZN7rocprim17ROCPRIM_400000_NS6detail17trampoline_kernelINS0_14default_configENS1_32segmented_reduce_config_selectorIN3c108BFloat16EEEZNS1_21segmented_reduce_implIS3_PKS6_PS6_PKlS6_N6hipcub16HIPCUB_304000_NS6detail27convert_result_type_wrapperISA_SB_N2at6native12_GLOBAL__N_110CustomProdEEEEE10hipError_tPvRmT0_T1_jT2_SS_T4_T3_P12ihipStream_tbEUlT_E_NS1_11comp_targetILNS1_3genE3ELNS1_11target_archE908ELNS1_3gpuE7ELNS1_3repE0EEENS1_30default_config_static_selectorELNS0_4arch9wavefront6targetE0EEEvSR_,"axG",@progbits,_ZN7rocprim17ROCPRIM_400000_NS6detail17trampoline_kernelINS0_14default_configENS1_32segmented_reduce_config_selectorIN3c108BFloat16EEEZNS1_21segmented_reduce_implIS3_PKS6_PS6_PKlS6_N6hipcub16HIPCUB_304000_NS6detail27convert_result_type_wrapperISA_SB_N2at6native12_GLOBAL__N_110CustomProdEEEEE10hipError_tPvRmT0_T1_jT2_SS_T4_T3_P12ihipStream_tbEUlT_E_NS1_11comp_targetILNS1_3genE3ELNS1_11target_archE908ELNS1_3gpuE7ELNS1_3repE0EEENS1_30default_config_static_selectorELNS0_4arch9wavefront6targetE0EEEvSR_,comdat
	.globl	_ZN7rocprim17ROCPRIM_400000_NS6detail17trampoline_kernelINS0_14default_configENS1_32segmented_reduce_config_selectorIN3c108BFloat16EEEZNS1_21segmented_reduce_implIS3_PKS6_PS6_PKlS6_N6hipcub16HIPCUB_304000_NS6detail27convert_result_type_wrapperISA_SB_N2at6native12_GLOBAL__N_110CustomProdEEEEE10hipError_tPvRmT0_T1_jT2_SS_T4_T3_P12ihipStream_tbEUlT_E_NS1_11comp_targetILNS1_3genE3ELNS1_11target_archE908ELNS1_3gpuE7ELNS1_3repE0EEENS1_30default_config_static_selectorELNS0_4arch9wavefront6targetE0EEEvSR_ ; -- Begin function _ZN7rocprim17ROCPRIM_400000_NS6detail17trampoline_kernelINS0_14default_configENS1_32segmented_reduce_config_selectorIN3c108BFloat16EEEZNS1_21segmented_reduce_implIS3_PKS6_PS6_PKlS6_N6hipcub16HIPCUB_304000_NS6detail27convert_result_type_wrapperISA_SB_N2at6native12_GLOBAL__N_110CustomProdEEEEE10hipError_tPvRmT0_T1_jT2_SS_T4_T3_P12ihipStream_tbEUlT_E_NS1_11comp_targetILNS1_3genE3ELNS1_11target_archE908ELNS1_3gpuE7ELNS1_3repE0EEENS1_30default_config_static_selectorELNS0_4arch9wavefront6targetE0EEEvSR_
	.p2align	8
	.type	_ZN7rocprim17ROCPRIM_400000_NS6detail17trampoline_kernelINS0_14default_configENS1_32segmented_reduce_config_selectorIN3c108BFloat16EEEZNS1_21segmented_reduce_implIS3_PKS6_PS6_PKlS6_N6hipcub16HIPCUB_304000_NS6detail27convert_result_type_wrapperISA_SB_N2at6native12_GLOBAL__N_110CustomProdEEEEE10hipError_tPvRmT0_T1_jT2_SS_T4_T3_P12ihipStream_tbEUlT_E_NS1_11comp_targetILNS1_3genE3ELNS1_11target_archE908ELNS1_3gpuE7ELNS1_3repE0EEENS1_30default_config_static_selectorELNS0_4arch9wavefront6targetE0EEEvSR_,@function
_ZN7rocprim17ROCPRIM_400000_NS6detail17trampoline_kernelINS0_14default_configENS1_32segmented_reduce_config_selectorIN3c108BFloat16EEEZNS1_21segmented_reduce_implIS3_PKS6_PS6_PKlS6_N6hipcub16HIPCUB_304000_NS6detail27convert_result_type_wrapperISA_SB_N2at6native12_GLOBAL__N_110CustomProdEEEEE10hipError_tPvRmT0_T1_jT2_SS_T4_T3_P12ihipStream_tbEUlT_E_NS1_11comp_targetILNS1_3genE3ELNS1_11target_archE908ELNS1_3gpuE7ELNS1_3repE0EEENS1_30default_config_static_selectorELNS0_4arch9wavefront6targetE0EEEvSR_: ; @_ZN7rocprim17ROCPRIM_400000_NS6detail17trampoline_kernelINS0_14default_configENS1_32segmented_reduce_config_selectorIN3c108BFloat16EEEZNS1_21segmented_reduce_implIS3_PKS6_PS6_PKlS6_N6hipcub16HIPCUB_304000_NS6detail27convert_result_type_wrapperISA_SB_N2at6native12_GLOBAL__N_110CustomProdEEEEE10hipError_tPvRmT0_T1_jT2_SS_T4_T3_P12ihipStream_tbEUlT_E_NS1_11comp_targetILNS1_3genE3ELNS1_11target_archE908ELNS1_3gpuE7ELNS1_3repE0EEENS1_30default_config_static_selectorELNS0_4arch9wavefront6targetE0EEEvSR_
; %bb.0:
	.section	.rodata,"a",@progbits
	.p2align	6, 0x0
	.amdhsa_kernel _ZN7rocprim17ROCPRIM_400000_NS6detail17trampoline_kernelINS0_14default_configENS1_32segmented_reduce_config_selectorIN3c108BFloat16EEEZNS1_21segmented_reduce_implIS3_PKS6_PS6_PKlS6_N6hipcub16HIPCUB_304000_NS6detail27convert_result_type_wrapperISA_SB_N2at6native12_GLOBAL__N_110CustomProdEEEEE10hipError_tPvRmT0_T1_jT2_SS_T4_T3_P12ihipStream_tbEUlT_E_NS1_11comp_targetILNS1_3genE3ELNS1_11target_archE908ELNS1_3gpuE7ELNS1_3repE0EEENS1_30default_config_static_selectorELNS0_4arch9wavefront6targetE0EEEvSR_
		.amdhsa_group_segment_fixed_size 0
		.amdhsa_private_segment_fixed_size 0
		.amdhsa_kernarg_size 48
		.amdhsa_user_sgpr_count 2
		.amdhsa_user_sgpr_dispatch_ptr 0
		.amdhsa_user_sgpr_queue_ptr 0
		.amdhsa_user_sgpr_kernarg_segment_ptr 1
		.amdhsa_user_sgpr_dispatch_id 0
		.amdhsa_user_sgpr_kernarg_preload_length 0
		.amdhsa_user_sgpr_kernarg_preload_offset 0
		.amdhsa_user_sgpr_private_segment_size 0
		.amdhsa_wavefront_size32 1
		.amdhsa_uses_dynamic_stack 0
		.amdhsa_enable_private_segment 0
		.amdhsa_system_sgpr_workgroup_id_x 1
		.amdhsa_system_sgpr_workgroup_id_y 0
		.amdhsa_system_sgpr_workgroup_id_z 0
		.amdhsa_system_sgpr_workgroup_info 0
		.amdhsa_system_vgpr_workitem_id 0
		.amdhsa_next_free_vgpr 1
		.amdhsa_next_free_sgpr 1
		.amdhsa_named_barrier_count 0
		.amdhsa_reserve_vcc 0
		.amdhsa_float_round_mode_32 0
		.amdhsa_float_round_mode_16_64 0
		.amdhsa_float_denorm_mode_32 3
		.amdhsa_float_denorm_mode_16_64 3
		.amdhsa_fp16_overflow 0
		.amdhsa_memory_ordered 1
		.amdhsa_forward_progress 1
		.amdhsa_inst_pref_size 0
		.amdhsa_round_robin_scheduling 0
		.amdhsa_exception_fp_ieee_invalid_op 0
		.amdhsa_exception_fp_denorm_src 0
		.amdhsa_exception_fp_ieee_div_zero 0
		.amdhsa_exception_fp_ieee_overflow 0
		.amdhsa_exception_fp_ieee_underflow 0
		.amdhsa_exception_fp_ieee_inexact 0
		.amdhsa_exception_int_div_zero 0
	.end_amdhsa_kernel
	.section	.text._ZN7rocprim17ROCPRIM_400000_NS6detail17trampoline_kernelINS0_14default_configENS1_32segmented_reduce_config_selectorIN3c108BFloat16EEEZNS1_21segmented_reduce_implIS3_PKS6_PS6_PKlS6_N6hipcub16HIPCUB_304000_NS6detail27convert_result_type_wrapperISA_SB_N2at6native12_GLOBAL__N_110CustomProdEEEEE10hipError_tPvRmT0_T1_jT2_SS_T4_T3_P12ihipStream_tbEUlT_E_NS1_11comp_targetILNS1_3genE3ELNS1_11target_archE908ELNS1_3gpuE7ELNS1_3repE0EEENS1_30default_config_static_selectorELNS0_4arch9wavefront6targetE0EEEvSR_,"axG",@progbits,_ZN7rocprim17ROCPRIM_400000_NS6detail17trampoline_kernelINS0_14default_configENS1_32segmented_reduce_config_selectorIN3c108BFloat16EEEZNS1_21segmented_reduce_implIS3_PKS6_PS6_PKlS6_N6hipcub16HIPCUB_304000_NS6detail27convert_result_type_wrapperISA_SB_N2at6native12_GLOBAL__N_110CustomProdEEEEE10hipError_tPvRmT0_T1_jT2_SS_T4_T3_P12ihipStream_tbEUlT_E_NS1_11comp_targetILNS1_3genE3ELNS1_11target_archE908ELNS1_3gpuE7ELNS1_3repE0EEENS1_30default_config_static_selectorELNS0_4arch9wavefront6targetE0EEEvSR_,comdat
.Lfunc_end276:
	.size	_ZN7rocprim17ROCPRIM_400000_NS6detail17trampoline_kernelINS0_14default_configENS1_32segmented_reduce_config_selectorIN3c108BFloat16EEEZNS1_21segmented_reduce_implIS3_PKS6_PS6_PKlS6_N6hipcub16HIPCUB_304000_NS6detail27convert_result_type_wrapperISA_SB_N2at6native12_GLOBAL__N_110CustomProdEEEEE10hipError_tPvRmT0_T1_jT2_SS_T4_T3_P12ihipStream_tbEUlT_E_NS1_11comp_targetILNS1_3genE3ELNS1_11target_archE908ELNS1_3gpuE7ELNS1_3repE0EEENS1_30default_config_static_selectorELNS0_4arch9wavefront6targetE0EEEvSR_, .Lfunc_end276-_ZN7rocprim17ROCPRIM_400000_NS6detail17trampoline_kernelINS0_14default_configENS1_32segmented_reduce_config_selectorIN3c108BFloat16EEEZNS1_21segmented_reduce_implIS3_PKS6_PS6_PKlS6_N6hipcub16HIPCUB_304000_NS6detail27convert_result_type_wrapperISA_SB_N2at6native12_GLOBAL__N_110CustomProdEEEEE10hipError_tPvRmT0_T1_jT2_SS_T4_T3_P12ihipStream_tbEUlT_E_NS1_11comp_targetILNS1_3genE3ELNS1_11target_archE908ELNS1_3gpuE7ELNS1_3repE0EEENS1_30default_config_static_selectorELNS0_4arch9wavefront6targetE0EEEvSR_
                                        ; -- End function
	.set _ZN7rocprim17ROCPRIM_400000_NS6detail17trampoline_kernelINS0_14default_configENS1_32segmented_reduce_config_selectorIN3c108BFloat16EEEZNS1_21segmented_reduce_implIS3_PKS6_PS6_PKlS6_N6hipcub16HIPCUB_304000_NS6detail27convert_result_type_wrapperISA_SB_N2at6native12_GLOBAL__N_110CustomProdEEEEE10hipError_tPvRmT0_T1_jT2_SS_T4_T3_P12ihipStream_tbEUlT_E_NS1_11comp_targetILNS1_3genE3ELNS1_11target_archE908ELNS1_3gpuE7ELNS1_3repE0EEENS1_30default_config_static_selectorELNS0_4arch9wavefront6targetE0EEEvSR_.num_vgpr, 0
	.set _ZN7rocprim17ROCPRIM_400000_NS6detail17trampoline_kernelINS0_14default_configENS1_32segmented_reduce_config_selectorIN3c108BFloat16EEEZNS1_21segmented_reduce_implIS3_PKS6_PS6_PKlS6_N6hipcub16HIPCUB_304000_NS6detail27convert_result_type_wrapperISA_SB_N2at6native12_GLOBAL__N_110CustomProdEEEEE10hipError_tPvRmT0_T1_jT2_SS_T4_T3_P12ihipStream_tbEUlT_E_NS1_11comp_targetILNS1_3genE3ELNS1_11target_archE908ELNS1_3gpuE7ELNS1_3repE0EEENS1_30default_config_static_selectorELNS0_4arch9wavefront6targetE0EEEvSR_.num_agpr, 0
	.set _ZN7rocprim17ROCPRIM_400000_NS6detail17trampoline_kernelINS0_14default_configENS1_32segmented_reduce_config_selectorIN3c108BFloat16EEEZNS1_21segmented_reduce_implIS3_PKS6_PS6_PKlS6_N6hipcub16HIPCUB_304000_NS6detail27convert_result_type_wrapperISA_SB_N2at6native12_GLOBAL__N_110CustomProdEEEEE10hipError_tPvRmT0_T1_jT2_SS_T4_T3_P12ihipStream_tbEUlT_E_NS1_11comp_targetILNS1_3genE3ELNS1_11target_archE908ELNS1_3gpuE7ELNS1_3repE0EEENS1_30default_config_static_selectorELNS0_4arch9wavefront6targetE0EEEvSR_.numbered_sgpr, 0
	.set _ZN7rocprim17ROCPRIM_400000_NS6detail17trampoline_kernelINS0_14default_configENS1_32segmented_reduce_config_selectorIN3c108BFloat16EEEZNS1_21segmented_reduce_implIS3_PKS6_PS6_PKlS6_N6hipcub16HIPCUB_304000_NS6detail27convert_result_type_wrapperISA_SB_N2at6native12_GLOBAL__N_110CustomProdEEEEE10hipError_tPvRmT0_T1_jT2_SS_T4_T3_P12ihipStream_tbEUlT_E_NS1_11comp_targetILNS1_3genE3ELNS1_11target_archE908ELNS1_3gpuE7ELNS1_3repE0EEENS1_30default_config_static_selectorELNS0_4arch9wavefront6targetE0EEEvSR_.num_named_barrier, 0
	.set _ZN7rocprim17ROCPRIM_400000_NS6detail17trampoline_kernelINS0_14default_configENS1_32segmented_reduce_config_selectorIN3c108BFloat16EEEZNS1_21segmented_reduce_implIS3_PKS6_PS6_PKlS6_N6hipcub16HIPCUB_304000_NS6detail27convert_result_type_wrapperISA_SB_N2at6native12_GLOBAL__N_110CustomProdEEEEE10hipError_tPvRmT0_T1_jT2_SS_T4_T3_P12ihipStream_tbEUlT_E_NS1_11comp_targetILNS1_3genE3ELNS1_11target_archE908ELNS1_3gpuE7ELNS1_3repE0EEENS1_30default_config_static_selectorELNS0_4arch9wavefront6targetE0EEEvSR_.private_seg_size, 0
	.set _ZN7rocprim17ROCPRIM_400000_NS6detail17trampoline_kernelINS0_14default_configENS1_32segmented_reduce_config_selectorIN3c108BFloat16EEEZNS1_21segmented_reduce_implIS3_PKS6_PS6_PKlS6_N6hipcub16HIPCUB_304000_NS6detail27convert_result_type_wrapperISA_SB_N2at6native12_GLOBAL__N_110CustomProdEEEEE10hipError_tPvRmT0_T1_jT2_SS_T4_T3_P12ihipStream_tbEUlT_E_NS1_11comp_targetILNS1_3genE3ELNS1_11target_archE908ELNS1_3gpuE7ELNS1_3repE0EEENS1_30default_config_static_selectorELNS0_4arch9wavefront6targetE0EEEvSR_.uses_vcc, 0
	.set _ZN7rocprim17ROCPRIM_400000_NS6detail17trampoline_kernelINS0_14default_configENS1_32segmented_reduce_config_selectorIN3c108BFloat16EEEZNS1_21segmented_reduce_implIS3_PKS6_PS6_PKlS6_N6hipcub16HIPCUB_304000_NS6detail27convert_result_type_wrapperISA_SB_N2at6native12_GLOBAL__N_110CustomProdEEEEE10hipError_tPvRmT0_T1_jT2_SS_T4_T3_P12ihipStream_tbEUlT_E_NS1_11comp_targetILNS1_3genE3ELNS1_11target_archE908ELNS1_3gpuE7ELNS1_3repE0EEENS1_30default_config_static_selectorELNS0_4arch9wavefront6targetE0EEEvSR_.uses_flat_scratch, 0
	.set _ZN7rocprim17ROCPRIM_400000_NS6detail17trampoline_kernelINS0_14default_configENS1_32segmented_reduce_config_selectorIN3c108BFloat16EEEZNS1_21segmented_reduce_implIS3_PKS6_PS6_PKlS6_N6hipcub16HIPCUB_304000_NS6detail27convert_result_type_wrapperISA_SB_N2at6native12_GLOBAL__N_110CustomProdEEEEE10hipError_tPvRmT0_T1_jT2_SS_T4_T3_P12ihipStream_tbEUlT_E_NS1_11comp_targetILNS1_3genE3ELNS1_11target_archE908ELNS1_3gpuE7ELNS1_3repE0EEENS1_30default_config_static_selectorELNS0_4arch9wavefront6targetE0EEEvSR_.has_dyn_sized_stack, 0
	.set _ZN7rocprim17ROCPRIM_400000_NS6detail17trampoline_kernelINS0_14default_configENS1_32segmented_reduce_config_selectorIN3c108BFloat16EEEZNS1_21segmented_reduce_implIS3_PKS6_PS6_PKlS6_N6hipcub16HIPCUB_304000_NS6detail27convert_result_type_wrapperISA_SB_N2at6native12_GLOBAL__N_110CustomProdEEEEE10hipError_tPvRmT0_T1_jT2_SS_T4_T3_P12ihipStream_tbEUlT_E_NS1_11comp_targetILNS1_3genE3ELNS1_11target_archE908ELNS1_3gpuE7ELNS1_3repE0EEENS1_30default_config_static_selectorELNS0_4arch9wavefront6targetE0EEEvSR_.has_recursion, 0
	.set _ZN7rocprim17ROCPRIM_400000_NS6detail17trampoline_kernelINS0_14default_configENS1_32segmented_reduce_config_selectorIN3c108BFloat16EEEZNS1_21segmented_reduce_implIS3_PKS6_PS6_PKlS6_N6hipcub16HIPCUB_304000_NS6detail27convert_result_type_wrapperISA_SB_N2at6native12_GLOBAL__N_110CustomProdEEEEE10hipError_tPvRmT0_T1_jT2_SS_T4_T3_P12ihipStream_tbEUlT_E_NS1_11comp_targetILNS1_3genE3ELNS1_11target_archE908ELNS1_3gpuE7ELNS1_3repE0EEENS1_30default_config_static_selectorELNS0_4arch9wavefront6targetE0EEEvSR_.has_indirect_call, 0
	.section	.AMDGPU.csdata,"",@progbits
; Kernel info:
; codeLenInByte = 0
; TotalNumSgprs: 0
; NumVgprs: 0
; ScratchSize: 0
; MemoryBound: 0
; FloatMode: 240
; IeeeMode: 1
; LDSByteSize: 0 bytes/workgroup (compile time only)
; SGPRBlocks: 0
; VGPRBlocks: 0
; NumSGPRsForWavesPerEU: 1
; NumVGPRsForWavesPerEU: 1
; NamedBarCnt: 0
; Occupancy: 16
; WaveLimiterHint : 0
; COMPUTE_PGM_RSRC2:SCRATCH_EN: 0
; COMPUTE_PGM_RSRC2:USER_SGPR: 2
; COMPUTE_PGM_RSRC2:TRAP_HANDLER: 0
; COMPUTE_PGM_RSRC2:TGID_X_EN: 1
; COMPUTE_PGM_RSRC2:TGID_Y_EN: 0
; COMPUTE_PGM_RSRC2:TGID_Z_EN: 0
; COMPUTE_PGM_RSRC2:TIDIG_COMP_CNT: 0
	.section	.text._ZN7rocprim17ROCPRIM_400000_NS6detail17trampoline_kernelINS0_14default_configENS1_32segmented_reduce_config_selectorIN3c108BFloat16EEEZNS1_21segmented_reduce_implIS3_PKS6_PS6_PKlS6_N6hipcub16HIPCUB_304000_NS6detail27convert_result_type_wrapperISA_SB_N2at6native12_GLOBAL__N_110CustomProdEEEEE10hipError_tPvRmT0_T1_jT2_SS_T4_T3_P12ihipStream_tbEUlT_E_NS1_11comp_targetILNS1_3genE2ELNS1_11target_archE906ELNS1_3gpuE6ELNS1_3repE0EEENS1_30default_config_static_selectorELNS0_4arch9wavefront6targetE0EEEvSR_,"axG",@progbits,_ZN7rocprim17ROCPRIM_400000_NS6detail17trampoline_kernelINS0_14default_configENS1_32segmented_reduce_config_selectorIN3c108BFloat16EEEZNS1_21segmented_reduce_implIS3_PKS6_PS6_PKlS6_N6hipcub16HIPCUB_304000_NS6detail27convert_result_type_wrapperISA_SB_N2at6native12_GLOBAL__N_110CustomProdEEEEE10hipError_tPvRmT0_T1_jT2_SS_T4_T3_P12ihipStream_tbEUlT_E_NS1_11comp_targetILNS1_3genE2ELNS1_11target_archE906ELNS1_3gpuE6ELNS1_3repE0EEENS1_30default_config_static_selectorELNS0_4arch9wavefront6targetE0EEEvSR_,comdat
	.globl	_ZN7rocprim17ROCPRIM_400000_NS6detail17trampoline_kernelINS0_14default_configENS1_32segmented_reduce_config_selectorIN3c108BFloat16EEEZNS1_21segmented_reduce_implIS3_PKS6_PS6_PKlS6_N6hipcub16HIPCUB_304000_NS6detail27convert_result_type_wrapperISA_SB_N2at6native12_GLOBAL__N_110CustomProdEEEEE10hipError_tPvRmT0_T1_jT2_SS_T4_T3_P12ihipStream_tbEUlT_E_NS1_11comp_targetILNS1_3genE2ELNS1_11target_archE906ELNS1_3gpuE6ELNS1_3repE0EEENS1_30default_config_static_selectorELNS0_4arch9wavefront6targetE0EEEvSR_ ; -- Begin function _ZN7rocprim17ROCPRIM_400000_NS6detail17trampoline_kernelINS0_14default_configENS1_32segmented_reduce_config_selectorIN3c108BFloat16EEEZNS1_21segmented_reduce_implIS3_PKS6_PS6_PKlS6_N6hipcub16HIPCUB_304000_NS6detail27convert_result_type_wrapperISA_SB_N2at6native12_GLOBAL__N_110CustomProdEEEEE10hipError_tPvRmT0_T1_jT2_SS_T4_T3_P12ihipStream_tbEUlT_E_NS1_11comp_targetILNS1_3genE2ELNS1_11target_archE906ELNS1_3gpuE6ELNS1_3repE0EEENS1_30default_config_static_selectorELNS0_4arch9wavefront6targetE0EEEvSR_
	.p2align	8
	.type	_ZN7rocprim17ROCPRIM_400000_NS6detail17trampoline_kernelINS0_14default_configENS1_32segmented_reduce_config_selectorIN3c108BFloat16EEEZNS1_21segmented_reduce_implIS3_PKS6_PS6_PKlS6_N6hipcub16HIPCUB_304000_NS6detail27convert_result_type_wrapperISA_SB_N2at6native12_GLOBAL__N_110CustomProdEEEEE10hipError_tPvRmT0_T1_jT2_SS_T4_T3_P12ihipStream_tbEUlT_E_NS1_11comp_targetILNS1_3genE2ELNS1_11target_archE906ELNS1_3gpuE6ELNS1_3repE0EEENS1_30default_config_static_selectorELNS0_4arch9wavefront6targetE0EEEvSR_,@function
_ZN7rocprim17ROCPRIM_400000_NS6detail17trampoline_kernelINS0_14default_configENS1_32segmented_reduce_config_selectorIN3c108BFloat16EEEZNS1_21segmented_reduce_implIS3_PKS6_PS6_PKlS6_N6hipcub16HIPCUB_304000_NS6detail27convert_result_type_wrapperISA_SB_N2at6native12_GLOBAL__N_110CustomProdEEEEE10hipError_tPvRmT0_T1_jT2_SS_T4_T3_P12ihipStream_tbEUlT_E_NS1_11comp_targetILNS1_3genE2ELNS1_11target_archE906ELNS1_3gpuE6ELNS1_3repE0EEENS1_30default_config_static_selectorELNS0_4arch9wavefront6targetE0EEEvSR_: ; @_ZN7rocprim17ROCPRIM_400000_NS6detail17trampoline_kernelINS0_14default_configENS1_32segmented_reduce_config_selectorIN3c108BFloat16EEEZNS1_21segmented_reduce_implIS3_PKS6_PS6_PKlS6_N6hipcub16HIPCUB_304000_NS6detail27convert_result_type_wrapperISA_SB_N2at6native12_GLOBAL__N_110CustomProdEEEEE10hipError_tPvRmT0_T1_jT2_SS_T4_T3_P12ihipStream_tbEUlT_E_NS1_11comp_targetILNS1_3genE2ELNS1_11target_archE906ELNS1_3gpuE6ELNS1_3repE0EEENS1_30default_config_static_selectorELNS0_4arch9wavefront6targetE0EEEvSR_
; %bb.0:
	.section	.rodata,"a",@progbits
	.p2align	6, 0x0
	.amdhsa_kernel _ZN7rocprim17ROCPRIM_400000_NS6detail17trampoline_kernelINS0_14default_configENS1_32segmented_reduce_config_selectorIN3c108BFloat16EEEZNS1_21segmented_reduce_implIS3_PKS6_PS6_PKlS6_N6hipcub16HIPCUB_304000_NS6detail27convert_result_type_wrapperISA_SB_N2at6native12_GLOBAL__N_110CustomProdEEEEE10hipError_tPvRmT0_T1_jT2_SS_T4_T3_P12ihipStream_tbEUlT_E_NS1_11comp_targetILNS1_3genE2ELNS1_11target_archE906ELNS1_3gpuE6ELNS1_3repE0EEENS1_30default_config_static_selectorELNS0_4arch9wavefront6targetE0EEEvSR_
		.amdhsa_group_segment_fixed_size 0
		.amdhsa_private_segment_fixed_size 0
		.amdhsa_kernarg_size 48
		.amdhsa_user_sgpr_count 2
		.amdhsa_user_sgpr_dispatch_ptr 0
		.amdhsa_user_sgpr_queue_ptr 0
		.amdhsa_user_sgpr_kernarg_segment_ptr 1
		.amdhsa_user_sgpr_dispatch_id 0
		.amdhsa_user_sgpr_kernarg_preload_length 0
		.amdhsa_user_sgpr_kernarg_preload_offset 0
		.amdhsa_user_sgpr_private_segment_size 0
		.amdhsa_wavefront_size32 1
		.amdhsa_uses_dynamic_stack 0
		.amdhsa_enable_private_segment 0
		.amdhsa_system_sgpr_workgroup_id_x 1
		.amdhsa_system_sgpr_workgroup_id_y 0
		.amdhsa_system_sgpr_workgroup_id_z 0
		.amdhsa_system_sgpr_workgroup_info 0
		.amdhsa_system_vgpr_workitem_id 0
		.amdhsa_next_free_vgpr 1
		.amdhsa_next_free_sgpr 1
		.amdhsa_named_barrier_count 0
		.amdhsa_reserve_vcc 0
		.amdhsa_float_round_mode_32 0
		.amdhsa_float_round_mode_16_64 0
		.amdhsa_float_denorm_mode_32 3
		.amdhsa_float_denorm_mode_16_64 3
		.amdhsa_fp16_overflow 0
		.amdhsa_memory_ordered 1
		.amdhsa_forward_progress 1
		.amdhsa_inst_pref_size 0
		.amdhsa_round_robin_scheduling 0
		.amdhsa_exception_fp_ieee_invalid_op 0
		.amdhsa_exception_fp_denorm_src 0
		.amdhsa_exception_fp_ieee_div_zero 0
		.amdhsa_exception_fp_ieee_overflow 0
		.amdhsa_exception_fp_ieee_underflow 0
		.amdhsa_exception_fp_ieee_inexact 0
		.amdhsa_exception_int_div_zero 0
	.end_amdhsa_kernel
	.section	.text._ZN7rocprim17ROCPRIM_400000_NS6detail17trampoline_kernelINS0_14default_configENS1_32segmented_reduce_config_selectorIN3c108BFloat16EEEZNS1_21segmented_reduce_implIS3_PKS6_PS6_PKlS6_N6hipcub16HIPCUB_304000_NS6detail27convert_result_type_wrapperISA_SB_N2at6native12_GLOBAL__N_110CustomProdEEEEE10hipError_tPvRmT0_T1_jT2_SS_T4_T3_P12ihipStream_tbEUlT_E_NS1_11comp_targetILNS1_3genE2ELNS1_11target_archE906ELNS1_3gpuE6ELNS1_3repE0EEENS1_30default_config_static_selectorELNS0_4arch9wavefront6targetE0EEEvSR_,"axG",@progbits,_ZN7rocprim17ROCPRIM_400000_NS6detail17trampoline_kernelINS0_14default_configENS1_32segmented_reduce_config_selectorIN3c108BFloat16EEEZNS1_21segmented_reduce_implIS3_PKS6_PS6_PKlS6_N6hipcub16HIPCUB_304000_NS6detail27convert_result_type_wrapperISA_SB_N2at6native12_GLOBAL__N_110CustomProdEEEEE10hipError_tPvRmT0_T1_jT2_SS_T4_T3_P12ihipStream_tbEUlT_E_NS1_11comp_targetILNS1_3genE2ELNS1_11target_archE906ELNS1_3gpuE6ELNS1_3repE0EEENS1_30default_config_static_selectorELNS0_4arch9wavefront6targetE0EEEvSR_,comdat
.Lfunc_end277:
	.size	_ZN7rocprim17ROCPRIM_400000_NS6detail17trampoline_kernelINS0_14default_configENS1_32segmented_reduce_config_selectorIN3c108BFloat16EEEZNS1_21segmented_reduce_implIS3_PKS6_PS6_PKlS6_N6hipcub16HIPCUB_304000_NS6detail27convert_result_type_wrapperISA_SB_N2at6native12_GLOBAL__N_110CustomProdEEEEE10hipError_tPvRmT0_T1_jT2_SS_T4_T3_P12ihipStream_tbEUlT_E_NS1_11comp_targetILNS1_3genE2ELNS1_11target_archE906ELNS1_3gpuE6ELNS1_3repE0EEENS1_30default_config_static_selectorELNS0_4arch9wavefront6targetE0EEEvSR_, .Lfunc_end277-_ZN7rocprim17ROCPRIM_400000_NS6detail17trampoline_kernelINS0_14default_configENS1_32segmented_reduce_config_selectorIN3c108BFloat16EEEZNS1_21segmented_reduce_implIS3_PKS6_PS6_PKlS6_N6hipcub16HIPCUB_304000_NS6detail27convert_result_type_wrapperISA_SB_N2at6native12_GLOBAL__N_110CustomProdEEEEE10hipError_tPvRmT0_T1_jT2_SS_T4_T3_P12ihipStream_tbEUlT_E_NS1_11comp_targetILNS1_3genE2ELNS1_11target_archE906ELNS1_3gpuE6ELNS1_3repE0EEENS1_30default_config_static_selectorELNS0_4arch9wavefront6targetE0EEEvSR_
                                        ; -- End function
	.set _ZN7rocprim17ROCPRIM_400000_NS6detail17trampoline_kernelINS0_14default_configENS1_32segmented_reduce_config_selectorIN3c108BFloat16EEEZNS1_21segmented_reduce_implIS3_PKS6_PS6_PKlS6_N6hipcub16HIPCUB_304000_NS6detail27convert_result_type_wrapperISA_SB_N2at6native12_GLOBAL__N_110CustomProdEEEEE10hipError_tPvRmT0_T1_jT2_SS_T4_T3_P12ihipStream_tbEUlT_E_NS1_11comp_targetILNS1_3genE2ELNS1_11target_archE906ELNS1_3gpuE6ELNS1_3repE0EEENS1_30default_config_static_selectorELNS0_4arch9wavefront6targetE0EEEvSR_.num_vgpr, 0
	.set _ZN7rocprim17ROCPRIM_400000_NS6detail17trampoline_kernelINS0_14default_configENS1_32segmented_reduce_config_selectorIN3c108BFloat16EEEZNS1_21segmented_reduce_implIS3_PKS6_PS6_PKlS6_N6hipcub16HIPCUB_304000_NS6detail27convert_result_type_wrapperISA_SB_N2at6native12_GLOBAL__N_110CustomProdEEEEE10hipError_tPvRmT0_T1_jT2_SS_T4_T3_P12ihipStream_tbEUlT_E_NS1_11comp_targetILNS1_3genE2ELNS1_11target_archE906ELNS1_3gpuE6ELNS1_3repE0EEENS1_30default_config_static_selectorELNS0_4arch9wavefront6targetE0EEEvSR_.num_agpr, 0
	.set _ZN7rocprim17ROCPRIM_400000_NS6detail17trampoline_kernelINS0_14default_configENS1_32segmented_reduce_config_selectorIN3c108BFloat16EEEZNS1_21segmented_reduce_implIS3_PKS6_PS6_PKlS6_N6hipcub16HIPCUB_304000_NS6detail27convert_result_type_wrapperISA_SB_N2at6native12_GLOBAL__N_110CustomProdEEEEE10hipError_tPvRmT0_T1_jT2_SS_T4_T3_P12ihipStream_tbEUlT_E_NS1_11comp_targetILNS1_3genE2ELNS1_11target_archE906ELNS1_3gpuE6ELNS1_3repE0EEENS1_30default_config_static_selectorELNS0_4arch9wavefront6targetE0EEEvSR_.numbered_sgpr, 0
	.set _ZN7rocprim17ROCPRIM_400000_NS6detail17trampoline_kernelINS0_14default_configENS1_32segmented_reduce_config_selectorIN3c108BFloat16EEEZNS1_21segmented_reduce_implIS3_PKS6_PS6_PKlS6_N6hipcub16HIPCUB_304000_NS6detail27convert_result_type_wrapperISA_SB_N2at6native12_GLOBAL__N_110CustomProdEEEEE10hipError_tPvRmT0_T1_jT2_SS_T4_T3_P12ihipStream_tbEUlT_E_NS1_11comp_targetILNS1_3genE2ELNS1_11target_archE906ELNS1_3gpuE6ELNS1_3repE0EEENS1_30default_config_static_selectorELNS0_4arch9wavefront6targetE0EEEvSR_.num_named_barrier, 0
	.set _ZN7rocprim17ROCPRIM_400000_NS6detail17trampoline_kernelINS0_14default_configENS1_32segmented_reduce_config_selectorIN3c108BFloat16EEEZNS1_21segmented_reduce_implIS3_PKS6_PS6_PKlS6_N6hipcub16HIPCUB_304000_NS6detail27convert_result_type_wrapperISA_SB_N2at6native12_GLOBAL__N_110CustomProdEEEEE10hipError_tPvRmT0_T1_jT2_SS_T4_T3_P12ihipStream_tbEUlT_E_NS1_11comp_targetILNS1_3genE2ELNS1_11target_archE906ELNS1_3gpuE6ELNS1_3repE0EEENS1_30default_config_static_selectorELNS0_4arch9wavefront6targetE0EEEvSR_.private_seg_size, 0
	.set _ZN7rocprim17ROCPRIM_400000_NS6detail17trampoline_kernelINS0_14default_configENS1_32segmented_reduce_config_selectorIN3c108BFloat16EEEZNS1_21segmented_reduce_implIS3_PKS6_PS6_PKlS6_N6hipcub16HIPCUB_304000_NS6detail27convert_result_type_wrapperISA_SB_N2at6native12_GLOBAL__N_110CustomProdEEEEE10hipError_tPvRmT0_T1_jT2_SS_T4_T3_P12ihipStream_tbEUlT_E_NS1_11comp_targetILNS1_3genE2ELNS1_11target_archE906ELNS1_3gpuE6ELNS1_3repE0EEENS1_30default_config_static_selectorELNS0_4arch9wavefront6targetE0EEEvSR_.uses_vcc, 0
	.set _ZN7rocprim17ROCPRIM_400000_NS6detail17trampoline_kernelINS0_14default_configENS1_32segmented_reduce_config_selectorIN3c108BFloat16EEEZNS1_21segmented_reduce_implIS3_PKS6_PS6_PKlS6_N6hipcub16HIPCUB_304000_NS6detail27convert_result_type_wrapperISA_SB_N2at6native12_GLOBAL__N_110CustomProdEEEEE10hipError_tPvRmT0_T1_jT2_SS_T4_T3_P12ihipStream_tbEUlT_E_NS1_11comp_targetILNS1_3genE2ELNS1_11target_archE906ELNS1_3gpuE6ELNS1_3repE0EEENS1_30default_config_static_selectorELNS0_4arch9wavefront6targetE0EEEvSR_.uses_flat_scratch, 0
	.set _ZN7rocprim17ROCPRIM_400000_NS6detail17trampoline_kernelINS0_14default_configENS1_32segmented_reduce_config_selectorIN3c108BFloat16EEEZNS1_21segmented_reduce_implIS3_PKS6_PS6_PKlS6_N6hipcub16HIPCUB_304000_NS6detail27convert_result_type_wrapperISA_SB_N2at6native12_GLOBAL__N_110CustomProdEEEEE10hipError_tPvRmT0_T1_jT2_SS_T4_T3_P12ihipStream_tbEUlT_E_NS1_11comp_targetILNS1_3genE2ELNS1_11target_archE906ELNS1_3gpuE6ELNS1_3repE0EEENS1_30default_config_static_selectorELNS0_4arch9wavefront6targetE0EEEvSR_.has_dyn_sized_stack, 0
	.set _ZN7rocprim17ROCPRIM_400000_NS6detail17trampoline_kernelINS0_14default_configENS1_32segmented_reduce_config_selectorIN3c108BFloat16EEEZNS1_21segmented_reduce_implIS3_PKS6_PS6_PKlS6_N6hipcub16HIPCUB_304000_NS6detail27convert_result_type_wrapperISA_SB_N2at6native12_GLOBAL__N_110CustomProdEEEEE10hipError_tPvRmT0_T1_jT2_SS_T4_T3_P12ihipStream_tbEUlT_E_NS1_11comp_targetILNS1_3genE2ELNS1_11target_archE906ELNS1_3gpuE6ELNS1_3repE0EEENS1_30default_config_static_selectorELNS0_4arch9wavefront6targetE0EEEvSR_.has_recursion, 0
	.set _ZN7rocprim17ROCPRIM_400000_NS6detail17trampoline_kernelINS0_14default_configENS1_32segmented_reduce_config_selectorIN3c108BFloat16EEEZNS1_21segmented_reduce_implIS3_PKS6_PS6_PKlS6_N6hipcub16HIPCUB_304000_NS6detail27convert_result_type_wrapperISA_SB_N2at6native12_GLOBAL__N_110CustomProdEEEEE10hipError_tPvRmT0_T1_jT2_SS_T4_T3_P12ihipStream_tbEUlT_E_NS1_11comp_targetILNS1_3genE2ELNS1_11target_archE906ELNS1_3gpuE6ELNS1_3repE0EEENS1_30default_config_static_selectorELNS0_4arch9wavefront6targetE0EEEvSR_.has_indirect_call, 0
	.section	.AMDGPU.csdata,"",@progbits
; Kernel info:
; codeLenInByte = 0
; TotalNumSgprs: 0
; NumVgprs: 0
; ScratchSize: 0
; MemoryBound: 0
; FloatMode: 240
; IeeeMode: 1
; LDSByteSize: 0 bytes/workgroup (compile time only)
; SGPRBlocks: 0
; VGPRBlocks: 0
; NumSGPRsForWavesPerEU: 1
; NumVGPRsForWavesPerEU: 1
; NamedBarCnt: 0
; Occupancy: 16
; WaveLimiterHint : 0
; COMPUTE_PGM_RSRC2:SCRATCH_EN: 0
; COMPUTE_PGM_RSRC2:USER_SGPR: 2
; COMPUTE_PGM_RSRC2:TRAP_HANDLER: 0
; COMPUTE_PGM_RSRC2:TGID_X_EN: 1
; COMPUTE_PGM_RSRC2:TGID_Y_EN: 0
; COMPUTE_PGM_RSRC2:TGID_Z_EN: 0
; COMPUTE_PGM_RSRC2:TIDIG_COMP_CNT: 0
	.section	.text._ZN7rocprim17ROCPRIM_400000_NS6detail17trampoline_kernelINS0_14default_configENS1_32segmented_reduce_config_selectorIN3c108BFloat16EEEZNS1_21segmented_reduce_implIS3_PKS6_PS6_PKlS6_N6hipcub16HIPCUB_304000_NS6detail27convert_result_type_wrapperISA_SB_N2at6native12_GLOBAL__N_110CustomProdEEEEE10hipError_tPvRmT0_T1_jT2_SS_T4_T3_P12ihipStream_tbEUlT_E_NS1_11comp_targetILNS1_3genE9ELNS1_11target_archE1100ELNS1_3gpuE3ELNS1_3repE0EEENS1_30default_config_static_selectorELNS0_4arch9wavefront6targetE0EEEvSR_,"axG",@progbits,_ZN7rocprim17ROCPRIM_400000_NS6detail17trampoline_kernelINS0_14default_configENS1_32segmented_reduce_config_selectorIN3c108BFloat16EEEZNS1_21segmented_reduce_implIS3_PKS6_PS6_PKlS6_N6hipcub16HIPCUB_304000_NS6detail27convert_result_type_wrapperISA_SB_N2at6native12_GLOBAL__N_110CustomProdEEEEE10hipError_tPvRmT0_T1_jT2_SS_T4_T3_P12ihipStream_tbEUlT_E_NS1_11comp_targetILNS1_3genE9ELNS1_11target_archE1100ELNS1_3gpuE3ELNS1_3repE0EEENS1_30default_config_static_selectorELNS0_4arch9wavefront6targetE0EEEvSR_,comdat
	.globl	_ZN7rocprim17ROCPRIM_400000_NS6detail17trampoline_kernelINS0_14default_configENS1_32segmented_reduce_config_selectorIN3c108BFloat16EEEZNS1_21segmented_reduce_implIS3_PKS6_PS6_PKlS6_N6hipcub16HIPCUB_304000_NS6detail27convert_result_type_wrapperISA_SB_N2at6native12_GLOBAL__N_110CustomProdEEEEE10hipError_tPvRmT0_T1_jT2_SS_T4_T3_P12ihipStream_tbEUlT_E_NS1_11comp_targetILNS1_3genE9ELNS1_11target_archE1100ELNS1_3gpuE3ELNS1_3repE0EEENS1_30default_config_static_selectorELNS0_4arch9wavefront6targetE0EEEvSR_ ; -- Begin function _ZN7rocprim17ROCPRIM_400000_NS6detail17trampoline_kernelINS0_14default_configENS1_32segmented_reduce_config_selectorIN3c108BFloat16EEEZNS1_21segmented_reduce_implIS3_PKS6_PS6_PKlS6_N6hipcub16HIPCUB_304000_NS6detail27convert_result_type_wrapperISA_SB_N2at6native12_GLOBAL__N_110CustomProdEEEEE10hipError_tPvRmT0_T1_jT2_SS_T4_T3_P12ihipStream_tbEUlT_E_NS1_11comp_targetILNS1_3genE9ELNS1_11target_archE1100ELNS1_3gpuE3ELNS1_3repE0EEENS1_30default_config_static_selectorELNS0_4arch9wavefront6targetE0EEEvSR_
	.p2align	8
	.type	_ZN7rocprim17ROCPRIM_400000_NS6detail17trampoline_kernelINS0_14default_configENS1_32segmented_reduce_config_selectorIN3c108BFloat16EEEZNS1_21segmented_reduce_implIS3_PKS6_PS6_PKlS6_N6hipcub16HIPCUB_304000_NS6detail27convert_result_type_wrapperISA_SB_N2at6native12_GLOBAL__N_110CustomProdEEEEE10hipError_tPvRmT0_T1_jT2_SS_T4_T3_P12ihipStream_tbEUlT_E_NS1_11comp_targetILNS1_3genE9ELNS1_11target_archE1100ELNS1_3gpuE3ELNS1_3repE0EEENS1_30default_config_static_selectorELNS0_4arch9wavefront6targetE0EEEvSR_,@function
_ZN7rocprim17ROCPRIM_400000_NS6detail17trampoline_kernelINS0_14default_configENS1_32segmented_reduce_config_selectorIN3c108BFloat16EEEZNS1_21segmented_reduce_implIS3_PKS6_PS6_PKlS6_N6hipcub16HIPCUB_304000_NS6detail27convert_result_type_wrapperISA_SB_N2at6native12_GLOBAL__N_110CustomProdEEEEE10hipError_tPvRmT0_T1_jT2_SS_T4_T3_P12ihipStream_tbEUlT_E_NS1_11comp_targetILNS1_3genE9ELNS1_11target_archE1100ELNS1_3gpuE3ELNS1_3repE0EEENS1_30default_config_static_selectorELNS0_4arch9wavefront6targetE0EEEvSR_: ; @_ZN7rocprim17ROCPRIM_400000_NS6detail17trampoline_kernelINS0_14default_configENS1_32segmented_reduce_config_selectorIN3c108BFloat16EEEZNS1_21segmented_reduce_implIS3_PKS6_PS6_PKlS6_N6hipcub16HIPCUB_304000_NS6detail27convert_result_type_wrapperISA_SB_N2at6native12_GLOBAL__N_110CustomProdEEEEE10hipError_tPvRmT0_T1_jT2_SS_T4_T3_P12ihipStream_tbEUlT_E_NS1_11comp_targetILNS1_3genE9ELNS1_11target_archE1100ELNS1_3gpuE3ELNS1_3repE0EEENS1_30default_config_static_selectorELNS0_4arch9wavefront6targetE0EEEvSR_
; %bb.0:
	.section	.rodata,"a",@progbits
	.p2align	6, 0x0
	.amdhsa_kernel _ZN7rocprim17ROCPRIM_400000_NS6detail17trampoline_kernelINS0_14default_configENS1_32segmented_reduce_config_selectorIN3c108BFloat16EEEZNS1_21segmented_reduce_implIS3_PKS6_PS6_PKlS6_N6hipcub16HIPCUB_304000_NS6detail27convert_result_type_wrapperISA_SB_N2at6native12_GLOBAL__N_110CustomProdEEEEE10hipError_tPvRmT0_T1_jT2_SS_T4_T3_P12ihipStream_tbEUlT_E_NS1_11comp_targetILNS1_3genE9ELNS1_11target_archE1100ELNS1_3gpuE3ELNS1_3repE0EEENS1_30default_config_static_selectorELNS0_4arch9wavefront6targetE0EEEvSR_
		.amdhsa_group_segment_fixed_size 0
		.amdhsa_private_segment_fixed_size 0
		.amdhsa_kernarg_size 48
		.amdhsa_user_sgpr_count 2
		.amdhsa_user_sgpr_dispatch_ptr 0
		.amdhsa_user_sgpr_queue_ptr 0
		.amdhsa_user_sgpr_kernarg_segment_ptr 1
		.amdhsa_user_sgpr_dispatch_id 0
		.amdhsa_user_sgpr_kernarg_preload_length 0
		.amdhsa_user_sgpr_kernarg_preload_offset 0
		.amdhsa_user_sgpr_private_segment_size 0
		.amdhsa_wavefront_size32 1
		.amdhsa_uses_dynamic_stack 0
		.amdhsa_enable_private_segment 0
		.amdhsa_system_sgpr_workgroup_id_x 1
		.amdhsa_system_sgpr_workgroup_id_y 0
		.amdhsa_system_sgpr_workgroup_id_z 0
		.amdhsa_system_sgpr_workgroup_info 0
		.amdhsa_system_vgpr_workitem_id 0
		.amdhsa_next_free_vgpr 1
		.amdhsa_next_free_sgpr 1
		.amdhsa_named_barrier_count 0
		.amdhsa_reserve_vcc 0
		.amdhsa_float_round_mode_32 0
		.amdhsa_float_round_mode_16_64 0
		.amdhsa_float_denorm_mode_32 3
		.amdhsa_float_denorm_mode_16_64 3
		.amdhsa_fp16_overflow 0
		.amdhsa_memory_ordered 1
		.amdhsa_forward_progress 1
		.amdhsa_inst_pref_size 0
		.amdhsa_round_robin_scheduling 0
		.amdhsa_exception_fp_ieee_invalid_op 0
		.amdhsa_exception_fp_denorm_src 0
		.amdhsa_exception_fp_ieee_div_zero 0
		.amdhsa_exception_fp_ieee_overflow 0
		.amdhsa_exception_fp_ieee_underflow 0
		.amdhsa_exception_fp_ieee_inexact 0
		.amdhsa_exception_int_div_zero 0
	.end_amdhsa_kernel
	.section	.text._ZN7rocprim17ROCPRIM_400000_NS6detail17trampoline_kernelINS0_14default_configENS1_32segmented_reduce_config_selectorIN3c108BFloat16EEEZNS1_21segmented_reduce_implIS3_PKS6_PS6_PKlS6_N6hipcub16HIPCUB_304000_NS6detail27convert_result_type_wrapperISA_SB_N2at6native12_GLOBAL__N_110CustomProdEEEEE10hipError_tPvRmT0_T1_jT2_SS_T4_T3_P12ihipStream_tbEUlT_E_NS1_11comp_targetILNS1_3genE9ELNS1_11target_archE1100ELNS1_3gpuE3ELNS1_3repE0EEENS1_30default_config_static_selectorELNS0_4arch9wavefront6targetE0EEEvSR_,"axG",@progbits,_ZN7rocprim17ROCPRIM_400000_NS6detail17trampoline_kernelINS0_14default_configENS1_32segmented_reduce_config_selectorIN3c108BFloat16EEEZNS1_21segmented_reduce_implIS3_PKS6_PS6_PKlS6_N6hipcub16HIPCUB_304000_NS6detail27convert_result_type_wrapperISA_SB_N2at6native12_GLOBAL__N_110CustomProdEEEEE10hipError_tPvRmT0_T1_jT2_SS_T4_T3_P12ihipStream_tbEUlT_E_NS1_11comp_targetILNS1_3genE9ELNS1_11target_archE1100ELNS1_3gpuE3ELNS1_3repE0EEENS1_30default_config_static_selectorELNS0_4arch9wavefront6targetE0EEEvSR_,comdat
.Lfunc_end278:
	.size	_ZN7rocprim17ROCPRIM_400000_NS6detail17trampoline_kernelINS0_14default_configENS1_32segmented_reduce_config_selectorIN3c108BFloat16EEEZNS1_21segmented_reduce_implIS3_PKS6_PS6_PKlS6_N6hipcub16HIPCUB_304000_NS6detail27convert_result_type_wrapperISA_SB_N2at6native12_GLOBAL__N_110CustomProdEEEEE10hipError_tPvRmT0_T1_jT2_SS_T4_T3_P12ihipStream_tbEUlT_E_NS1_11comp_targetILNS1_3genE9ELNS1_11target_archE1100ELNS1_3gpuE3ELNS1_3repE0EEENS1_30default_config_static_selectorELNS0_4arch9wavefront6targetE0EEEvSR_, .Lfunc_end278-_ZN7rocprim17ROCPRIM_400000_NS6detail17trampoline_kernelINS0_14default_configENS1_32segmented_reduce_config_selectorIN3c108BFloat16EEEZNS1_21segmented_reduce_implIS3_PKS6_PS6_PKlS6_N6hipcub16HIPCUB_304000_NS6detail27convert_result_type_wrapperISA_SB_N2at6native12_GLOBAL__N_110CustomProdEEEEE10hipError_tPvRmT0_T1_jT2_SS_T4_T3_P12ihipStream_tbEUlT_E_NS1_11comp_targetILNS1_3genE9ELNS1_11target_archE1100ELNS1_3gpuE3ELNS1_3repE0EEENS1_30default_config_static_selectorELNS0_4arch9wavefront6targetE0EEEvSR_
                                        ; -- End function
	.set _ZN7rocprim17ROCPRIM_400000_NS6detail17trampoline_kernelINS0_14default_configENS1_32segmented_reduce_config_selectorIN3c108BFloat16EEEZNS1_21segmented_reduce_implIS3_PKS6_PS6_PKlS6_N6hipcub16HIPCUB_304000_NS6detail27convert_result_type_wrapperISA_SB_N2at6native12_GLOBAL__N_110CustomProdEEEEE10hipError_tPvRmT0_T1_jT2_SS_T4_T3_P12ihipStream_tbEUlT_E_NS1_11comp_targetILNS1_3genE9ELNS1_11target_archE1100ELNS1_3gpuE3ELNS1_3repE0EEENS1_30default_config_static_selectorELNS0_4arch9wavefront6targetE0EEEvSR_.num_vgpr, 0
	.set _ZN7rocprim17ROCPRIM_400000_NS6detail17trampoline_kernelINS0_14default_configENS1_32segmented_reduce_config_selectorIN3c108BFloat16EEEZNS1_21segmented_reduce_implIS3_PKS6_PS6_PKlS6_N6hipcub16HIPCUB_304000_NS6detail27convert_result_type_wrapperISA_SB_N2at6native12_GLOBAL__N_110CustomProdEEEEE10hipError_tPvRmT0_T1_jT2_SS_T4_T3_P12ihipStream_tbEUlT_E_NS1_11comp_targetILNS1_3genE9ELNS1_11target_archE1100ELNS1_3gpuE3ELNS1_3repE0EEENS1_30default_config_static_selectorELNS0_4arch9wavefront6targetE0EEEvSR_.num_agpr, 0
	.set _ZN7rocprim17ROCPRIM_400000_NS6detail17trampoline_kernelINS0_14default_configENS1_32segmented_reduce_config_selectorIN3c108BFloat16EEEZNS1_21segmented_reduce_implIS3_PKS6_PS6_PKlS6_N6hipcub16HIPCUB_304000_NS6detail27convert_result_type_wrapperISA_SB_N2at6native12_GLOBAL__N_110CustomProdEEEEE10hipError_tPvRmT0_T1_jT2_SS_T4_T3_P12ihipStream_tbEUlT_E_NS1_11comp_targetILNS1_3genE9ELNS1_11target_archE1100ELNS1_3gpuE3ELNS1_3repE0EEENS1_30default_config_static_selectorELNS0_4arch9wavefront6targetE0EEEvSR_.numbered_sgpr, 0
	.set _ZN7rocprim17ROCPRIM_400000_NS6detail17trampoline_kernelINS0_14default_configENS1_32segmented_reduce_config_selectorIN3c108BFloat16EEEZNS1_21segmented_reduce_implIS3_PKS6_PS6_PKlS6_N6hipcub16HIPCUB_304000_NS6detail27convert_result_type_wrapperISA_SB_N2at6native12_GLOBAL__N_110CustomProdEEEEE10hipError_tPvRmT0_T1_jT2_SS_T4_T3_P12ihipStream_tbEUlT_E_NS1_11comp_targetILNS1_3genE9ELNS1_11target_archE1100ELNS1_3gpuE3ELNS1_3repE0EEENS1_30default_config_static_selectorELNS0_4arch9wavefront6targetE0EEEvSR_.num_named_barrier, 0
	.set _ZN7rocprim17ROCPRIM_400000_NS6detail17trampoline_kernelINS0_14default_configENS1_32segmented_reduce_config_selectorIN3c108BFloat16EEEZNS1_21segmented_reduce_implIS3_PKS6_PS6_PKlS6_N6hipcub16HIPCUB_304000_NS6detail27convert_result_type_wrapperISA_SB_N2at6native12_GLOBAL__N_110CustomProdEEEEE10hipError_tPvRmT0_T1_jT2_SS_T4_T3_P12ihipStream_tbEUlT_E_NS1_11comp_targetILNS1_3genE9ELNS1_11target_archE1100ELNS1_3gpuE3ELNS1_3repE0EEENS1_30default_config_static_selectorELNS0_4arch9wavefront6targetE0EEEvSR_.private_seg_size, 0
	.set _ZN7rocprim17ROCPRIM_400000_NS6detail17trampoline_kernelINS0_14default_configENS1_32segmented_reduce_config_selectorIN3c108BFloat16EEEZNS1_21segmented_reduce_implIS3_PKS6_PS6_PKlS6_N6hipcub16HIPCUB_304000_NS6detail27convert_result_type_wrapperISA_SB_N2at6native12_GLOBAL__N_110CustomProdEEEEE10hipError_tPvRmT0_T1_jT2_SS_T4_T3_P12ihipStream_tbEUlT_E_NS1_11comp_targetILNS1_3genE9ELNS1_11target_archE1100ELNS1_3gpuE3ELNS1_3repE0EEENS1_30default_config_static_selectorELNS0_4arch9wavefront6targetE0EEEvSR_.uses_vcc, 0
	.set _ZN7rocprim17ROCPRIM_400000_NS6detail17trampoline_kernelINS0_14default_configENS1_32segmented_reduce_config_selectorIN3c108BFloat16EEEZNS1_21segmented_reduce_implIS3_PKS6_PS6_PKlS6_N6hipcub16HIPCUB_304000_NS6detail27convert_result_type_wrapperISA_SB_N2at6native12_GLOBAL__N_110CustomProdEEEEE10hipError_tPvRmT0_T1_jT2_SS_T4_T3_P12ihipStream_tbEUlT_E_NS1_11comp_targetILNS1_3genE9ELNS1_11target_archE1100ELNS1_3gpuE3ELNS1_3repE0EEENS1_30default_config_static_selectorELNS0_4arch9wavefront6targetE0EEEvSR_.uses_flat_scratch, 0
	.set _ZN7rocprim17ROCPRIM_400000_NS6detail17trampoline_kernelINS0_14default_configENS1_32segmented_reduce_config_selectorIN3c108BFloat16EEEZNS1_21segmented_reduce_implIS3_PKS6_PS6_PKlS6_N6hipcub16HIPCUB_304000_NS6detail27convert_result_type_wrapperISA_SB_N2at6native12_GLOBAL__N_110CustomProdEEEEE10hipError_tPvRmT0_T1_jT2_SS_T4_T3_P12ihipStream_tbEUlT_E_NS1_11comp_targetILNS1_3genE9ELNS1_11target_archE1100ELNS1_3gpuE3ELNS1_3repE0EEENS1_30default_config_static_selectorELNS0_4arch9wavefront6targetE0EEEvSR_.has_dyn_sized_stack, 0
	.set _ZN7rocprim17ROCPRIM_400000_NS6detail17trampoline_kernelINS0_14default_configENS1_32segmented_reduce_config_selectorIN3c108BFloat16EEEZNS1_21segmented_reduce_implIS3_PKS6_PS6_PKlS6_N6hipcub16HIPCUB_304000_NS6detail27convert_result_type_wrapperISA_SB_N2at6native12_GLOBAL__N_110CustomProdEEEEE10hipError_tPvRmT0_T1_jT2_SS_T4_T3_P12ihipStream_tbEUlT_E_NS1_11comp_targetILNS1_3genE9ELNS1_11target_archE1100ELNS1_3gpuE3ELNS1_3repE0EEENS1_30default_config_static_selectorELNS0_4arch9wavefront6targetE0EEEvSR_.has_recursion, 0
	.set _ZN7rocprim17ROCPRIM_400000_NS6detail17trampoline_kernelINS0_14default_configENS1_32segmented_reduce_config_selectorIN3c108BFloat16EEEZNS1_21segmented_reduce_implIS3_PKS6_PS6_PKlS6_N6hipcub16HIPCUB_304000_NS6detail27convert_result_type_wrapperISA_SB_N2at6native12_GLOBAL__N_110CustomProdEEEEE10hipError_tPvRmT0_T1_jT2_SS_T4_T3_P12ihipStream_tbEUlT_E_NS1_11comp_targetILNS1_3genE9ELNS1_11target_archE1100ELNS1_3gpuE3ELNS1_3repE0EEENS1_30default_config_static_selectorELNS0_4arch9wavefront6targetE0EEEvSR_.has_indirect_call, 0
	.section	.AMDGPU.csdata,"",@progbits
; Kernel info:
; codeLenInByte = 0
; TotalNumSgprs: 0
; NumVgprs: 0
; ScratchSize: 0
; MemoryBound: 0
; FloatMode: 240
; IeeeMode: 1
; LDSByteSize: 0 bytes/workgroup (compile time only)
; SGPRBlocks: 0
; VGPRBlocks: 0
; NumSGPRsForWavesPerEU: 1
; NumVGPRsForWavesPerEU: 1
; NamedBarCnt: 0
; Occupancy: 16
; WaveLimiterHint : 0
; COMPUTE_PGM_RSRC2:SCRATCH_EN: 0
; COMPUTE_PGM_RSRC2:USER_SGPR: 2
; COMPUTE_PGM_RSRC2:TRAP_HANDLER: 0
; COMPUTE_PGM_RSRC2:TGID_X_EN: 1
; COMPUTE_PGM_RSRC2:TGID_Y_EN: 0
; COMPUTE_PGM_RSRC2:TGID_Z_EN: 0
; COMPUTE_PGM_RSRC2:TIDIG_COMP_CNT: 0
	.section	.text._ZN7rocprim17ROCPRIM_400000_NS6detail17trampoline_kernelINS0_14default_configENS1_32segmented_reduce_config_selectorIN3c108BFloat16EEEZNS1_21segmented_reduce_implIS3_PKS6_PS6_PKlS6_N6hipcub16HIPCUB_304000_NS6detail27convert_result_type_wrapperISA_SB_N2at6native12_GLOBAL__N_110CustomProdEEEEE10hipError_tPvRmT0_T1_jT2_SS_T4_T3_P12ihipStream_tbEUlT_E_NS1_11comp_targetILNS1_3genE8ELNS1_11target_archE1030ELNS1_3gpuE2ELNS1_3repE0EEENS1_30default_config_static_selectorELNS0_4arch9wavefront6targetE0EEEvSR_,"axG",@progbits,_ZN7rocprim17ROCPRIM_400000_NS6detail17trampoline_kernelINS0_14default_configENS1_32segmented_reduce_config_selectorIN3c108BFloat16EEEZNS1_21segmented_reduce_implIS3_PKS6_PS6_PKlS6_N6hipcub16HIPCUB_304000_NS6detail27convert_result_type_wrapperISA_SB_N2at6native12_GLOBAL__N_110CustomProdEEEEE10hipError_tPvRmT0_T1_jT2_SS_T4_T3_P12ihipStream_tbEUlT_E_NS1_11comp_targetILNS1_3genE8ELNS1_11target_archE1030ELNS1_3gpuE2ELNS1_3repE0EEENS1_30default_config_static_selectorELNS0_4arch9wavefront6targetE0EEEvSR_,comdat
	.globl	_ZN7rocprim17ROCPRIM_400000_NS6detail17trampoline_kernelINS0_14default_configENS1_32segmented_reduce_config_selectorIN3c108BFloat16EEEZNS1_21segmented_reduce_implIS3_PKS6_PS6_PKlS6_N6hipcub16HIPCUB_304000_NS6detail27convert_result_type_wrapperISA_SB_N2at6native12_GLOBAL__N_110CustomProdEEEEE10hipError_tPvRmT0_T1_jT2_SS_T4_T3_P12ihipStream_tbEUlT_E_NS1_11comp_targetILNS1_3genE8ELNS1_11target_archE1030ELNS1_3gpuE2ELNS1_3repE0EEENS1_30default_config_static_selectorELNS0_4arch9wavefront6targetE0EEEvSR_ ; -- Begin function _ZN7rocprim17ROCPRIM_400000_NS6detail17trampoline_kernelINS0_14default_configENS1_32segmented_reduce_config_selectorIN3c108BFloat16EEEZNS1_21segmented_reduce_implIS3_PKS6_PS6_PKlS6_N6hipcub16HIPCUB_304000_NS6detail27convert_result_type_wrapperISA_SB_N2at6native12_GLOBAL__N_110CustomProdEEEEE10hipError_tPvRmT0_T1_jT2_SS_T4_T3_P12ihipStream_tbEUlT_E_NS1_11comp_targetILNS1_3genE8ELNS1_11target_archE1030ELNS1_3gpuE2ELNS1_3repE0EEENS1_30default_config_static_selectorELNS0_4arch9wavefront6targetE0EEEvSR_
	.p2align	8
	.type	_ZN7rocprim17ROCPRIM_400000_NS6detail17trampoline_kernelINS0_14default_configENS1_32segmented_reduce_config_selectorIN3c108BFloat16EEEZNS1_21segmented_reduce_implIS3_PKS6_PS6_PKlS6_N6hipcub16HIPCUB_304000_NS6detail27convert_result_type_wrapperISA_SB_N2at6native12_GLOBAL__N_110CustomProdEEEEE10hipError_tPvRmT0_T1_jT2_SS_T4_T3_P12ihipStream_tbEUlT_E_NS1_11comp_targetILNS1_3genE8ELNS1_11target_archE1030ELNS1_3gpuE2ELNS1_3repE0EEENS1_30default_config_static_selectorELNS0_4arch9wavefront6targetE0EEEvSR_,@function
_ZN7rocprim17ROCPRIM_400000_NS6detail17trampoline_kernelINS0_14default_configENS1_32segmented_reduce_config_selectorIN3c108BFloat16EEEZNS1_21segmented_reduce_implIS3_PKS6_PS6_PKlS6_N6hipcub16HIPCUB_304000_NS6detail27convert_result_type_wrapperISA_SB_N2at6native12_GLOBAL__N_110CustomProdEEEEE10hipError_tPvRmT0_T1_jT2_SS_T4_T3_P12ihipStream_tbEUlT_E_NS1_11comp_targetILNS1_3genE8ELNS1_11target_archE1030ELNS1_3gpuE2ELNS1_3repE0EEENS1_30default_config_static_selectorELNS0_4arch9wavefront6targetE0EEEvSR_: ; @_ZN7rocprim17ROCPRIM_400000_NS6detail17trampoline_kernelINS0_14default_configENS1_32segmented_reduce_config_selectorIN3c108BFloat16EEEZNS1_21segmented_reduce_implIS3_PKS6_PS6_PKlS6_N6hipcub16HIPCUB_304000_NS6detail27convert_result_type_wrapperISA_SB_N2at6native12_GLOBAL__N_110CustomProdEEEEE10hipError_tPvRmT0_T1_jT2_SS_T4_T3_P12ihipStream_tbEUlT_E_NS1_11comp_targetILNS1_3genE8ELNS1_11target_archE1030ELNS1_3gpuE2ELNS1_3repE0EEENS1_30default_config_static_selectorELNS0_4arch9wavefront6targetE0EEEvSR_
; %bb.0:
	.section	.rodata,"a",@progbits
	.p2align	6, 0x0
	.amdhsa_kernel _ZN7rocprim17ROCPRIM_400000_NS6detail17trampoline_kernelINS0_14default_configENS1_32segmented_reduce_config_selectorIN3c108BFloat16EEEZNS1_21segmented_reduce_implIS3_PKS6_PS6_PKlS6_N6hipcub16HIPCUB_304000_NS6detail27convert_result_type_wrapperISA_SB_N2at6native12_GLOBAL__N_110CustomProdEEEEE10hipError_tPvRmT0_T1_jT2_SS_T4_T3_P12ihipStream_tbEUlT_E_NS1_11comp_targetILNS1_3genE8ELNS1_11target_archE1030ELNS1_3gpuE2ELNS1_3repE0EEENS1_30default_config_static_selectorELNS0_4arch9wavefront6targetE0EEEvSR_
		.amdhsa_group_segment_fixed_size 0
		.amdhsa_private_segment_fixed_size 0
		.amdhsa_kernarg_size 48
		.amdhsa_user_sgpr_count 2
		.amdhsa_user_sgpr_dispatch_ptr 0
		.amdhsa_user_sgpr_queue_ptr 0
		.amdhsa_user_sgpr_kernarg_segment_ptr 1
		.amdhsa_user_sgpr_dispatch_id 0
		.amdhsa_user_sgpr_kernarg_preload_length 0
		.amdhsa_user_sgpr_kernarg_preload_offset 0
		.amdhsa_user_sgpr_private_segment_size 0
		.amdhsa_wavefront_size32 1
		.amdhsa_uses_dynamic_stack 0
		.amdhsa_enable_private_segment 0
		.amdhsa_system_sgpr_workgroup_id_x 1
		.amdhsa_system_sgpr_workgroup_id_y 0
		.amdhsa_system_sgpr_workgroup_id_z 0
		.amdhsa_system_sgpr_workgroup_info 0
		.amdhsa_system_vgpr_workitem_id 0
		.amdhsa_next_free_vgpr 1
		.amdhsa_next_free_sgpr 1
		.amdhsa_named_barrier_count 0
		.amdhsa_reserve_vcc 0
		.amdhsa_float_round_mode_32 0
		.amdhsa_float_round_mode_16_64 0
		.amdhsa_float_denorm_mode_32 3
		.amdhsa_float_denorm_mode_16_64 3
		.amdhsa_fp16_overflow 0
		.amdhsa_memory_ordered 1
		.amdhsa_forward_progress 1
		.amdhsa_inst_pref_size 0
		.amdhsa_round_robin_scheduling 0
		.amdhsa_exception_fp_ieee_invalid_op 0
		.amdhsa_exception_fp_denorm_src 0
		.amdhsa_exception_fp_ieee_div_zero 0
		.amdhsa_exception_fp_ieee_overflow 0
		.amdhsa_exception_fp_ieee_underflow 0
		.amdhsa_exception_fp_ieee_inexact 0
		.amdhsa_exception_int_div_zero 0
	.end_amdhsa_kernel
	.section	.text._ZN7rocprim17ROCPRIM_400000_NS6detail17trampoline_kernelINS0_14default_configENS1_32segmented_reduce_config_selectorIN3c108BFloat16EEEZNS1_21segmented_reduce_implIS3_PKS6_PS6_PKlS6_N6hipcub16HIPCUB_304000_NS6detail27convert_result_type_wrapperISA_SB_N2at6native12_GLOBAL__N_110CustomProdEEEEE10hipError_tPvRmT0_T1_jT2_SS_T4_T3_P12ihipStream_tbEUlT_E_NS1_11comp_targetILNS1_3genE8ELNS1_11target_archE1030ELNS1_3gpuE2ELNS1_3repE0EEENS1_30default_config_static_selectorELNS0_4arch9wavefront6targetE0EEEvSR_,"axG",@progbits,_ZN7rocprim17ROCPRIM_400000_NS6detail17trampoline_kernelINS0_14default_configENS1_32segmented_reduce_config_selectorIN3c108BFloat16EEEZNS1_21segmented_reduce_implIS3_PKS6_PS6_PKlS6_N6hipcub16HIPCUB_304000_NS6detail27convert_result_type_wrapperISA_SB_N2at6native12_GLOBAL__N_110CustomProdEEEEE10hipError_tPvRmT0_T1_jT2_SS_T4_T3_P12ihipStream_tbEUlT_E_NS1_11comp_targetILNS1_3genE8ELNS1_11target_archE1030ELNS1_3gpuE2ELNS1_3repE0EEENS1_30default_config_static_selectorELNS0_4arch9wavefront6targetE0EEEvSR_,comdat
.Lfunc_end279:
	.size	_ZN7rocprim17ROCPRIM_400000_NS6detail17trampoline_kernelINS0_14default_configENS1_32segmented_reduce_config_selectorIN3c108BFloat16EEEZNS1_21segmented_reduce_implIS3_PKS6_PS6_PKlS6_N6hipcub16HIPCUB_304000_NS6detail27convert_result_type_wrapperISA_SB_N2at6native12_GLOBAL__N_110CustomProdEEEEE10hipError_tPvRmT0_T1_jT2_SS_T4_T3_P12ihipStream_tbEUlT_E_NS1_11comp_targetILNS1_3genE8ELNS1_11target_archE1030ELNS1_3gpuE2ELNS1_3repE0EEENS1_30default_config_static_selectorELNS0_4arch9wavefront6targetE0EEEvSR_, .Lfunc_end279-_ZN7rocprim17ROCPRIM_400000_NS6detail17trampoline_kernelINS0_14default_configENS1_32segmented_reduce_config_selectorIN3c108BFloat16EEEZNS1_21segmented_reduce_implIS3_PKS6_PS6_PKlS6_N6hipcub16HIPCUB_304000_NS6detail27convert_result_type_wrapperISA_SB_N2at6native12_GLOBAL__N_110CustomProdEEEEE10hipError_tPvRmT0_T1_jT2_SS_T4_T3_P12ihipStream_tbEUlT_E_NS1_11comp_targetILNS1_3genE8ELNS1_11target_archE1030ELNS1_3gpuE2ELNS1_3repE0EEENS1_30default_config_static_selectorELNS0_4arch9wavefront6targetE0EEEvSR_
                                        ; -- End function
	.set _ZN7rocprim17ROCPRIM_400000_NS6detail17trampoline_kernelINS0_14default_configENS1_32segmented_reduce_config_selectorIN3c108BFloat16EEEZNS1_21segmented_reduce_implIS3_PKS6_PS6_PKlS6_N6hipcub16HIPCUB_304000_NS6detail27convert_result_type_wrapperISA_SB_N2at6native12_GLOBAL__N_110CustomProdEEEEE10hipError_tPvRmT0_T1_jT2_SS_T4_T3_P12ihipStream_tbEUlT_E_NS1_11comp_targetILNS1_3genE8ELNS1_11target_archE1030ELNS1_3gpuE2ELNS1_3repE0EEENS1_30default_config_static_selectorELNS0_4arch9wavefront6targetE0EEEvSR_.num_vgpr, 0
	.set _ZN7rocprim17ROCPRIM_400000_NS6detail17trampoline_kernelINS0_14default_configENS1_32segmented_reduce_config_selectorIN3c108BFloat16EEEZNS1_21segmented_reduce_implIS3_PKS6_PS6_PKlS6_N6hipcub16HIPCUB_304000_NS6detail27convert_result_type_wrapperISA_SB_N2at6native12_GLOBAL__N_110CustomProdEEEEE10hipError_tPvRmT0_T1_jT2_SS_T4_T3_P12ihipStream_tbEUlT_E_NS1_11comp_targetILNS1_3genE8ELNS1_11target_archE1030ELNS1_3gpuE2ELNS1_3repE0EEENS1_30default_config_static_selectorELNS0_4arch9wavefront6targetE0EEEvSR_.num_agpr, 0
	.set _ZN7rocprim17ROCPRIM_400000_NS6detail17trampoline_kernelINS0_14default_configENS1_32segmented_reduce_config_selectorIN3c108BFloat16EEEZNS1_21segmented_reduce_implIS3_PKS6_PS6_PKlS6_N6hipcub16HIPCUB_304000_NS6detail27convert_result_type_wrapperISA_SB_N2at6native12_GLOBAL__N_110CustomProdEEEEE10hipError_tPvRmT0_T1_jT2_SS_T4_T3_P12ihipStream_tbEUlT_E_NS1_11comp_targetILNS1_3genE8ELNS1_11target_archE1030ELNS1_3gpuE2ELNS1_3repE0EEENS1_30default_config_static_selectorELNS0_4arch9wavefront6targetE0EEEvSR_.numbered_sgpr, 0
	.set _ZN7rocprim17ROCPRIM_400000_NS6detail17trampoline_kernelINS0_14default_configENS1_32segmented_reduce_config_selectorIN3c108BFloat16EEEZNS1_21segmented_reduce_implIS3_PKS6_PS6_PKlS6_N6hipcub16HIPCUB_304000_NS6detail27convert_result_type_wrapperISA_SB_N2at6native12_GLOBAL__N_110CustomProdEEEEE10hipError_tPvRmT0_T1_jT2_SS_T4_T3_P12ihipStream_tbEUlT_E_NS1_11comp_targetILNS1_3genE8ELNS1_11target_archE1030ELNS1_3gpuE2ELNS1_3repE0EEENS1_30default_config_static_selectorELNS0_4arch9wavefront6targetE0EEEvSR_.num_named_barrier, 0
	.set _ZN7rocprim17ROCPRIM_400000_NS6detail17trampoline_kernelINS0_14default_configENS1_32segmented_reduce_config_selectorIN3c108BFloat16EEEZNS1_21segmented_reduce_implIS3_PKS6_PS6_PKlS6_N6hipcub16HIPCUB_304000_NS6detail27convert_result_type_wrapperISA_SB_N2at6native12_GLOBAL__N_110CustomProdEEEEE10hipError_tPvRmT0_T1_jT2_SS_T4_T3_P12ihipStream_tbEUlT_E_NS1_11comp_targetILNS1_3genE8ELNS1_11target_archE1030ELNS1_3gpuE2ELNS1_3repE0EEENS1_30default_config_static_selectorELNS0_4arch9wavefront6targetE0EEEvSR_.private_seg_size, 0
	.set _ZN7rocprim17ROCPRIM_400000_NS6detail17trampoline_kernelINS0_14default_configENS1_32segmented_reduce_config_selectorIN3c108BFloat16EEEZNS1_21segmented_reduce_implIS3_PKS6_PS6_PKlS6_N6hipcub16HIPCUB_304000_NS6detail27convert_result_type_wrapperISA_SB_N2at6native12_GLOBAL__N_110CustomProdEEEEE10hipError_tPvRmT0_T1_jT2_SS_T4_T3_P12ihipStream_tbEUlT_E_NS1_11comp_targetILNS1_3genE8ELNS1_11target_archE1030ELNS1_3gpuE2ELNS1_3repE0EEENS1_30default_config_static_selectorELNS0_4arch9wavefront6targetE0EEEvSR_.uses_vcc, 0
	.set _ZN7rocprim17ROCPRIM_400000_NS6detail17trampoline_kernelINS0_14default_configENS1_32segmented_reduce_config_selectorIN3c108BFloat16EEEZNS1_21segmented_reduce_implIS3_PKS6_PS6_PKlS6_N6hipcub16HIPCUB_304000_NS6detail27convert_result_type_wrapperISA_SB_N2at6native12_GLOBAL__N_110CustomProdEEEEE10hipError_tPvRmT0_T1_jT2_SS_T4_T3_P12ihipStream_tbEUlT_E_NS1_11comp_targetILNS1_3genE8ELNS1_11target_archE1030ELNS1_3gpuE2ELNS1_3repE0EEENS1_30default_config_static_selectorELNS0_4arch9wavefront6targetE0EEEvSR_.uses_flat_scratch, 0
	.set _ZN7rocprim17ROCPRIM_400000_NS6detail17trampoline_kernelINS0_14default_configENS1_32segmented_reduce_config_selectorIN3c108BFloat16EEEZNS1_21segmented_reduce_implIS3_PKS6_PS6_PKlS6_N6hipcub16HIPCUB_304000_NS6detail27convert_result_type_wrapperISA_SB_N2at6native12_GLOBAL__N_110CustomProdEEEEE10hipError_tPvRmT0_T1_jT2_SS_T4_T3_P12ihipStream_tbEUlT_E_NS1_11comp_targetILNS1_3genE8ELNS1_11target_archE1030ELNS1_3gpuE2ELNS1_3repE0EEENS1_30default_config_static_selectorELNS0_4arch9wavefront6targetE0EEEvSR_.has_dyn_sized_stack, 0
	.set _ZN7rocprim17ROCPRIM_400000_NS6detail17trampoline_kernelINS0_14default_configENS1_32segmented_reduce_config_selectorIN3c108BFloat16EEEZNS1_21segmented_reduce_implIS3_PKS6_PS6_PKlS6_N6hipcub16HIPCUB_304000_NS6detail27convert_result_type_wrapperISA_SB_N2at6native12_GLOBAL__N_110CustomProdEEEEE10hipError_tPvRmT0_T1_jT2_SS_T4_T3_P12ihipStream_tbEUlT_E_NS1_11comp_targetILNS1_3genE8ELNS1_11target_archE1030ELNS1_3gpuE2ELNS1_3repE0EEENS1_30default_config_static_selectorELNS0_4arch9wavefront6targetE0EEEvSR_.has_recursion, 0
	.set _ZN7rocprim17ROCPRIM_400000_NS6detail17trampoline_kernelINS0_14default_configENS1_32segmented_reduce_config_selectorIN3c108BFloat16EEEZNS1_21segmented_reduce_implIS3_PKS6_PS6_PKlS6_N6hipcub16HIPCUB_304000_NS6detail27convert_result_type_wrapperISA_SB_N2at6native12_GLOBAL__N_110CustomProdEEEEE10hipError_tPvRmT0_T1_jT2_SS_T4_T3_P12ihipStream_tbEUlT_E_NS1_11comp_targetILNS1_3genE8ELNS1_11target_archE1030ELNS1_3gpuE2ELNS1_3repE0EEENS1_30default_config_static_selectorELNS0_4arch9wavefront6targetE0EEEvSR_.has_indirect_call, 0
	.section	.AMDGPU.csdata,"",@progbits
; Kernel info:
; codeLenInByte = 0
; TotalNumSgprs: 0
; NumVgprs: 0
; ScratchSize: 0
; MemoryBound: 0
; FloatMode: 240
; IeeeMode: 1
; LDSByteSize: 0 bytes/workgroup (compile time only)
; SGPRBlocks: 0
; VGPRBlocks: 0
; NumSGPRsForWavesPerEU: 1
; NumVGPRsForWavesPerEU: 1
; NamedBarCnt: 0
; Occupancy: 16
; WaveLimiterHint : 0
; COMPUTE_PGM_RSRC2:SCRATCH_EN: 0
; COMPUTE_PGM_RSRC2:USER_SGPR: 2
; COMPUTE_PGM_RSRC2:TRAP_HANDLER: 0
; COMPUTE_PGM_RSRC2:TGID_X_EN: 1
; COMPUTE_PGM_RSRC2:TGID_Y_EN: 0
; COMPUTE_PGM_RSRC2:TGID_Z_EN: 0
; COMPUTE_PGM_RSRC2:TIDIG_COMP_CNT: 0
	.section	.AMDGPU.gpr_maximums,"",@progbits
	.set amdgpu.max_num_vgpr, 0
	.set amdgpu.max_num_agpr, 0
	.set amdgpu.max_num_sgpr, 0
	.section	.AMDGPU.csdata,"",@progbits
	.type	__hip_cuid_2d6e0ea67fa3393,@object ; @__hip_cuid_2d6e0ea67fa3393
	.section	.bss,"aw",@nobits
	.globl	__hip_cuid_2d6e0ea67fa3393
__hip_cuid_2d6e0ea67fa3393:
	.byte	0                               ; 0x0
	.size	__hip_cuid_2d6e0ea67fa3393, 1

	.ident	"AMD clang version 22.0.0git (https://github.com/RadeonOpenCompute/llvm-project roc-7.2.4 26084 f58b06dce1f9c15707c5f808fd002e18c2accf7e)"
	.section	".note.GNU-stack","",@progbits
	.addrsig
	.addrsig_sym __hip_cuid_2d6e0ea67fa3393
	.amdgpu_metadata
---
amdhsa.kernels:
  - .args:
      - .offset:         0
        .size:           4
        .value_kind:     by_value
      - .address_space:  global
        .offset:         8
        .size:           8
        .value_kind:     global_buffer
      - .address_space:  global
        .offset:         16
        .size:           8
        .value_kind:     global_buffer
      - .address_space:  global
        .offset:         24
        .size:           8
        .value_kind:     global_buffer
      - .address_space:  global
        .offset:         32
        .size:           8
        .value_kind:     global_buffer
      - .address_space:  global
        .offset:         40
        .size:           8
        .value_kind:     global_buffer
      - .address_space:  global
        .offset:         48
        .size:           8
        .value_kind:     global_buffer
      - .offset:         56
        .size:           8
        .value_kind:     by_value
      - .offset:         64
        .size:           8
        .value_kind:     by_value
      - .offset:         72
        .size:           8
        .value_kind:     by_value
      - .offset:         80
        .size:           8
        .value_kind:     by_value
      - .offset:         88
        .size:           8
        .value_kind:     by_value
      - .offset:         96
        .size:           8
        .value_kind:     by_value
      - .offset:         104
        .size:           8
        .value_kind:     by_value
      - .offset:         112
        .size:           8
        .value_kind:     by_value
      - .offset:         120
        .size:           8
        .value_kind:     by_value
      - .offset:         128
        .size:           8
        .value_kind:     by_value
      - .offset:         136
        .size:           4
        .value_kind:     hidden_block_count_x
      - .offset:         140
        .size:           4
        .value_kind:     hidden_block_count_y
      - .offset:         144
        .size:           4
        .value_kind:     hidden_block_count_z
      - .offset:         148
        .size:           2
        .value_kind:     hidden_group_size_x
      - .offset:         150
        .size:           2
        .value_kind:     hidden_group_size_y
      - .offset:         152
        .size:           2
        .value_kind:     hidden_group_size_z
      - .offset:         154
        .size:           2
        .value_kind:     hidden_remainder_x
      - .offset:         156
        .size:           2
        .value_kind:     hidden_remainder_y
      - .offset:         158
        .size:           2
        .value_kind:     hidden_remainder_z
      - .offset:         176
        .size:           8
        .value_kind:     hidden_global_offset_x
      - .offset:         184
        .size:           8
        .value_kind:     hidden_global_offset_y
      - .offset:         192
        .size:           8
        .value_kind:     hidden_global_offset_z
      - .offset:         200
        .size:           2
        .value_kind:     hidden_grid_dims
    .group_segment_fixed_size: 0
    .kernarg_segment_align: 8
    .kernarg_segment_size: 392
    .language:       OpenCL C
    .language_version:
      - 2
      - 0
    .max_flat_workgroup_size: 1024
    .name:           _ZN2at6native12_GLOBAL__N_130segment_reduce_backward_kernelIdiEEvNS0_13ReductionTypeEPT_PKS4_S7_S7_PKT0_SA_llS4_lllllll
    .private_segment_fixed_size: 0
    .sgpr_count:     54
    .sgpr_spill_count: 0
    .symbol:         _ZN2at6native12_GLOBAL__N_130segment_reduce_backward_kernelIdiEEvNS0_13ReductionTypeEPT_PKS4_S7_S7_PKT0_SA_llS4_lllllll.kd
    .uniform_work_group_size: 1
    .uses_dynamic_stack: false
    .vgpr_count:     38
    .vgpr_spill_count: 0
    .wavefront_size: 32
  - .args:
      - .offset:         0
        .size:           4
        .value_kind:     by_value
      - .address_space:  global
        .offset:         8
        .size:           8
        .value_kind:     global_buffer
      - .address_space:  global
        .offset:         16
        .size:           8
        .value_kind:     global_buffer
      - .address_space:  global
        .offset:         24
        .size:           8
        .value_kind:     global_buffer
      - .address_space:  global
        .offset:         32
        .size:           8
        .value_kind:     global_buffer
      - .address_space:  global
        .offset:         40
        .size:           8
        .value_kind:     global_buffer
      - .address_space:  global
        .offset:         48
        .size:           8
        .value_kind:     global_buffer
      - .offset:         56
        .size:           8
        .value_kind:     by_value
      - .offset:         64
        .size:           8
        .value_kind:     by_value
      - .offset:         72
        .size:           4
        .value_kind:     by_value
      - .offset:         80
        .size:           8
        .value_kind:     by_value
      - .offset:         88
        .size:           8
        .value_kind:     by_value
      - .offset:         96
        .size:           8
        .value_kind:     by_value
      - .offset:         104
        .size:           8
        .value_kind:     by_value
      - .offset:         112
        .size:           8
        .value_kind:     by_value
      - .offset:         120
        .size:           8
        .value_kind:     by_value
      - .offset:         128
        .size:           8
        .value_kind:     by_value
      - .offset:         136
        .size:           4
        .value_kind:     hidden_block_count_x
      - .offset:         140
        .size:           4
        .value_kind:     hidden_block_count_y
      - .offset:         144
        .size:           4
        .value_kind:     hidden_block_count_z
      - .offset:         148
        .size:           2
        .value_kind:     hidden_group_size_x
      - .offset:         150
        .size:           2
        .value_kind:     hidden_group_size_y
      - .offset:         152
        .size:           2
        .value_kind:     hidden_group_size_z
      - .offset:         154
        .size:           2
        .value_kind:     hidden_remainder_x
      - .offset:         156
        .size:           2
        .value_kind:     hidden_remainder_y
      - .offset:         158
        .size:           2
        .value_kind:     hidden_remainder_z
      - .offset:         176
        .size:           8
        .value_kind:     hidden_global_offset_x
      - .offset:         184
        .size:           8
        .value_kind:     hidden_global_offset_y
      - .offset:         192
        .size:           8
        .value_kind:     hidden_global_offset_z
      - .offset:         200
        .size:           2
        .value_kind:     hidden_grid_dims
    .group_segment_fixed_size: 0
    .kernarg_segment_align: 8
    .kernarg_segment_size: 392
    .language:       OpenCL C
    .language_version:
      - 2
      - 0
    .max_flat_workgroup_size: 1024
    .name:           _ZN2at6native12_GLOBAL__N_130segment_reduce_backward_kernelIfiEEvNS0_13ReductionTypeEPT_PKS4_S7_S7_PKT0_SA_llS4_lllllll
    .private_segment_fixed_size: 0
    .sgpr_count:     46
    .sgpr_spill_count: 0
    .symbol:         _ZN2at6native12_GLOBAL__N_130segment_reduce_backward_kernelIfiEEvNS0_13ReductionTypeEPT_PKS4_S7_S7_PKT0_SA_llS4_lllllll.kd
    .uniform_work_group_size: 1
    .uses_dynamic_stack: false
    .vgpr_count:     34
    .vgpr_spill_count: 0
    .wavefront_size: 32
  - .args:
      - .offset:         0
        .size:           4
        .value_kind:     by_value
      - .address_space:  global
        .offset:         8
        .size:           8
        .value_kind:     global_buffer
      - .address_space:  global
        .offset:         16
        .size:           8
        .value_kind:     global_buffer
      - .address_space:  global
        .offset:         24
        .size:           8
        .value_kind:     global_buffer
      - .address_space:  global
        .offset:         32
        .size:           8
        .value_kind:     global_buffer
      - .address_space:  global
        .offset:         40
        .size:           8
        .value_kind:     global_buffer
      - .address_space:  global
        .offset:         48
        .size:           8
        .value_kind:     global_buffer
      - .offset:         56
        .size:           8
        .value_kind:     by_value
      - .offset:         64
        .size:           8
        .value_kind:     by_value
      - .offset:         72
        .size:           2
        .value_kind:     by_value
      - .offset:         80
        .size:           8
        .value_kind:     by_value
      - .offset:         88
        .size:           8
        .value_kind:     by_value
      - .offset:         96
        .size:           8
        .value_kind:     by_value
      - .offset:         104
        .size:           8
        .value_kind:     by_value
      - .offset:         112
        .size:           8
        .value_kind:     by_value
      - .offset:         120
        .size:           8
        .value_kind:     by_value
      - .offset:         128
        .size:           8
        .value_kind:     by_value
      - .offset:         136
        .size:           4
        .value_kind:     hidden_block_count_x
      - .offset:         140
        .size:           4
        .value_kind:     hidden_block_count_y
      - .offset:         144
        .size:           4
        .value_kind:     hidden_block_count_z
      - .offset:         148
        .size:           2
        .value_kind:     hidden_group_size_x
      - .offset:         150
        .size:           2
        .value_kind:     hidden_group_size_y
      - .offset:         152
        .size:           2
        .value_kind:     hidden_group_size_z
      - .offset:         154
        .size:           2
        .value_kind:     hidden_remainder_x
      - .offset:         156
        .size:           2
        .value_kind:     hidden_remainder_y
      - .offset:         158
        .size:           2
        .value_kind:     hidden_remainder_z
      - .offset:         176
        .size:           8
        .value_kind:     hidden_global_offset_x
      - .offset:         184
        .size:           8
        .value_kind:     hidden_global_offset_y
      - .offset:         192
        .size:           8
        .value_kind:     hidden_global_offset_z
      - .offset:         200
        .size:           2
        .value_kind:     hidden_grid_dims
    .group_segment_fixed_size: 0
    .kernarg_segment_align: 8
    .kernarg_segment_size: 392
    .language:       OpenCL C
    .language_version:
      - 2
      - 0
    .max_flat_workgroup_size: 1024
    .name:           _ZN2at6native12_GLOBAL__N_130segment_reduce_backward_kernelIN3c108BFloat16EiEEvNS0_13ReductionTypeEPT_PKS6_S9_S9_PKT0_SC_llS6_lllllll
    .private_segment_fixed_size: 0
    .sgpr_count:     46
    .sgpr_spill_count: 0
    .symbol:         _ZN2at6native12_GLOBAL__N_130segment_reduce_backward_kernelIN3c108BFloat16EiEEvNS0_13ReductionTypeEPT_PKS6_S9_S9_PKT0_SC_llS6_lllllll.kd
    .uniform_work_group_size: 1
    .uses_dynamic_stack: false
    .vgpr_count:     46
    .vgpr_spill_count: 0
    .wavefront_size: 32
  - .args:
      - .offset:         0
        .size:           4
        .value_kind:     by_value
      - .address_space:  global
        .offset:         8
        .size:           8
        .value_kind:     global_buffer
      - .address_space:  global
        .offset:         16
        .size:           8
        .value_kind:     global_buffer
      - .address_space:  global
        .offset:         24
        .size:           8
        .value_kind:     global_buffer
      - .address_space:  global
        .offset:         32
        .size:           8
        .value_kind:     global_buffer
      - .address_space:  global
        .offset:         40
        .size:           8
        .value_kind:     global_buffer
      - .address_space:  global
        .offset:         48
        .size:           8
        .value_kind:     global_buffer
      - .offset:         56
        .size:           8
        .value_kind:     by_value
      - .offset:         64
        .size:           8
        .value_kind:     by_value
      - .offset:         72
        .size:           2
        .value_kind:     by_value
      - .offset:         80
        .size:           8
        .value_kind:     by_value
      - .offset:         88
        .size:           8
        .value_kind:     by_value
      - .offset:         96
        .size:           8
        .value_kind:     by_value
      - .offset:         104
        .size:           8
        .value_kind:     by_value
      - .offset:         112
        .size:           8
        .value_kind:     by_value
      - .offset:         120
        .size:           8
        .value_kind:     by_value
      - .offset:         128
        .size:           8
        .value_kind:     by_value
      - .offset:         136
        .size:           4
        .value_kind:     hidden_block_count_x
      - .offset:         140
        .size:           4
        .value_kind:     hidden_block_count_y
      - .offset:         144
        .size:           4
        .value_kind:     hidden_block_count_z
      - .offset:         148
        .size:           2
        .value_kind:     hidden_group_size_x
      - .offset:         150
        .size:           2
        .value_kind:     hidden_group_size_y
      - .offset:         152
        .size:           2
        .value_kind:     hidden_group_size_z
      - .offset:         154
        .size:           2
        .value_kind:     hidden_remainder_x
      - .offset:         156
        .size:           2
        .value_kind:     hidden_remainder_y
      - .offset:         158
        .size:           2
        .value_kind:     hidden_remainder_z
      - .offset:         176
        .size:           8
        .value_kind:     hidden_global_offset_x
      - .offset:         184
        .size:           8
        .value_kind:     hidden_global_offset_y
      - .offset:         192
        .size:           8
        .value_kind:     hidden_global_offset_z
      - .offset:         200
        .size:           2
        .value_kind:     hidden_grid_dims
    .group_segment_fixed_size: 0
    .kernarg_segment_align: 8
    .kernarg_segment_size: 392
    .language:       OpenCL C
    .language_version:
      - 2
      - 0
    .max_flat_workgroup_size: 1024
    .name:           _ZN2at6native12_GLOBAL__N_130segment_reduce_backward_kernelIN3c104HalfEiEEvNS0_13ReductionTypeEPT_PKS6_S9_S9_PKT0_SC_llS6_lllllll
    .private_segment_fixed_size: 0
    .sgpr_count:     46
    .sgpr_spill_count: 0
    .symbol:         _ZN2at6native12_GLOBAL__N_130segment_reduce_backward_kernelIN3c104HalfEiEEvNS0_13ReductionTypeEPT_PKS6_S9_S9_PKT0_SC_llS6_lllllll.kd
    .uniform_work_group_size: 1
    .uses_dynamic_stack: false
    .vgpr_count:     35
    .vgpr_spill_count: 0
    .wavefront_size: 32
  - .args:
      - .offset:         0
        .size:           4
        .value_kind:     by_value
      - .address_space:  global
        .offset:         8
        .size:           8
        .value_kind:     global_buffer
      - .address_space:  global
        .offset:         16
        .size:           8
        .value_kind:     global_buffer
      - .address_space:  global
        .offset:         24
        .size:           8
        .value_kind:     global_buffer
      - .address_space:  global
        .offset:         32
        .size:           8
        .value_kind:     global_buffer
      - .address_space:  global
        .offset:         40
        .size:           8
        .value_kind:     global_buffer
      - .address_space:  global
        .offset:         48
        .size:           8
        .value_kind:     global_buffer
      - .offset:         56
        .size:           8
        .value_kind:     by_value
      - .offset:         64
        .size:           8
        .value_kind:     by_value
      - .offset:         72
        .size:           8
        .value_kind:     by_value
      - .offset:         80
        .size:           8
        .value_kind:     by_value
      - .offset:         88
        .size:           8
        .value_kind:     by_value
      - .offset:         96
        .size:           8
        .value_kind:     by_value
      - .offset:         104
        .size:           8
        .value_kind:     by_value
      - .offset:         112
        .size:           8
        .value_kind:     by_value
      - .offset:         120
        .size:           8
        .value_kind:     by_value
      - .offset:         128
        .size:           8
        .value_kind:     by_value
      - .offset:         136
        .size:           4
        .value_kind:     hidden_block_count_x
      - .offset:         140
        .size:           4
        .value_kind:     hidden_block_count_y
      - .offset:         144
        .size:           4
        .value_kind:     hidden_block_count_z
      - .offset:         148
        .size:           2
        .value_kind:     hidden_group_size_x
      - .offset:         150
        .size:           2
        .value_kind:     hidden_group_size_y
      - .offset:         152
        .size:           2
        .value_kind:     hidden_group_size_z
      - .offset:         154
        .size:           2
        .value_kind:     hidden_remainder_x
      - .offset:         156
        .size:           2
        .value_kind:     hidden_remainder_y
      - .offset:         158
        .size:           2
        .value_kind:     hidden_remainder_z
      - .offset:         176
        .size:           8
        .value_kind:     hidden_global_offset_x
      - .offset:         184
        .size:           8
        .value_kind:     hidden_global_offset_y
      - .offset:         192
        .size:           8
        .value_kind:     hidden_global_offset_z
      - .offset:         200
        .size:           2
        .value_kind:     hidden_grid_dims
    .group_segment_fixed_size: 0
    .kernarg_segment_align: 8
    .kernarg_segment_size: 392
    .language:       OpenCL C
    .language_version:
      - 2
      - 0
    .max_flat_workgroup_size: 1024
    .name:           _ZN2at6native12_GLOBAL__N_130segment_reduce_backward_kernelIdlEEvNS0_13ReductionTypeEPT_PKS4_S7_S7_PKT0_SA_llS4_lllllll
    .private_segment_fixed_size: 0
    .sgpr_count:     54
    .sgpr_spill_count: 0
    .symbol:         _ZN2at6native12_GLOBAL__N_130segment_reduce_backward_kernelIdlEEvNS0_13ReductionTypeEPT_PKS4_S7_S7_PKT0_SA_llS4_lllllll.kd
    .uniform_work_group_size: 1
    .uses_dynamic_stack: false
    .vgpr_count:     36
    .vgpr_spill_count: 0
    .wavefront_size: 32
  - .args:
      - .offset:         0
        .size:           4
        .value_kind:     by_value
      - .address_space:  global
        .offset:         8
        .size:           8
        .value_kind:     global_buffer
      - .address_space:  global
        .offset:         16
        .size:           8
        .value_kind:     global_buffer
      - .address_space:  global
        .offset:         24
        .size:           8
        .value_kind:     global_buffer
      - .address_space:  global
        .offset:         32
        .size:           8
        .value_kind:     global_buffer
      - .address_space:  global
        .offset:         40
        .size:           8
        .value_kind:     global_buffer
      - .address_space:  global
        .offset:         48
        .size:           8
        .value_kind:     global_buffer
      - .offset:         56
        .size:           8
        .value_kind:     by_value
      - .offset:         64
        .size:           8
        .value_kind:     by_value
      - .offset:         72
        .size:           4
        .value_kind:     by_value
      - .offset:         80
        .size:           8
        .value_kind:     by_value
      - .offset:         88
        .size:           8
        .value_kind:     by_value
      - .offset:         96
        .size:           8
        .value_kind:     by_value
      - .offset:         104
        .size:           8
        .value_kind:     by_value
      - .offset:         112
        .size:           8
        .value_kind:     by_value
      - .offset:         120
        .size:           8
        .value_kind:     by_value
      - .offset:         128
        .size:           8
        .value_kind:     by_value
      - .offset:         136
        .size:           4
        .value_kind:     hidden_block_count_x
      - .offset:         140
        .size:           4
        .value_kind:     hidden_block_count_y
      - .offset:         144
        .size:           4
        .value_kind:     hidden_block_count_z
      - .offset:         148
        .size:           2
        .value_kind:     hidden_group_size_x
      - .offset:         150
        .size:           2
        .value_kind:     hidden_group_size_y
      - .offset:         152
        .size:           2
        .value_kind:     hidden_group_size_z
      - .offset:         154
        .size:           2
        .value_kind:     hidden_remainder_x
      - .offset:         156
        .size:           2
        .value_kind:     hidden_remainder_y
      - .offset:         158
        .size:           2
        .value_kind:     hidden_remainder_z
      - .offset:         176
        .size:           8
        .value_kind:     hidden_global_offset_x
      - .offset:         184
        .size:           8
        .value_kind:     hidden_global_offset_y
      - .offset:         192
        .size:           8
        .value_kind:     hidden_global_offset_z
      - .offset:         200
        .size:           2
        .value_kind:     hidden_grid_dims
    .group_segment_fixed_size: 0
    .kernarg_segment_align: 8
    .kernarg_segment_size: 392
    .language:       OpenCL C
    .language_version:
      - 2
      - 0
    .max_flat_workgroup_size: 1024
    .name:           _ZN2at6native12_GLOBAL__N_130segment_reduce_backward_kernelIflEEvNS0_13ReductionTypeEPT_PKS4_S7_S7_PKT0_SA_llS4_lllllll
    .private_segment_fixed_size: 0
    .sgpr_count:     46
    .sgpr_spill_count: 0
    .symbol:         _ZN2at6native12_GLOBAL__N_130segment_reduce_backward_kernelIflEEvNS0_13ReductionTypeEPT_PKS4_S7_S7_PKT0_SA_llS4_lllllll.kd
    .uniform_work_group_size: 1
    .uses_dynamic_stack: false
    .vgpr_count:     33
    .vgpr_spill_count: 0
    .wavefront_size: 32
  - .args:
      - .offset:         0
        .size:           4
        .value_kind:     by_value
      - .address_space:  global
        .offset:         8
        .size:           8
        .value_kind:     global_buffer
      - .address_space:  global
        .offset:         16
        .size:           8
        .value_kind:     global_buffer
      - .address_space:  global
        .offset:         24
        .size:           8
        .value_kind:     global_buffer
      - .address_space:  global
        .offset:         32
        .size:           8
        .value_kind:     global_buffer
      - .address_space:  global
        .offset:         40
        .size:           8
        .value_kind:     global_buffer
      - .address_space:  global
        .offset:         48
        .size:           8
        .value_kind:     global_buffer
      - .offset:         56
        .size:           8
        .value_kind:     by_value
      - .offset:         64
        .size:           8
        .value_kind:     by_value
      - .offset:         72
        .size:           2
        .value_kind:     by_value
      - .offset:         80
        .size:           8
        .value_kind:     by_value
      - .offset:         88
        .size:           8
        .value_kind:     by_value
      - .offset:         96
        .size:           8
        .value_kind:     by_value
      - .offset:         104
        .size:           8
        .value_kind:     by_value
      - .offset:         112
        .size:           8
        .value_kind:     by_value
      - .offset:         120
        .size:           8
        .value_kind:     by_value
      - .offset:         128
        .size:           8
        .value_kind:     by_value
      - .offset:         136
        .size:           4
        .value_kind:     hidden_block_count_x
      - .offset:         140
        .size:           4
        .value_kind:     hidden_block_count_y
      - .offset:         144
        .size:           4
        .value_kind:     hidden_block_count_z
      - .offset:         148
        .size:           2
        .value_kind:     hidden_group_size_x
      - .offset:         150
        .size:           2
        .value_kind:     hidden_group_size_y
      - .offset:         152
        .size:           2
        .value_kind:     hidden_group_size_z
      - .offset:         154
        .size:           2
        .value_kind:     hidden_remainder_x
      - .offset:         156
        .size:           2
        .value_kind:     hidden_remainder_y
      - .offset:         158
        .size:           2
        .value_kind:     hidden_remainder_z
      - .offset:         176
        .size:           8
        .value_kind:     hidden_global_offset_x
      - .offset:         184
        .size:           8
        .value_kind:     hidden_global_offset_y
      - .offset:         192
        .size:           8
        .value_kind:     hidden_global_offset_z
      - .offset:         200
        .size:           2
        .value_kind:     hidden_grid_dims
    .group_segment_fixed_size: 0
    .kernarg_segment_align: 8
    .kernarg_segment_size: 392
    .language:       OpenCL C
    .language_version:
      - 2
      - 0
    .max_flat_workgroup_size: 1024
    .name:           _ZN2at6native12_GLOBAL__N_130segment_reduce_backward_kernelIN3c108BFloat16ElEEvNS0_13ReductionTypeEPT_PKS6_S9_S9_PKT0_SC_llS6_lllllll
    .private_segment_fixed_size: 0
    .sgpr_count:     46
    .sgpr_spill_count: 0
    .symbol:         _ZN2at6native12_GLOBAL__N_130segment_reduce_backward_kernelIN3c108BFloat16ElEEvNS0_13ReductionTypeEPT_PKS6_S9_S9_PKT0_SC_llS6_lllllll.kd
    .uniform_work_group_size: 1
    .uses_dynamic_stack: false
    .vgpr_count:     46
    .vgpr_spill_count: 0
    .wavefront_size: 32
  - .args:
      - .offset:         0
        .size:           4
        .value_kind:     by_value
      - .address_space:  global
        .offset:         8
        .size:           8
        .value_kind:     global_buffer
      - .address_space:  global
        .offset:         16
        .size:           8
        .value_kind:     global_buffer
      - .address_space:  global
        .offset:         24
        .size:           8
        .value_kind:     global_buffer
      - .address_space:  global
        .offset:         32
        .size:           8
        .value_kind:     global_buffer
      - .address_space:  global
        .offset:         40
        .size:           8
        .value_kind:     global_buffer
      - .address_space:  global
        .offset:         48
        .size:           8
        .value_kind:     global_buffer
      - .offset:         56
        .size:           8
        .value_kind:     by_value
      - .offset:         64
        .size:           8
        .value_kind:     by_value
      - .offset:         72
        .size:           2
        .value_kind:     by_value
      - .offset:         80
        .size:           8
        .value_kind:     by_value
      - .offset:         88
        .size:           8
        .value_kind:     by_value
      - .offset:         96
        .size:           8
        .value_kind:     by_value
      - .offset:         104
        .size:           8
        .value_kind:     by_value
      - .offset:         112
        .size:           8
        .value_kind:     by_value
      - .offset:         120
        .size:           8
        .value_kind:     by_value
      - .offset:         128
        .size:           8
        .value_kind:     by_value
      - .offset:         136
        .size:           4
        .value_kind:     hidden_block_count_x
      - .offset:         140
        .size:           4
        .value_kind:     hidden_block_count_y
      - .offset:         144
        .size:           4
        .value_kind:     hidden_block_count_z
      - .offset:         148
        .size:           2
        .value_kind:     hidden_group_size_x
      - .offset:         150
        .size:           2
        .value_kind:     hidden_group_size_y
      - .offset:         152
        .size:           2
        .value_kind:     hidden_group_size_z
      - .offset:         154
        .size:           2
        .value_kind:     hidden_remainder_x
      - .offset:         156
        .size:           2
        .value_kind:     hidden_remainder_y
      - .offset:         158
        .size:           2
        .value_kind:     hidden_remainder_z
      - .offset:         176
        .size:           8
        .value_kind:     hidden_global_offset_x
      - .offset:         184
        .size:           8
        .value_kind:     hidden_global_offset_y
      - .offset:         192
        .size:           8
        .value_kind:     hidden_global_offset_z
      - .offset:         200
        .size:           2
        .value_kind:     hidden_grid_dims
    .group_segment_fixed_size: 0
    .kernarg_segment_align: 8
    .kernarg_segment_size: 392
    .language:       OpenCL C
    .language_version:
      - 2
      - 0
    .max_flat_workgroup_size: 1024
    .name:           _ZN2at6native12_GLOBAL__N_130segment_reduce_backward_kernelIN3c104HalfElEEvNS0_13ReductionTypeEPT_PKS6_S9_S9_PKT0_SC_llS6_lllllll
    .private_segment_fixed_size: 0
    .sgpr_count:     46
    .sgpr_spill_count: 0
    .symbol:         _ZN2at6native12_GLOBAL__N_130segment_reduce_backward_kernelIN3c104HalfElEEvNS0_13ReductionTypeEPT_PKS6_S9_S9_PKT0_SC_llS6_lllllll.kd
    .uniform_work_group_size: 1
    .uses_dynamic_stack: false
    .vgpr_count:     34
    .vgpr_spill_count: 0
    .wavefront_size: 32
  - .args:
      - .offset:         0
        .size:           4
        .value_kind:     by_value
      - .address_space:  global
        .offset:         8
        .size:           8
        .value_kind:     global_buffer
      - .address_space:  global
        .offset:         16
        .size:           8
        .value_kind:     global_buffer
      - .address_space:  global
        .offset:         24
        .size:           8
        .value_kind:     global_buffer
      - .address_space:  global
        .offset:         32
        .size:           8
        .value_kind:     global_buffer
      - .offset:         40
        .size:           8
        .value_kind:     by_value
      - .offset:         48
        .size:           8
        .value_kind:     by_value
      - .offset:         56
        .size:           1
        .value_kind:     by_value
      - .offset:         64
        .size:           8
        .value_kind:     by_value
      - .offset:         72
        .size:           8
        .value_kind:     by_value
      - .offset:         80
        .size:           8
        .value_kind:     by_value
      - .offset:         88
        .size:           8
        .value_kind:     by_value
      - .offset:         96
        .size:           8
        .value_kind:     by_value
      - .offset:         104
        .size:           8
        .value_kind:     by_value
      - .offset:         112
        .size:           8
        .value_kind:     by_value
      - .offset:         120
        .size:           8
        .value_kind:     by_value
      - .offset:         128
        .size:           4
        .value_kind:     hidden_block_count_x
      - .offset:         132
        .size:           4
        .value_kind:     hidden_block_count_y
      - .offset:         136
        .size:           4
        .value_kind:     hidden_block_count_z
      - .offset:         140
        .size:           2
        .value_kind:     hidden_group_size_x
      - .offset:         142
        .size:           2
        .value_kind:     hidden_group_size_y
      - .offset:         144
        .size:           2
        .value_kind:     hidden_group_size_z
      - .offset:         146
        .size:           2
        .value_kind:     hidden_remainder_x
      - .offset:         148
        .size:           2
        .value_kind:     hidden_remainder_y
      - .offset:         150
        .size:           2
        .value_kind:     hidden_remainder_z
      - .offset:         168
        .size:           8
        .value_kind:     hidden_global_offset_x
      - .offset:         176
        .size:           8
        .value_kind:     hidden_global_offset_y
      - .offset:         184
        .size:           8
        .value_kind:     hidden_global_offset_z
      - .offset:         192
        .size:           2
        .value_kind:     hidden_grid_dims
    .group_segment_fixed_size: 0
    .kernarg_segment_align: 8
    .kernarg_segment_size: 384
    .language:       OpenCL C
    .language_version:
      - 2
      - 0
    .max_flat_workgroup_size: 1024
    .name:           _ZN2at6native12_GLOBAL__N_129segment_reduce_forward_kernelIdiEEvNS0_13ReductionTypeEPT_PKS4_PKT0_SA_llbS4_lllllll
    .private_segment_fixed_size: 0
    .sgpr_count:     48
    .sgpr_spill_count: 0
    .symbol:         _ZN2at6native12_GLOBAL__N_129segment_reduce_forward_kernelIdiEEvNS0_13ReductionTypeEPT_PKS4_PKT0_SA_llbS4_lllllll.kd
    .uniform_work_group_size: 1
    .uses_dynamic_stack: false
    .vgpr_count:     20
    .vgpr_spill_count: 0
    .wavefront_size: 32
  - .args:
      - .offset:         0
        .size:           56
        .value_kind:     by_value
    .group_segment_fixed_size: 64
    .kernarg_segment_align: 8
    .kernarg_segment_size: 56
    .language:       OpenCL C
    .language_version:
      - 2
      - 0
    .max_flat_workgroup_size: 256
    .name:           _ZN7rocprim17ROCPRIM_400000_NS6detail17trampoline_kernelINS0_14default_configENS1_32segmented_reduce_config_selectorIdEEZNS1_21segmented_reduce_implIS3_PKdPdPKidN6hipcub16HIPCUB_304000_NS6detail27convert_result_type_wrapperIS8_S9_N2at6native12_GLOBAL__N_19CustomMaxEEEEE10hipError_tPvRmT0_T1_jT2_SQ_T4_T3_P12ihipStream_tbEUlT_E_NS1_11comp_targetILNS1_3genE0ELNS1_11target_archE4294967295ELNS1_3gpuE0ELNS1_3repE0EEENS1_30default_config_static_selectorELNS0_4arch9wavefront6targetE0EEEvSP_
    .private_segment_fixed_size: 0
    .sgpr_count:     20
    .sgpr_spill_count: 0
    .symbol:         _ZN7rocprim17ROCPRIM_400000_NS6detail17trampoline_kernelINS0_14default_configENS1_32segmented_reduce_config_selectorIdEEZNS1_21segmented_reduce_implIS3_PKdPdPKidN6hipcub16HIPCUB_304000_NS6detail27convert_result_type_wrapperIS8_S9_N2at6native12_GLOBAL__N_19CustomMaxEEEEE10hipError_tPvRmT0_T1_jT2_SQ_T4_T3_P12ihipStream_tbEUlT_E_NS1_11comp_targetILNS1_3genE0ELNS1_11target_archE4294967295ELNS1_3gpuE0ELNS1_3repE0EEENS1_30default_config_static_selectorELNS0_4arch9wavefront6targetE0EEEvSP_.kd
    .uniform_work_group_size: 1
    .uses_dynamic_stack: false
    .vgpr_count:     26
    .vgpr_spill_count: 0
    .wavefront_size: 32
  - .args:
      - .offset:         0
        .size:           56
        .value_kind:     by_value
    .group_segment_fixed_size: 0
    .kernarg_segment_align: 8
    .kernarg_segment_size: 56
    .language:       OpenCL C
    .language_version:
      - 2
      - 0
    .max_flat_workgroup_size: 256
    .name:           _ZN7rocprim17ROCPRIM_400000_NS6detail17trampoline_kernelINS0_14default_configENS1_32segmented_reduce_config_selectorIdEEZNS1_21segmented_reduce_implIS3_PKdPdPKidN6hipcub16HIPCUB_304000_NS6detail27convert_result_type_wrapperIS8_S9_N2at6native12_GLOBAL__N_19CustomMaxEEEEE10hipError_tPvRmT0_T1_jT2_SQ_T4_T3_P12ihipStream_tbEUlT_E_NS1_11comp_targetILNS1_3genE5ELNS1_11target_archE942ELNS1_3gpuE9ELNS1_3repE0EEENS1_30default_config_static_selectorELNS0_4arch9wavefront6targetE0EEEvSP_
    .private_segment_fixed_size: 0
    .sgpr_count:     0
    .sgpr_spill_count: 0
    .symbol:         _ZN7rocprim17ROCPRIM_400000_NS6detail17trampoline_kernelINS0_14default_configENS1_32segmented_reduce_config_selectorIdEEZNS1_21segmented_reduce_implIS3_PKdPdPKidN6hipcub16HIPCUB_304000_NS6detail27convert_result_type_wrapperIS8_S9_N2at6native12_GLOBAL__N_19CustomMaxEEEEE10hipError_tPvRmT0_T1_jT2_SQ_T4_T3_P12ihipStream_tbEUlT_E_NS1_11comp_targetILNS1_3genE5ELNS1_11target_archE942ELNS1_3gpuE9ELNS1_3repE0EEENS1_30default_config_static_selectorELNS0_4arch9wavefront6targetE0EEEvSP_.kd
    .uniform_work_group_size: 1
    .uses_dynamic_stack: false
    .vgpr_count:     0
    .vgpr_spill_count: 0
    .wavefront_size: 32
  - .args:
      - .offset:         0
        .size:           56
        .value_kind:     by_value
    .group_segment_fixed_size: 0
    .kernarg_segment_align: 8
    .kernarg_segment_size: 56
    .language:       OpenCL C
    .language_version:
      - 2
      - 0
    .max_flat_workgroup_size: 256
    .name:           _ZN7rocprim17ROCPRIM_400000_NS6detail17trampoline_kernelINS0_14default_configENS1_32segmented_reduce_config_selectorIdEEZNS1_21segmented_reduce_implIS3_PKdPdPKidN6hipcub16HIPCUB_304000_NS6detail27convert_result_type_wrapperIS8_S9_N2at6native12_GLOBAL__N_19CustomMaxEEEEE10hipError_tPvRmT0_T1_jT2_SQ_T4_T3_P12ihipStream_tbEUlT_E_NS1_11comp_targetILNS1_3genE10ELNS1_11target_archE1201ELNS1_3gpuE5ELNS1_3repE0EEENS1_30default_config_static_selectorELNS0_4arch9wavefront6targetE0EEEvSP_
    .private_segment_fixed_size: 0
    .sgpr_count:     0
    .sgpr_spill_count: 0
    .symbol:         _ZN7rocprim17ROCPRIM_400000_NS6detail17trampoline_kernelINS0_14default_configENS1_32segmented_reduce_config_selectorIdEEZNS1_21segmented_reduce_implIS3_PKdPdPKidN6hipcub16HIPCUB_304000_NS6detail27convert_result_type_wrapperIS8_S9_N2at6native12_GLOBAL__N_19CustomMaxEEEEE10hipError_tPvRmT0_T1_jT2_SQ_T4_T3_P12ihipStream_tbEUlT_E_NS1_11comp_targetILNS1_3genE10ELNS1_11target_archE1201ELNS1_3gpuE5ELNS1_3repE0EEENS1_30default_config_static_selectorELNS0_4arch9wavefront6targetE0EEEvSP_.kd
    .uniform_work_group_size: 1
    .uses_dynamic_stack: false
    .vgpr_count:     0
    .vgpr_spill_count: 0
    .wavefront_size: 32
  - .args:
      - .offset:         0
        .size:           56
        .value_kind:     by_value
    .group_segment_fixed_size: 0
    .kernarg_segment_align: 8
    .kernarg_segment_size: 56
    .language:       OpenCL C
    .language_version:
      - 2
      - 0
    .max_flat_workgroup_size: 256
    .name:           _ZN7rocprim17ROCPRIM_400000_NS6detail17trampoline_kernelINS0_14default_configENS1_32segmented_reduce_config_selectorIdEEZNS1_21segmented_reduce_implIS3_PKdPdPKidN6hipcub16HIPCUB_304000_NS6detail27convert_result_type_wrapperIS8_S9_N2at6native12_GLOBAL__N_19CustomMaxEEEEE10hipError_tPvRmT0_T1_jT2_SQ_T4_T3_P12ihipStream_tbEUlT_E_NS1_11comp_targetILNS1_3genE4ELNS1_11target_archE910ELNS1_3gpuE8ELNS1_3repE0EEENS1_30default_config_static_selectorELNS0_4arch9wavefront6targetE0EEEvSP_
    .private_segment_fixed_size: 0
    .sgpr_count:     0
    .sgpr_spill_count: 0
    .symbol:         _ZN7rocprim17ROCPRIM_400000_NS6detail17trampoline_kernelINS0_14default_configENS1_32segmented_reduce_config_selectorIdEEZNS1_21segmented_reduce_implIS3_PKdPdPKidN6hipcub16HIPCUB_304000_NS6detail27convert_result_type_wrapperIS8_S9_N2at6native12_GLOBAL__N_19CustomMaxEEEEE10hipError_tPvRmT0_T1_jT2_SQ_T4_T3_P12ihipStream_tbEUlT_E_NS1_11comp_targetILNS1_3genE4ELNS1_11target_archE910ELNS1_3gpuE8ELNS1_3repE0EEENS1_30default_config_static_selectorELNS0_4arch9wavefront6targetE0EEEvSP_.kd
    .uniform_work_group_size: 1
    .uses_dynamic_stack: false
    .vgpr_count:     0
    .vgpr_spill_count: 0
    .wavefront_size: 32
  - .args:
      - .offset:         0
        .size:           56
        .value_kind:     by_value
    .group_segment_fixed_size: 0
    .kernarg_segment_align: 8
    .kernarg_segment_size: 56
    .language:       OpenCL C
    .language_version:
      - 2
      - 0
    .max_flat_workgroup_size: 256
    .name:           _ZN7rocprim17ROCPRIM_400000_NS6detail17trampoline_kernelINS0_14default_configENS1_32segmented_reduce_config_selectorIdEEZNS1_21segmented_reduce_implIS3_PKdPdPKidN6hipcub16HIPCUB_304000_NS6detail27convert_result_type_wrapperIS8_S9_N2at6native12_GLOBAL__N_19CustomMaxEEEEE10hipError_tPvRmT0_T1_jT2_SQ_T4_T3_P12ihipStream_tbEUlT_E_NS1_11comp_targetILNS1_3genE3ELNS1_11target_archE908ELNS1_3gpuE7ELNS1_3repE0EEENS1_30default_config_static_selectorELNS0_4arch9wavefront6targetE0EEEvSP_
    .private_segment_fixed_size: 0
    .sgpr_count:     0
    .sgpr_spill_count: 0
    .symbol:         _ZN7rocprim17ROCPRIM_400000_NS6detail17trampoline_kernelINS0_14default_configENS1_32segmented_reduce_config_selectorIdEEZNS1_21segmented_reduce_implIS3_PKdPdPKidN6hipcub16HIPCUB_304000_NS6detail27convert_result_type_wrapperIS8_S9_N2at6native12_GLOBAL__N_19CustomMaxEEEEE10hipError_tPvRmT0_T1_jT2_SQ_T4_T3_P12ihipStream_tbEUlT_E_NS1_11comp_targetILNS1_3genE3ELNS1_11target_archE908ELNS1_3gpuE7ELNS1_3repE0EEENS1_30default_config_static_selectorELNS0_4arch9wavefront6targetE0EEEvSP_.kd
    .uniform_work_group_size: 1
    .uses_dynamic_stack: false
    .vgpr_count:     0
    .vgpr_spill_count: 0
    .wavefront_size: 32
  - .args:
      - .offset:         0
        .size:           56
        .value_kind:     by_value
    .group_segment_fixed_size: 0
    .kernarg_segment_align: 8
    .kernarg_segment_size: 56
    .language:       OpenCL C
    .language_version:
      - 2
      - 0
    .max_flat_workgroup_size: 256
    .name:           _ZN7rocprim17ROCPRIM_400000_NS6detail17trampoline_kernelINS0_14default_configENS1_32segmented_reduce_config_selectorIdEEZNS1_21segmented_reduce_implIS3_PKdPdPKidN6hipcub16HIPCUB_304000_NS6detail27convert_result_type_wrapperIS8_S9_N2at6native12_GLOBAL__N_19CustomMaxEEEEE10hipError_tPvRmT0_T1_jT2_SQ_T4_T3_P12ihipStream_tbEUlT_E_NS1_11comp_targetILNS1_3genE2ELNS1_11target_archE906ELNS1_3gpuE6ELNS1_3repE0EEENS1_30default_config_static_selectorELNS0_4arch9wavefront6targetE0EEEvSP_
    .private_segment_fixed_size: 0
    .sgpr_count:     0
    .sgpr_spill_count: 0
    .symbol:         _ZN7rocprim17ROCPRIM_400000_NS6detail17trampoline_kernelINS0_14default_configENS1_32segmented_reduce_config_selectorIdEEZNS1_21segmented_reduce_implIS3_PKdPdPKidN6hipcub16HIPCUB_304000_NS6detail27convert_result_type_wrapperIS8_S9_N2at6native12_GLOBAL__N_19CustomMaxEEEEE10hipError_tPvRmT0_T1_jT2_SQ_T4_T3_P12ihipStream_tbEUlT_E_NS1_11comp_targetILNS1_3genE2ELNS1_11target_archE906ELNS1_3gpuE6ELNS1_3repE0EEENS1_30default_config_static_selectorELNS0_4arch9wavefront6targetE0EEEvSP_.kd
    .uniform_work_group_size: 1
    .uses_dynamic_stack: false
    .vgpr_count:     0
    .vgpr_spill_count: 0
    .wavefront_size: 32
  - .args:
      - .offset:         0
        .size:           56
        .value_kind:     by_value
    .group_segment_fixed_size: 0
    .kernarg_segment_align: 8
    .kernarg_segment_size: 56
    .language:       OpenCL C
    .language_version:
      - 2
      - 0
    .max_flat_workgroup_size: 256
    .name:           _ZN7rocprim17ROCPRIM_400000_NS6detail17trampoline_kernelINS0_14default_configENS1_32segmented_reduce_config_selectorIdEEZNS1_21segmented_reduce_implIS3_PKdPdPKidN6hipcub16HIPCUB_304000_NS6detail27convert_result_type_wrapperIS8_S9_N2at6native12_GLOBAL__N_19CustomMaxEEEEE10hipError_tPvRmT0_T1_jT2_SQ_T4_T3_P12ihipStream_tbEUlT_E_NS1_11comp_targetILNS1_3genE9ELNS1_11target_archE1100ELNS1_3gpuE3ELNS1_3repE0EEENS1_30default_config_static_selectorELNS0_4arch9wavefront6targetE0EEEvSP_
    .private_segment_fixed_size: 0
    .sgpr_count:     0
    .sgpr_spill_count: 0
    .symbol:         _ZN7rocprim17ROCPRIM_400000_NS6detail17trampoline_kernelINS0_14default_configENS1_32segmented_reduce_config_selectorIdEEZNS1_21segmented_reduce_implIS3_PKdPdPKidN6hipcub16HIPCUB_304000_NS6detail27convert_result_type_wrapperIS8_S9_N2at6native12_GLOBAL__N_19CustomMaxEEEEE10hipError_tPvRmT0_T1_jT2_SQ_T4_T3_P12ihipStream_tbEUlT_E_NS1_11comp_targetILNS1_3genE9ELNS1_11target_archE1100ELNS1_3gpuE3ELNS1_3repE0EEENS1_30default_config_static_selectorELNS0_4arch9wavefront6targetE0EEEvSP_.kd
    .uniform_work_group_size: 1
    .uses_dynamic_stack: false
    .vgpr_count:     0
    .vgpr_spill_count: 0
    .wavefront_size: 32
  - .args:
      - .offset:         0
        .size:           56
        .value_kind:     by_value
    .group_segment_fixed_size: 0
    .kernarg_segment_align: 8
    .kernarg_segment_size: 56
    .language:       OpenCL C
    .language_version:
      - 2
      - 0
    .max_flat_workgroup_size: 256
    .name:           _ZN7rocprim17ROCPRIM_400000_NS6detail17trampoline_kernelINS0_14default_configENS1_32segmented_reduce_config_selectorIdEEZNS1_21segmented_reduce_implIS3_PKdPdPKidN6hipcub16HIPCUB_304000_NS6detail27convert_result_type_wrapperIS8_S9_N2at6native12_GLOBAL__N_19CustomMaxEEEEE10hipError_tPvRmT0_T1_jT2_SQ_T4_T3_P12ihipStream_tbEUlT_E_NS1_11comp_targetILNS1_3genE8ELNS1_11target_archE1030ELNS1_3gpuE2ELNS1_3repE0EEENS1_30default_config_static_selectorELNS0_4arch9wavefront6targetE0EEEvSP_
    .private_segment_fixed_size: 0
    .sgpr_count:     0
    .sgpr_spill_count: 0
    .symbol:         _ZN7rocprim17ROCPRIM_400000_NS6detail17trampoline_kernelINS0_14default_configENS1_32segmented_reduce_config_selectorIdEEZNS1_21segmented_reduce_implIS3_PKdPdPKidN6hipcub16HIPCUB_304000_NS6detail27convert_result_type_wrapperIS8_S9_N2at6native12_GLOBAL__N_19CustomMaxEEEEE10hipError_tPvRmT0_T1_jT2_SQ_T4_T3_P12ihipStream_tbEUlT_E_NS1_11comp_targetILNS1_3genE8ELNS1_11target_archE1030ELNS1_3gpuE2ELNS1_3repE0EEENS1_30default_config_static_selectorELNS0_4arch9wavefront6targetE0EEEvSP_.kd
    .uniform_work_group_size: 1
    .uses_dynamic_stack: false
    .vgpr_count:     0
    .vgpr_spill_count: 0
    .wavefront_size: 32
  - .args:
      - .offset:         0
        .size:           56
        .value_kind:     by_value
    .group_segment_fixed_size: 64
    .kernarg_segment_align: 8
    .kernarg_segment_size: 56
    .language:       OpenCL C
    .language_version:
      - 2
      - 0
    .max_flat_workgroup_size: 256
    .name:           _ZN7rocprim17ROCPRIM_400000_NS6detail17trampoline_kernelINS0_14default_configENS1_32segmented_reduce_config_selectorIdEEZNS1_21segmented_reduce_implIS3_PKdPdPKidN6hipcub16HIPCUB_304000_NS6detail27convert_result_type_wrapperIS8_S9_N2at6native12_GLOBAL__N_19CustomSumEEEEE10hipError_tPvRmT0_T1_jT2_SQ_T4_T3_P12ihipStream_tbEUlT_E_NS1_11comp_targetILNS1_3genE0ELNS1_11target_archE4294967295ELNS1_3gpuE0ELNS1_3repE0EEENS1_30default_config_static_selectorELNS0_4arch9wavefront6targetE0EEEvSP_
    .private_segment_fixed_size: 0
    .sgpr_count:     25
    .sgpr_spill_count: 0
    .symbol:         _ZN7rocprim17ROCPRIM_400000_NS6detail17trampoline_kernelINS0_14default_configENS1_32segmented_reduce_config_selectorIdEEZNS1_21segmented_reduce_implIS3_PKdPdPKidN6hipcub16HIPCUB_304000_NS6detail27convert_result_type_wrapperIS8_S9_N2at6native12_GLOBAL__N_19CustomSumEEEEE10hipError_tPvRmT0_T1_jT2_SQ_T4_T3_P12ihipStream_tbEUlT_E_NS1_11comp_targetILNS1_3genE0ELNS1_11target_archE4294967295ELNS1_3gpuE0ELNS1_3repE0EEENS1_30default_config_static_selectorELNS0_4arch9wavefront6targetE0EEEvSP_.kd
    .uniform_work_group_size: 1
    .uses_dynamic_stack: false
    .vgpr_count:     24
    .vgpr_spill_count: 0
    .wavefront_size: 32
  - .args:
      - .offset:         0
        .size:           56
        .value_kind:     by_value
    .group_segment_fixed_size: 0
    .kernarg_segment_align: 8
    .kernarg_segment_size: 56
    .language:       OpenCL C
    .language_version:
      - 2
      - 0
    .max_flat_workgroup_size: 256
    .name:           _ZN7rocprim17ROCPRIM_400000_NS6detail17trampoline_kernelINS0_14default_configENS1_32segmented_reduce_config_selectorIdEEZNS1_21segmented_reduce_implIS3_PKdPdPKidN6hipcub16HIPCUB_304000_NS6detail27convert_result_type_wrapperIS8_S9_N2at6native12_GLOBAL__N_19CustomSumEEEEE10hipError_tPvRmT0_T1_jT2_SQ_T4_T3_P12ihipStream_tbEUlT_E_NS1_11comp_targetILNS1_3genE5ELNS1_11target_archE942ELNS1_3gpuE9ELNS1_3repE0EEENS1_30default_config_static_selectorELNS0_4arch9wavefront6targetE0EEEvSP_
    .private_segment_fixed_size: 0
    .sgpr_count:     0
    .sgpr_spill_count: 0
    .symbol:         _ZN7rocprim17ROCPRIM_400000_NS6detail17trampoline_kernelINS0_14default_configENS1_32segmented_reduce_config_selectorIdEEZNS1_21segmented_reduce_implIS3_PKdPdPKidN6hipcub16HIPCUB_304000_NS6detail27convert_result_type_wrapperIS8_S9_N2at6native12_GLOBAL__N_19CustomSumEEEEE10hipError_tPvRmT0_T1_jT2_SQ_T4_T3_P12ihipStream_tbEUlT_E_NS1_11comp_targetILNS1_3genE5ELNS1_11target_archE942ELNS1_3gpuE9ELNS1_3repE0EEENS1_30default_config_static_selectorELNS0_4arch9wavefront6targetE0EEEvSP_.kd
    .uniform_work_group_size: 1
    .uses_dynamic_stack: false
    .vgpr_count:     0
    .vgpr_spill_count: 0
    .wavefront_size: 32
  - .args:
      - .offset:         0
        .size:           56
        .value_kind:     by_value
    .group_segment_fixed_size: 0
    .kernarg_segment_align: 8
    .kernarg_segment_size: 56
    .language:       OpenCL C
    .language_version:
      - 2
      - 0
    .max_flat_workgroup_size: 256
    .name:           _ZN7rocprim17ROCPRIM_400000_NS6detail17trampoline_kernelINS0_14default_configENS1_32segmented_reduce_config_selectorIdEEZNS1_21segmented_reduce_implIS3_PKdPdPKidN6hipcub16HIPCUB_304000_NS6detail27convert_result_type_wrapperIS8_S9_N2at6native12_GLOBAL__N_19CustomSumEEEEE10hipError_tPvRmT0_T1_jT2_SQ_T4_T3_P12ihipStream_tbEUlT_E_NS1_11comp_targetILNS1_3genE10ELNS1_11target_archE1201ELNS1_3gpuE5ELNS1_3repE0EEENS1_30default_config_static_selectorELNS0_4arch9wavefront6targetE0EEEvSP_
    .private_segment_fixed_size: 0
    .sgpr_count:     0
    .sgpr_spill_count: 0
    .symbol:         _ZN7rocprim17ROCPRIM_400000_NS6detail17trampoline_kernelINS0_14default_configENS1_32segmented_reduce_config_selectorIdEEZNS1_21segmented_reduce_implIS3_PKdPdPKidN6hipcub16HIPCUB_304000_NS6detail27convert_result_type_wrapperIS8_S9_N2at6native12_GLOBAL__N_19CustomSumEEEEE10hipError_tPvRmT0_T1_jT2_SQ_T4_T3_P12ihipStream_tbEUlT_E_NS1_11comp_targetILNS1_3genE10ELNS1_11target_archE1201ELNS1_3gpuE5ELNS1_3repE0EEENS1_30default_config_static_selectorELNS0_4arch9wavefront6targetE0EEEvSP_.kd
    .uniform_work_group_size: 1
    .uses_dynamic_stack: false
    .vgpr_count:     0
    .vgpr_spill_count: 0
    .wavefront_size: 32
  - .args:
      - .offset:         0
        .size:           56
        .value_kind:     by_value
    .group_segment_fixed_size: 0
    .kernarg_segment_align: 8
    .kernarg_segment_size: 56
    .language:       OpenCL C
    .language_version:
      - 2
      - 0
    .max_flat_workgroup_size: 256
    .name:           _ZN7rocprim17ROCPRIM_400000_NS6detail17trampoline_kernelINS0_14default_configENS1_32segmented_reduce_config_selectorIdEEZNS1_21segmented_reduce_implIS3_PKdPdPKidN6hipcub16HIPCUB_304000_NS6detail27convert_result_type_wrapperIS8_S9_N2at6native12_GLOBAL__N_19CustomSumEEEEE10hipError_tPvRmT0_T1_jT2_SQ_T4_T3_P12ihipStream_tbEUlT_E_NS1_11comp_targetILNS1_3genE4ELNS1_11target_archE910ELNS1_3gpuE8ELNS1_3repE0EEENS1_30default_config_static_selectorELNS0_4arch9wavefront6targetE0EEEvSP_
    .private_segment_fixed_size: 0
    .sgpr_count:     0
    .sgpr_spill_count: 0
    .symbol:         _ZN7rocprim17ROCPRIM_400000_NS6detail17trampoline_kernelINS0_14default_configENS1_32segmented_reduce_config_selectorIdEEZNS1_21segmented_reduce_implIS3_PKdPdPKidN6hipcub16HIPCUB_304000_NS6detail27convert_result_type_wrapperIS8_S9_N2at6native12_GLOBAL__N_19CustomSumEEEEE10hipError_tPvRmT0_T1_jT2_SQ_T4_T3_P12ihipStream_tbEUlT_E_NS1_11comp_targetILNS1_3genE4ELNS1_11target_archE910ELNS1_3gpuE8ELNS1_3repE0EEENS1_30default_config_static_selectorELNS0_4arch9wavefront6targetE0EEEvSP_.kd
    .uniform_work_group_size: 1
    .uses_dynamic_stack: false
    .vgpr_count:     0
    .vgpr_spill_count: 0
    .wavefront_size: 32
  - .args:
      - .offset:         0
        .size:           56
        .value_kind:     by_value
    .group_segment_fixed_size: 0
    .kernarg_segment_align: 8
    .kernarg_segment_size: 56
    .language:       OpenCL C
    .language_version:
      - 2
      - 0
    .max_flat_workgroup_size: 256
    .name:           _ZN7rocprim17ROCPRIM_400000_NS6detail17trampoline_kernelINS0_14default_configENS1_32segmented_reduce_config_selectorIdEEZNS1_21segmented_reduce_implIS3_PKdPdPKidN6hipcub16HIPCUB_304000_NS6detail27convert_result_type_wrapperIS8_S9_N2at6native12_GLOBAL__N_19CustomSumEEEEE10hipError_tPvRmT0_T1_jT2_SQ_T4_T3_P12ihipStream_tbEUlT_E_NS1_11comp_targetILNS1_3genE3ELNS1_11target_archE908ELNS1_3gpuE7ELNS1_3repE0EEENS1_30default_config_static_selectorELNS0_4arch9wavefront6targetE0EEEvSP_
    .private_segment_fixed_size: 0
    .sgpr_count:     0
    .sgpr_spill_count: 0
    .symbol:         _ZN7rocprim17ROCPRIM_400000_NS6detail17trampoline_kernelINS0_14default_configENS1_32segmented_reduce_config_selectorIdEEZNS1_21segmented_reduce_implIS3_PKdPdPKidN6hipcub16HIPCUB_304000_NS6detail27convert_result_type_wrapperIS8_S9_N2at6native12_GLOBAL__N_19CustomSumEEEEE10hipError_tPvRmT0_T1_jT2_SQ_T4_T3_P12ihipStream_tbEUlT_E_NS1_11comp_targetILNS1_3genE3ELNS1_11target_archE908ELNS1_3gpuE7ELNS1_3repE0EEENS1_30default_config_static_selectorELNS0_4arch9wavefront6targetE0EEEvSP_.kd
    .uniform_work_group_size: 1
    .uses_dynamic_stack: false
    .vgpr_count:     0
    .vgpr_spill_count: 0
    .wavefront_size: 32
  - .args:
      - .offset:         0
        .size:           56
        .value_kind:     by_value
    .group_segment_fixed_size: 0
    .kernarg_segment_align: 8
    .kernarg_segment_size: 56
    .language:       OpenCL C
    .language_version:
      - 2
      - 0
    .max_flat_workgroup_size: 256
    .name:           _ZN7rocprim17ROCPRIM_400000_NS6detail17trampoline_kernelINS0_14default_configENS1_32segmented_reduce_config_selectorIdEEZNS1_21segmented_reduce_implIS3_PKdPdPKidN6hipcub16HIPCUB_304000_NS6detail27convert_result_type_wrapperIS8_S9_N2at6native12_GLOBAL__N_19CustomSumEEEEE10hipError_tPvRmT0_T1_jT2_SQ_T4_T3_P12ihipStream_tbEUlT_E_NS1_11comp_targetILNS1_3genE2ELNS1_11target_archE906ELNS1_3gpuE6ELNS1_3repE0EEENS1_30default_config_static_selectorELNS0_4arch9wavefront6targetE0EEEvSP_
    .private_segment_fixed_size: 0
    .sgpr_count:     0
    .sgpr_spill_count: 0
    .symbol:         _ZN7rocprim17ROCPRIM_400000_NS6detail17trampoline_kernelINS0_14default_configENS1_32segmented_reduce_config_selectorIdEEZNS1_21segmented_reduce_implIS3_PKdPdPKidN6hipcub16HIPCUB_304000_NS6detail27convert_result_type_wrapperIS8_S9_N2at6native12_GLOBAL__N_19CustomSumEEEEE10hipError_tPvRmT0_T1_jT2_SQ_T4_T3_P12ihipStream_tbEUlT_E_NS1_11comp_targetILNS1_3genE2ELNS1_11target_archE906ELNS1_3gpuE6ELNS1_3repE0EEENS1_30default_config_static_selectorELNS0_4arch9wavefront6targetE0EEEvSP_.kd
    .uniform_work_group_size: 1
    .uses_dynamic_stack: false
    .vgpr_count:     0
    .vgpr_spill_count: 0
    .wavefront_size: 32
  - .args:
      - .offset:         0
        .size:           56
        .value_kind:     by_value
    .group_segment_fixed_size: 0
    .kernarg_segment_align: 8
    .kernarg_segment_size: 56
    .language:       OpenCL C
    .language_version:
      - 2
      - 0
    .max_flat_workgroup_size: 256
    .name:           _ZN7rocprim17ROCPRIM_400000_NS6detail17trampoline_kernelINS0_14default_configENS1_32segmented_reduce_config_selectorIdEEZNS1_21segmented_reduce_implIS3_PKdPdPKidN6hipcub16HIPCUB_304000_NS6detail27convert_result_type_wrapperIS8_S9_N2at6native12_GLOBAL__N_19CustomSumEEEEE10hipError_tPvRmT0_T1_jT2_SQ_T4_T3_P12ihipStream_tbEUlT_E_NS1_11comp_targetILNS1_3genE9ELNS1_11target_archE1100ELNS1_3gpuE3ELNS1_3repE0EEENS1_30default_config_static_selectorELNS0_4arch9wavefront6targetE0EEEvSP_
    .private_segment_fixed_size: 0
    .sgpr_count:     0
    .sgpr_spill_count: 0
    .symbol:         _ZN7rocprim17ROCPRIM_400000_NS6detail17trampoline_kernelINS0_14default_configENS1_32segmented_reduce_config_selectorIdEEZNS1_21segmented_reduce_implIS3_PKdPdPKidN6hipcub16HIPCUB_304000_NS6detail27convert_result_type_wrapperIS8_S9_N2at6native12_GLOBAL__N_19CustomSumEEEEE10hipError_tPvRmT0_T1_jT2_SQ_T4_T3_P12ihipStream_tbEUlT_E_NS1_11comp_targetILNS1_3genE9ELNS1_11target_archE1100ELNS1_3gpuE3ELNS1_3repE0EEENS1_30default_config_static_selectorELNS0_4arch9wavefront6targetE0EEEvSP_.kd
    .uniform_work_group_size: 1
    .uses_dynamic_stack: false
    .vgpr_count:     0
    .vgpr_spill_count: 0
    .wavefront_size: 32
  - .args:
      - .offset:         0
        .size:           56
        .value_kind:     by_value
    .group_segment_fixed_size: 0
    .kernarg_segment_align: 8
    .kernarg_segment_size: 56
    .language:       OpenCL C
    .language_version:
      - 2
      - 0
    .max_flat_workgroup_size: 256
    .name:           _ZN7rocprim17ROCPRIM_400000_NS6detail17trampoline_kernelINS0_14default_configENS1_32segmented_reduce_config_selectorIdEEZNS1_21segmented_reduce_implIS3_PKdPdPKidN6hipcub16HIPCUB_304000_NS6detail27convert_result_type_wrapperIS8_S9_N2at6native12_GLOBAL__N_19CustomSumEEEEE10hipError_tPvRmT0_T1_jT2_SQ_T4_T3_P12ihipStream_tbEUlT_E_NS1_11comp_targetILNS1_3genE8ELNS1_11target_archE1030ELNS1_3gpuE2ELNS1_3repE0EEENS1_30default_config_static_selectorELNS0_4arch9wavefront6targetE0EEEvSP_
    .private_segment_fixed_size: 0
    .sgpr_count:     0
    .sgpr_spill_count: 0
    .symbol:         _ZN7rocprim17ROCPRIM_400000_NS6detail17trampoline_kernelINS0_14default_configENS1_32segmented_reduce_config_selectorIdEEZNS1_21segmented_reduce_implIS3_PKdPdPKidN6hipcub16HIPCUB_304000_NS6detail27convert_result_type_wrapperIS8_S9_N2at6native12_GLOBAL__N_19CustomSumEEEEE10hipError_tPvRmT0_T1_jT2_SQ_T4_T3_P12ihipStream_tbEUlT_E_NS1_11comp_targetILNS1_3genE8ELNS1_11target_archE1030ELNS1_3gpuE2ELNS1_3repE0EEENS1_30default_config_static_selectorELNS0_4arch9wavefront6targetE0EEEvSP_.kd
    .uniform_work_group_size: 1
    .uses_dynamic_stack: false
    .vgpr_count:     0
    .vgpr_spill_count: 0
    .wavefront_size: 32
  - .args:
      - .address_space:  global
        .offset:         0
        .size:           8
        .value_kind:     global_buffer
      - .address_space:  global
        .offset:         8
        .size:           8
        .value_kind:     global_buffer
      - .offset:         16
        .size:           8
        .value_kind:     by_value
      - .offset:         24
        .size:           1
        .value_kind:     by_value
      - .offset:         32
        .size:           8
        .value_kind:     by_value
      - .offset:         40
        .size:           4
        .value_kind:     hidden_block_count_x
      - .offset:         44
        .size:           4
        .value_kind:     hidden_block_count_y
      - .offset:         48
        .size:           4
        .value_kind:     hidden_block_count_z
      - .offset:         52
        .size:           2
        .value_kind:     hidden_group_size_x
      - .offset:         54
        .size:           2
        .value_kind:     hidden_group_size_y
      - .offset:         56
        .size:           2
        .value_kind:     hidden_group_size_z
      - .offset:         58
        .size:           2
        .value_kind:     hidden_remainder_x
      - .offset:         60
        .size:           2
        .value_kind:     hidden_remainder_y
      - .offset:         62
        .size:           2
        .value_kind:     hidden_remainder_z
      - .offset:         80
        .size:           8
        .value_kind:     hidden_global_offset_x
      - .offset:         88
        .size:           8
        .value_kind:     hidden_global_offset_y
      - .offset:         96
        .size:           8
        .value_kind:     hidden_global_offset_z
      - .offset:         104
        .size:           2
        .value_kind:     hidden_grid_dims
    .group_segment_fixed_size: 0
    .kernarg_segment_align: 8
    .kernarg_segment_size: 296
    .language:       OpenCL C
    .language_version:
      - 2
      - 0
    .max_flat_workgroup_size: 1024
    .name:           _ZN2at6native12_GLOBAL__N_119post_sum_div_kernelIdiEEvPT_PKT0_lbS3_
    .private_segment_fixed_size: 0
    .sgpr_count:     22
    .sgpr_spill_count: 0
    .symbol:         _ZN2at6native12_GLOBAL__N_119post_sum_div_kernelIdiEEvPT_PKT0_lbS3_.kd
    .uniform_work_group_size: 1
    .uses_dynamic_stack: false
    .vgpr_count:     18
    .vgpr_spill_count: 0
    .wavefront_size: 32
  - .args:
      - .offset:         0
        .size:           56
        .value_kind:     by_value
    .group_segment_fixed_size: 64
    .kernarg_segment_align: 8
    .kernarg_segment_size: 56
    .language:       OpenCL C
    .language_version:
      - 2
      - 0
    .max_flat_workgroup_size: 256
    .name:           _ZN7rocprim17ROCPRIM_400000_NS6detail17trampoline_kernelINS0_14default_configENS1_32segmented_reduce_config_selectorIdEEZNS1_21segmented_reduce_implIS3_PKdPdPKidN6hipcub16HIPCUB_304000_NS6detail27convert_result_type_wrapperIS8_S9_N2at6native12_GLOBAL__N_19CustomMinEEEEE10hipError_tPvRmT0_T1_jT2_SQ_T4_T3_P12ihipStream_tbEUlT_E_NS1_11comp_targetILNS1_3genE0ELNS1_11target_archE4294967295ELNS1_3gpuE0ELNS1_3repE0EEENS1_30default_config_static_selectorELNS0_4arch9wavefront6targetE0EEEvSP_
    .private_segment_fixed_size: 0
    .sgpr_count:     20
    .sgpr_spill_count: 0
    .symbol:         _ZN7rocprim17ROCPRIM_400000_NS6detail17trampoline_kernelINS0_14default_configENS1_32segmented_reduce_config_selectorIdEEZNS1_21segmented_reduce_implIS3_PKdPdPKidN6hipcub16HIPCUB_304000_NS6detail27convert_result_type_wrapperIS8_S9_N2at6native12_GLOBAL__N_19CustomMinEEEEE10hipError_tPvRmT0_T1_jT2_SQ_T4_T3_P12ihipStream_tbEUlT_E_NS1_11comp_targetILNS1_3genE0ELNS1_11target_archE4294967295ELNS1_3gpuE0ELNS1_3repE0EEENS1_30default_config_static_selectorELNS0_4arch9wavefront6targetE0EEEvSP_.kd
    .uniform_work_group_size: 1
    .uses_dynamic_stack: false
    .vgpr_count:     26
    .vgpr_spill_count: 0
    .wavefront_size: 32
  - .args:
      - .offset:         0
        .size:           56
        .value_kind:     by_value
    .group_segment_fixed_size: 0
    .kernarg_segment_align: 8
    .kernarg_segment_size: 56
    .language:       OpenCL C
    .language_version:
      - 2
      - 0
    .max_flat_workgroup_size: 256
    .name:           _ZN7rocprim17ROCPRIM_400000_NS6detail17trampoline_kernelINS0_14default_configENS1_32segmented_reduce_config_selectorIdEEZNS1_21segmented_reduce_implIS3_PKdPdPKidN6hipcub16HIPCUB_304000_NS6detail27convert_result_type_wrapperIS8_S9_N2at6native12_GLOBAL__N_19CustomMinEEEEE10hipError_tPvRmT0_T1_jT2_SQ_T4_T3_P12ihipStream_tbEUlT_E_NS1_11comp_targetILNS1_3genE5ELNS1_11target_archE942ELNS1_3gpuE9ELNS1_3repE0EEENS1_30default_config_static_selectorELNS0_4arch9wavefront6targetE0EEEvSP_
    .private_segment_fixed_size: 0
    .sgpr_count:     0
    .sgpr_spill_count: 0
    .symbol:         _ZN7rocprim17ROCPRIM_400000_NS6detail17trampoline_kernelINS0_14default_configENS1_32segmented_reduce_config_selectorIdEEZNS1_21segmented_reduce_implIS3_PKdPdPKidN6hipcub16HIPCUB_304000_NS6detail27convert_result_type_wrapperIS8_S9_N2at6native12_GLOBAL__N_19CustomMinEEEEE10hipError_tPvRmT0_T1_jT2_SQ_T4_T3_P12ihipStream_tbEUlT_E_NS1_11comp_targetILNS1_3genE5ELNS1_11target_archE942ELNS1_3gpuE9ELNS1_3repE0EEENS1_30default_config_static_selectorELNS0_4arch9wavefront6targetE0EEEvSP_.kd
    .uniform_work_group_size: 1
    .uses_dynamic_stack: false
    .vgpr_count:     0
    .vgpr_spill_count: 0
    .wavefront_size: 32
  - .args:
      - .offset:         0
        .size:           56
        .value_kind:     by_value
    .group_segment_fixed_size: 0
    .kernarg_segment_align: 8
    .kernarg_segment_size: 56
    .language:       OpenCL C
    .language_version:
      - 2
      - 0
    .max_flat_workgroup_size: 256
    .name:           _ZN7rocprim17ROCPRIM_400000_NS6detail17trampoline_kernelINS0_14default_configENS1_32segmented_reduce_config_selectorIdEEZNS1_21segmented_reduce_implIS3_PKdPdPKidN6hipcub16HIPCUB_304000_NS6detail27convert_result_type_wrapperIS8_S9_N2at6native12_GLOBAL__N_19CustomMinEEEEE10hipError_tPvRmT0_T1_jT2_SQ_T4_T3_P12ihipStream_tbEUlT_E_NS1_11comp_targetILNS1_3genE10ELNS1_11target_archE1201ELNS1_3gpuE5ELNS1_3repE0EEENS1_30default_config_static_selectorELNS0_4arch9wavefront6targetE0EEEvSP_
    .private_segment_fixed_size: 0
    .sgpr_count:     0
    .sgpr_spill_count: 0
    .symbol:         _ZN7rocprim17ROCPRIM_400000_NS6detail17trampoline_kernelINS0_14default_configENS1_32segmented_reduce_config_selectorIdEEZNS1_21segmented_reduce_implIS3_PKdPdPKidN6hipcub16HIPCUB_304000_NS6detail27convert_result_type_wrapperIS8_S9_N2at6native12_GLOBAL__N_19CustomMinEEEEE10hipError_tPvRmT0_T1_jT2_SQ_T4_T3_P12ihipStream_tbEUlT_E_NS1_11comp_targetILNS1_3genE10ELNS1_11target_archE1201ELNS1_3gpuE5ELNS1_3repE0EEENS1_30default_config_static_selectorELNS0_4arch9wavefront6targetE0EEEvSP_.kd
    .uniform_work_group_size: 1
    .uses_dynamic_stack: false
    .vgpr_count:     0
    .vgpr_spill_count: 0
    .wavefront_size: 32
  - .args:
      - .offset:         0
        .size:           56
        .value_kind:     by_value
    .group_segment_fixed_size: 0
    .kernarg_segment_align: 8
    .kernarg_segment_size: 56
    .language:       OpenCL C
    .language_version:
      - 2
      - 0
    .max_flat_workgroup_size: 256
    .name:           _ZN7rocprim17ROCPRIM_400000_NS6detail17trampoline_kernelINS0_14default_configENS1_32segmented_reduce_config_selectorIdEEZNS1_21segmented_reduce_implIS3_PKdPdPKidN6hipcub16HIPCUB_304000_NS6detail27convert_result_type_wrapperIS8_S9_N2at6native12_GLOBAL__N_19CustomMinEEEEE10hipError_tPvRmT0_T1_jT2_SQ_T4_T3_P12ihipStream_tbEUlT_E_NS1_11comp_targetILNS1_3genE4ELNS1_11target_archE910ELNS1_3gpuE8ELNS1_3repE0EEENS1_30default_config_static_selectorELNS0_4arch9wavefront6targetE0EEEvSP_
    .private_segment_fixed_size: 0
    .sgpr_count:     0
    .sgpr_spill_count: 0
    .symbol:         _ZN7rocprim17ROCPRIM_400000_NS6detail17trampoline_kernelINS0_14default_configENS1_32segmented_reduce_config_selectorIdEEZNS1_21segmented_reduce_implIS3_PKdPdPKidN6hipcub16HIPCUB_304000_NS6detail27convert_result_type_wrapperIS8_S9_N2at6native12_GLOBAL__N_19CustomMinEEEEE10hipError_tPvRmT0_T1_jT2_SQ_T4_T3_P12ihipStream_tbEUlT_E_NS1_11comp_targetILNS1_3genE4ELNS1_11target_archE910ELNS1_3gpuE8ELNS1_3repE0EEENS1_30default_config_static_selectorELNS0_4arch9wavefront6targetE0EEEvSP_.kd
    .uniform_work_group_size: 1
    .uses_dynamic_stack: false
    .vgpr_count:     0
    .vgpr_spill_count: 0
    .wavefront_size: 32
  - .args:
      - .offset:         0
        .size:           56
        .value_kind:     by_value
    .group_segment_fixed_size: 0
    .kernarg_segment_align: 8
    .kernarg_segment_size: 56
    .language:       OpenCL C
    .language_version:
      - 2
      - 0
    .max_flat_workgroup_size: 256
    .name:           _ZN7rocprim17ROCPRIM_400000_NS6detail17trampoline_kernelINS0_14default_configENS1_32segmented_reduce_config_selectorIdEEZNS1_21segmented_reduce_implIS3_PKdPdPKidN6hipcub16HIPCUB_304000_NS6detail27convert_result_type_wrapperIS8_S9_N2at6native12_GLOBAL__N_19CustomMinEEEEE10hipError_tPvRmT0_T1_jT2_SQ_T4_T3_P12ihipStream_tbEUlT_E_NS1_11comp_targetILNS1_3genE3ELNS1_11target_archE908ELNS1_3gpuE7ELNS1_3repE0EEENS1_30default_config_static_selectorELNS0_4arch9wavefront6targetE0EEEvSP_
    .private_segment_fixed_size: 0
    .sgpr_count:     0
    .sgpr_spill_count: 0
    .symbol:         _ZN7rocprim17ROCPRIM_400000_NS6detail17trampoline_kernelINS0_14default_configENS1_32segmented_reduce_config_selectorIdEEZNS1_21segmented_reduce_implIS3_PKdPdPKidN6hipcub16HIPCUB_304000_NS6detail27convert_result_type_wrapperIS8_S9_N2at6native12_GLOBAL__N_19CustomMinEEEEE10hipError_tPvRmT0_T1_jT2_SQ_T4_T3_P12ihipStream_tbEUlT_E_NS1_11comp_targetILNS1_3genE3ELNS1_11target_archE908ELNS1_3gpuE7ELNS1_3repE0EEENS1_30default_config_static_selectorELNS0_4arch9wavefront6targetE0EEEvSP_.kd
    .uniform_work_group_size: 1
    .uses_dynamic_stack: false
    .vgpr_count:     0
    .vgpr_spill_count: 0
    .wavefront_size: 32
  - .args:
      - .offset:         0
        .size:           56
        .value_kind:     by_value
    .group_segment_fixed_size: 0
    .kernarg_segment_align: 8
    .kernarg_segment_size: 56
    .language:       OpenCL C
    .language_version:
      - 2
      - 0
    .max_flat_workgroup_size: 256
    .name:           _ZN7rocprim17ROCPRIM_400000_NS6detail17trampoline_kernelINS0_14default_configENS1_32segmented_reduce_config_selectorIdEEZNS1_21segmented_reduce_implIS3_PKdPdPKidN6hipcub16HIPCUB_304000_NS6detail27convert_result_type_wrapperIS8_S9_N2at6native12_GLOBAL__N_19CustomMinEEEEE10hipError_tPvRmT0_T1_jT2_SQ_T4_T3_P12ihipStream_tbEUlT_E_NS1_11comp_targetILNS1_3genE2ELNS1_11target_archE906ELNS1_3gpuE6ELNS1_3repE0EEENS1_30default_config_static_selectorELNS0_4arch9wavefront6targetE0EEEvSP_
    .private_segment_fixed_size: 0
    .sgpr_count:     0
    .sgpr_spill_count: 0
    .symbol:         _ZN7rocprim17ROCPRIM_400000_NS6detail17trampoline_kernelINS0_14default_configENS1_32segmented_reduce_config_selectorIdEEZNS1_21segmented_reduce_implIS3_PKdPdPKidN6hipcub16HIPCUB_304000_NS6detail27convert_result_type_wrapperIS8_S9_N2at6native12_GLOBAL__N_19CustomMinEEEEE10hipError_tPvRmT0_T1_jT2_SQ_T4_T3_P12ihipStream_tbEUlT_E_NS1_11comp_targetILNS1_3genE2ELNS1_11target_archE906ELNS1_3gpuE6ELNS1_3repE0EEENS1_30default_config_static_selectorELNS0_4arch9wavefront6targetE0EEEvSP_.kd
    .uniform_work_group_size: 1
    .uses_dynamic_stack: false
    .vgpr_count:     0
    .vgpr_spill_count: 0
    .wavefront_size: 32
  - .args:
      - .offset:         0
        .size:           56
        .value_kind:     by_value
    .group_segment_fixed_size: 0
    .kernarg_segment_align: 8
    .kernarg_segment_size: 56
    .language:       OpenCL C
    .language_version:
      - 2
      - 0
    .max_flat_workgroup_size: 256
    .name:           _ZN7rocprim17ROCPRIM_400000_NS6detail17trampoline_kernelINS0_14default_configENS1_32segmented_reduce_config_selectorIdEEZNS1_21segmented_reduce_implIS3_PKdPdPKidN6hipcub16HIPCUB_304000_NS6detail27convert_result_type_wrapperIS8_S9_N2at6native12_GLOBAL__N_19CustomMinEEEEE10hipError_tPvRmT0_T1_jT2_SQ_T4_T3_P12ihipStream_tbEUlT_E_NS1_11comp_targetILNS1_3genE9ELNS1_11target_archE1100ELNS1_3gpuE3ELNS1_3repE0EEENS1_30default_config_static_selectorELNS0_4arch9wavefront6targetE0EEEvSP_
    .private_segment_fixed_size: 0
    .sgpr_count:     0
    .sgpr_spill_count: 0
    .symbol:         _ZN7rocprim17ROCPRIM_400000_NS6detail17trampoline_kernelINS0_14default_configENS1_32segmented_reduce_config_selectorIdEEZNS1_21segmented_reduce_implIS3_PKdPdPKidN6hipcub16HIPCUB_304000_NS6detail27convert_result_type_wrapperIS8_S9_N2at6native12_GLOBAL__N_19CustomMinEEEEE10hipError_tPvRmT0_T1_jT2_SQ_T4_T3_P12ihipStream_tbEUlT_E_NS1_11comp_targetILNS1_3genE9ELNS1_11target_archE1100ELNS1_3gpuE3ELNS1_3repE0EEENS1_30default_config_static_selectorELNS0_4arch9wavefront6targetE0EEEvSP_.kd
    .uniform_work_group_size: 1
    .uses_dynamic_stack: false
    .vgpr_count:     0
    .vgpr_spill_count: 0
    .wavefront_size: 32
  - .args:
      - .offset:         0
        .size:           56
        .value_kind:     by_value
    .group_segment_fixed_size: 0
    .kernarg_segment_align: 8
    .kernarg_segment_size: 56
    .language:       OpenCL C
    .language_version:
      - 2
      - 0
    .max_flat_workgroup_size: 256
    .name:           _ZN7rocprim17ROCPRIM_400000_NS6detail17trampoline_kernelINS0_14default_configENS1_32segmented_reduce_config_selectorIdEEZNS1_21segmented_reduce_implIS3_PKdPdPKidN6hipcub16HIPCUB_304000_NS6detail27convert_result_type_wrapperIS8_S9_N2at6native12_GLOBAL__N_19CustomMinEEEEE10hipError_tPvRmT0_T1_jT2_SQ_T4_T3_P12ihipStream_tbEUlT_E_NS1_11comp_targetILNS1_3genE8ELNS1_11target_archE1030ELNS1_3gpuE2ELNS1_3repE0EEENS1_30default_config_static_selectorELNS0_4arch9wavefront6targetE0EEEvSP_
    .private_segment_fixed_size: 0
    .sgpr_count:     0
    .sgpr_spill_count: 0
    .symbol:         _ZN7rocprim17ROCPRIM_400000_NS6detail17trampoline_kernelINS0_14default_configENS1_32segmented_reduce_config_selectorIdEEZNS1_21segmented_reduce_implIS3_PKdPdPKidN6hipcub16HIPCUB_304000_NS6detail27convert_result_type_wrapperIS8_S9_N2at6native12_GLOBAL__N_19CustomMinEEEEE10hipError_tPvRmT0_T1_jT2_SQ_T4_T3_P12ihipStream_tbEUlT_E_NS1_11comp_targetILNS1_3genE8ELNS1_11target_archE1030ELNS1_3gpuE2ELNS1_3repE0EEENS1_30default_config_static_selectorELNS0_4arch9wavefront6targetE0EEEvSP_.kd
    .uniform_work_group_size: 1
    .uses_dynamic_stack: false
    .vgpr_count:     0
    .vgpr_spill_count: 0
    .wavefront_size: 32
  - .args:
      - .offset:         0
        .size:           56
        .value_kind:     by_value
    .group_segment_fixed_size: 64
    .kernarg_segment_align: 8
    .kernarg_segment_size: 56
    .language:       OpenCL C
    .language_version:
      - 2
      - 0
    .max_flat_workgroup_size: 256
    .name:           _ZN7rocprim17ROCPRIM_400000_NS6detail17trampoline_kernelINS0_14default_configENS1_32segmented_reduce_config_selectorIdEEZNS1_21segmented_reduce_implIS3_PKdPdPKidN6hipcub16HIPCUB_304000_NS6detail27convert_result_type_wrapperIS8_S9_N2at6native12_GLOBAL__N_110CustomProdEEEEE10hipError_tPvRmT0_T1_jT2_SQ_T4_T3_P12ihipStream_tbEUlT_E_NS1_11comp_targetILNS1_3genE0ELNS1_11target_archE4294967295ELNS1_3gpuE0ELNS1_3repE0EEENS1_30default_config_static_selectorELNS0_4arch9wavefront6targetE0EEEvSP_
    .private_segment_fixed_size: 0
    .sgpr_count:     25
    .sgpr_spill_count: 0
    .symbol:         _ZN7rocprim17ROCPRIM_400000_NS6detail17trampoline_kernelINS0_14default_configENS1_32segmented_reduce_config_selectorIdEEZNS1_21segmented_reduce_implIS3_PKdPdPKidN6hipcub16HIPCUB_304000_NS6detail27convert_result_type_wrapperIS8_S9_N2at6native12_GLOBAL__N_110CustomProdEEEEE10hipError_tPvRmT0_T1_jT2_SQ_T4_T3_P12ihipStream_tbEUlT_E_NS1_11comp_targetILNS1_3genE0ELNS1_11target_archE4294967295ELNS1_3gpuE0ELNS1_3repE0EEENS1_30default_config_static_selectorELNS0_4arch9wavefront6targetE0EEEvSP_.kd
    .uniform_work_group_size: 1
    .uses_dynamic_stack: false
    .vgpr_count:     24
    .vgpr_spill_count: 0
    .wavefront_size: 32
  - .args:
      - .offset:         0
        .size:           56
        .value_kind:     by_value
    .group_segment_fixed_size: 0
    .kernarg_segment_align: 8
    .kernarg_segment_size: 56
    .language:       OpenCL C
    .language_version:
      - 2
      - 0
    .max_flat_workgroup_size: 256
    .name:           _ZN7rocprim17ROCPRIM_400000_NS6detail17trampoline_kernelINS0_14default_configENS1_32segmented_reduce_config_selectorIdEEZNS1_21segmented_reduce_implIS3_PKdPdPKidN6hipcub16HIPCUB_304000_NS6detail27convert_result_type_wrapperIS8_S9_N2at6native12_GLOBAL__N_110CustomProdEEEEE10hipError_tPvRmT0_T1_jT2_SQ_T4_T3_P12ihipStream_tbEUlT_E_NS1_11comp_targetILNS1_3genE5ELNS1_11target_archE942ELNS1_3gpuE9ELNS1_3repE0EEENS1_30default_config_static_selectorELNS0_4arch9wavefront6targetE0EEEvSP_
    .private_segment_fixed_size: 0
    .sgpr_count:     0
    .sgpr_spill_count: 0
    .symbol:         _ZN7rocprim17ROCPRIM_400000_NS6detail17trampoline_kernelINS0_14default_configENS1_32segmented_reduce_config_selectorIdEEZNS1_21segmented_reduce_implIS3_PKdPdPKidN6hipcub16HIPCUB_304000_NS6detail27convert_result_type_wrapperIS8_S9_N2at6native12_GLOBAL__N_110CustomProdEEEEE10hipError_tPvRmT0_T1_jT2_SQ_T4_T3_P12ihipStream_tbEUlT_E_NS1_11comp_targetILNS1_3genE5ELNS1_11target_archE942ELNS1_3gpuE9ELNS1_3repE0EEENS1_30default_config_static_selectorELNS0_4arch9wavefront6targetE0EEEvSP_.kd
    .uniform_work_group_size: 1
    .uses_dynamic_stack: false
    .vgpr_count:     0
    .vgpr_spill_count: 0
    .wavefront_size: 32
  - .args:
      - .offset:         0
        .size:           56
        .value_kind:     by_value
    .group_segment_fixed_size: 0
    .kernarg_segment_align: 8
    .kernarg_segment_size: 56
    .language:       OpenCL C
    .language_version:
      - 2
      - 0
    .max_flat_workgroup_size: 256
    .name:           _ZN7rocprim17ROCPRIM_400000_NS6detail17trampoline_kernelINS0_14default_configENS1_32segmented_reduce_config_selectorIdEEZNS1_21segmented_reduce_implIS3_PKdPdPKidN6hipcub16HIPCUB_304000_NS6detail27convert_result_type_wrapperIS8_S9_N2at6native12_GLOBAL__N_110CustomProdEEEEE10hipError_tPvRmT0_T1_jT2_SQ_T4_T3_P12ihipStream_tbEUlT_E_NS1_11comp_targetILNS1_3genE10ELNS1_11target_archE1201ELNS1_3gpuE5ELNS1_3repE0EEENS1_30default_config_static_selectorELNS0_4arch9wavefront6targetE0EEEvSP_
    .private_segment_fixed_size: 0
    .sgpr_count:     0
    .sgpr_spill_count: 0
    .symbol:         _ZN7rocprim17ROCPRIM_400000_NS6detail17trampoline_kernelINS0_14default_configENS1_32segmented_reduce_config_selectorIdEEZNS1_21segmented_reduce_implIS3_PKdPdPKidN6hipcub16HIPCUB_304000_NS6detail27convert_result_type_wrapperIS8_S9_N2at6native12_GLOBAL__N_110CustomProdEEEEE10hipError_tPvRmT0_T1_jT2_SQ_T4_T3_P12ihipStream_tbEUlT_E_NS1_11comp_targetILNS1_3genE10ELNS1_11target_archE1201ELNS1_3gpuE5ELNS1_3repE0EEENS1_30default_config_static_selectorELNS0_4arch9wavefront6targetE0EEEvSP_.kd
    .uniform_work_group_size: 1
    .uses_dynamic_stack: false
    .vgpr_count:     0
    .vgpr_spill_count: 0
    .wavefront_size: 32
  - .args:
      - .offset:         0
        .size:           56
        .value_kind:     by_value
    .group_segment_fixed_size: 0
    .kernarg_segment_align: 8
    .kernarg_segment_size: 56
    .language:       OpenCL C
    .language_version:
      - 2
      - 0
    .max_flat_workgroup_size: 256
    .name:           _ZN7rocprim17ROCPRIM_400000_NS6detail17trampoline_kernelINS0_14default_configENS1_32segmented_reduce_config_selectorIdEEZNS1_21segmented_reduce_implIS3_PKdPdPKidN6hipcub16HIPCUB_304000_NS6detail27convert_result_type_wrapperIS8_S9_N2at6native12_GLOBAL__N_110CustomProdEEEEE10hipError_tPvRmT0_T1_jT2_SQ_T4_T3_P12ihipStream_tbEUlT_E_NS1_11comp_targetILNS1_3genE4ELNS1_11target_archE910ELNS1_3gpuE8ELNS1_3repE0EEENS1_30default_config_static_selectorELNS0_4arch9wavefront6targetE0EEEvSP_
    .private_segment_fixed_size: 0
    .sgpr_count:     0
    .sgpr_spill_count: 0
    .symbol:         _ZN7rocprim17ROCPRIM_400000_NS6detail17trampoline_kernelINS0_14default_configENS1_32segmented_reduce_config_selectorIdEEZNS1_21segmented_reduce_implIS3_PKdPdPKidN6hipcub16HIPCUB_304000_NS6detail27convert_result_type_wrapperIS8_S9_N2at6native12_GLOBAL__N_110CustomProdEEEEE10hipError_tPvRmT0_T1_jT2_SQ_T4_T3_P12ihipStream_tbEUlT_E_NS1_11comp_targetILNS1_3genE4ELNS1_11target_archE910ELNS1_3gpuE8ELNS1_3repE0EEENS1_30default_config_static_selectorELNS0_4arch9wavefront6targetE0EEEvSP_.kd
    .uniform_work_group_size: 1
    .uses_dynamic_stack: false
    .vgpr_count:     0
    .vgpr_spill_count: 0
    .wavefront_size: 32
  - .args:
      - .offset:         0
        .size:           56
        .value_kind:     by_value
    .group_segment_fixed_size: 0
    .kernarg_segment_align: 8
    .kernarg_segment_size: 56
    .language:       OpenCL C
    .language_version:
      - 2
      - 0
    .max_flat_workgroup_size: 256
    .name:           _ZN7rocprim17ROCPRIM_400000_NS6detail17trampoline_kernelINS0_14default_configENS1_32segmented_reduce_config_selectorIdEEZNS1_21segmented_reduce_implIS3_PKdPdPKidN6hipcub16HIPCUB_304000_NS6detail27convert_result_type_wrapperIS8_S9_N2at6native12_GLOBAL__N_110CustomProdEEEEE10hipError_tPvRmT0_T1_jT2_SQ_T4_T3_P12ihipStream_tbEUlT_E_NS1_11comp_targetILNS1_3genE3ELNS1_11target_archE908ELNS1_3gpuE7ELNS1_3repE0EEENS1_30default_config_static_selectorELNS0_4arch9wavefront6targetE0EEEvSP_
    .private_segment_fixed_size: 0
    .sgpr_count:     0
    .sgpr_spill_count: 0
    .symbol:         _ZN7rocprim17ROCPRIM_400000_NS6detail17trampoline_kernelINS0_14default_configENS1_32segmented_reduce_config_selectorIdEEZNS1_21segmented_reduce_implIS3_PKdPdPKidN6hipcub16HIPCUB_304000_NS6detail27convert_result_type_wrapperIS8_S9_N2at6native12_GLOBAL__N_110CustomProdEEEEE10hipError_tPvRmT0_T1_jT2_SQ_T4_T3_P12ihipStream_tbEUlT_E_NS1_11comp_targetILNS1_3genE3ELNS1_11target_archE908ELNS1_3gpuE7ELNS1_3repE0EEENS1_30default_config_static_selectorELNS0_4arch9wavefront6targetE0EEEvSP_.kd
    .uniform_work_group_size: 1
    .uses_dynamic_stack: false
    .vgpr_count:     0
    .vgpr_spill_count: 0
    .wavefront_size: 32
  - .args:
      - .offset:         0
        .size:           56
        .value_kind:     by_value
    .group_segment_fixed_size: 0
    .kernarg_segment_align: 8
    .kernarg_segment_size: 56
    .language:       OpenCL C
    .language_version:
      - 2
      - 0
    .max_flat_workgroup_size: 256
    .name:           _ZN7rocprim17ROCPRIM_400000_NS6detail17trampoline_kernelINS0_14default_configENS1_32segmented_reduce_config_selectorIdEEZNS1_21segmented_reduce_implIS3_PKdPdPKidN6hipcub16HIPCUB_304000_NS6detail27convert_result_type_wrapperIS8_S9_N2at6native12_GLOBAL__N_110CustomProdEEEEE10hipError_tPvRmT0_T1_jT2_SQ_T4_T3_P12ihipStream_tbEUlT_E_NS1_11comp_targetILNS1_3genE2ELNS1_11target_archE906ELNS1_3gpuE6ELNS1_3repE0EEENS1_30default_config_static_selectorELNS0_4arch9wavefront6targetE0EEEvSP_
    .private_segment_fixed_size: 0
    .sgpr_count:     0
    .sgpr_spill_count: 0
    .symbol:         _ZN7rocprim17ROCPRIM_400000_NS6detail17trampoline_kernelINS0_14default_configENS1_32segmented_reduce_config_selectorIdEEZNS1_21segmented_reduce_implIS3_PKdPdPKidN6hipcub16HIPCUB_304000_NS6detail27convert_result_type_wrapperIS8_S9_N2at6native12_GLOBAL__N_110CustomProdEEEEE10hipError_tPvRmT0_T1_jT2_SQ_T4_T3_P12ihipStream_tbEUlT_E_NS1_11comp_targetILNS1_3genE2ELNS1_11target_archE906ELNS1_3gpuE6ELNS1_3repE0EEENS1_30default_config_static_selectorELNS0_4arch9wavefront6targetE0EEEvSP_.kd
    .uniform_work_group_size: 1
    .uses_dynamic_stack: false
    .vgpr_count:     0
    .vgpr_spill_count: 0
    .wavefront_size: 32
  - .args:
      - .offset:         0
        .size:           56
        .value_kind:     by_value
    .group_segment_fixed_size: 0
    .kernarg_segment_align: 8
    .kernarg_segment_size: 56
    .language:       OpenCL C
    .language_version:
      - 2
      - 0
    .max_flat_workgroup_size: 256
    .name:           _ZN7rocprim17ROCPRIM_400000_NS6detail17trampoline_kernelINS0_14default_configENS1_32segmented_reduce_config_selectorIdEEZNS1_21segmented_reduce_implIS3_PKdPdPKidN6hipcub16HIPCUB_304000_NS6detail27convert_result_type_wrapperIS8_S9_N2at6native12_GLOBAL__N_110CustomProdEEEEE10hipError_tPvRmT0_T1_jT2_SQ_T4_T3_P12ihipStream_tbEUlT_E_NS1_11comp_targetILNS1_3genE9ELNS1_11target_archE1100ELNS1_3gpuE3ELNS1_3repE0EEENS1_30default_config_static_selectorELNS0_4arch9wavefront6targetE0EEEvSP_
    .private_segment_fixed_size: 0
    .sgpr_count:     0
    .sgpr_spill_count: 0
    .symbol:         _ZN7rocprim17ROCPRIM_400000_NS6detail17trampoline_kernelINS0_14default_configENS1_32segmented_reduce_config_selectorIdEEZNS1_21segmented_reduce_implIS3_PKdPdPKidN6hipcub16HIPCUB_304000_NS6detail27convert_result_type_wrapperIS8_S9_N2at6native12_GLOBAL__N_110CustomProdEEEEE10hipError_tPvRmT0_T1_jT2_SQ_T4_T3_P12ihipStream_tbEUlT_E_NS1_11comp_targetILNS1_3genE9ELNS1_11target_archE1100ELNS1_3gpuE3ELNS1_3repE0EEENS1_30default_config_static_selectorELNS0_4arch9wavefront6targetE0EEEvSP_.kd
    .uniform_work_group_size: 1
    .uses_dynamic_stack: false
    .vgpr_count:     0
    .vgpr_spill_count: 0
    .wavefront_size: 32
  - .args:
      - .offset:         0
        .size:           56
        .value_kind:     by_value
    .group_segment_fixed_size: 0
    .kernarg_segment_align: 8
    .kernarg_segment_size: 56
    .language:       OpenCL C
    .language_version:
      - 2
      - 0
    .max_flat_workgroup_size: 256
    .name:           _ZN7rocprim17ROCPRIM_400000_NS6detail17trampoline_kernelINS0_14default_configENS1_32segmented_reduce_config_selectorIdEEZNS1_21segmented_reduce_implIS3_PKdPdPKidN6hipcub16HIPCUB_304000_NS6detail27convert_result_type_wrapperIS8_S9_N2at6native12_GLOBAL__N_110CustomProdEEEEE10hipError_tPvRmT0_T1_jT2_SQ_T4_T3_P12ihipStream_tbEUlT_E_NS1_11comp_targetILNS1_3genE8ELNS1_11target_archE1030ELNS1_3gpuE2ELNS1_3repE0EEENS1_30default_config_static_selectorELNS0_4arch9wavefront6targetE0EEEvSP_
    .private_segment_fixed_size: 0
    .sgpr_count:     0
    .sgpr_spill_count: 0
    .symbol:         _ZN7rocprim17ROCPRIM_400000_NS6detail17trampoline_kernelINS0_14default_configENS1_32segmented_reduce_config_selectorIdEEZNS1_21segmented_reduce_implIS3_PKdPdPKidN6hipcub16HIPCUB_304000_NS6detail27convert_result_type_wrapperIS8_S9_N2at6native12_GLOBAL__N_110CustomProdEEEEE10hipError_tPvRmT0_T1_jT2_SQ_T4_T3_P12ihipStream_tbEUlT_E_NS1_11comp_targetILNS1_3genE8ELNS1_11target_archE1030ELNS1_3gpuE2ELNS1_3repE0EEENS1_30default_config_static_selectorELNS0_4arch9wavefront6targetE0EEEvSP_.kd
    .uniform_work_group_size: 1
    .uses_dynamic_stack: false
    .vgpr_count:     0
    .vgpr_spill_count: 0
    .wavefront_size: 32
  - .args:
      - .offset:         0
        .size:           4
        .value_kind:     by_value
      - .address_space:  global
        .offset:         8
        .size:           8
        .value_kind:     global_buffer
      - .address_space:  global
        .offset:         16
        .size:           8
        .value_kind:     global_buffer
      - .address_space:  global
        .offset:         24
        .size:           8
        .value_kind:     global_buffer
      - .address_space:  global
        .offset:         32
        .size:           8
        .value_kind:     global_buffer
      - .offset:         40
        .size:           8
        .value_kind:     by_value
      - .offset:         48
        .size:           8
        .value_kind:     by_value
      - .offset:         56
        .size:           1
        .value_kind:     by_value
      - .offset:         60
        .size:           4
        .value_kind:     by_value
      - .offset:         64
        .size:           8
        .value_kind:     by_value
      - .offset:         72
        .size:           8
        .value_kind:     by_value
      - .offset:         80
        .size:           8
        .value_kind:     by_value
      - .offset:         88
        .size:           8
        .value_kind:     by_value
      - .offset:         96
        .size:           8
        .value_kind:     by_value
      - .offset:         104
        .size:           8
        .value_kind:     by_value
      - .offset:         112
        .size:           8
        .value_kind:     by_value
      - .offset:         120
        .size:           4
        .value_kind:     hidden_block_count_x
      - .offset:         124
        .size:           4
        .value_kind:     hidden_block_count_y
      - .offset:         128
        .size:           4
        .value_kind:     hidden_block_count_z
      - .offset:         132
        .size:           2
        .value_kind:     hidden_group_size_x
      - .offset:         134
        .size:           2
        .value_kind:     hidden_group_size_y
      - .offset:         136
        .size:           2
        .value_kind:     hidden_group_size_z
      - .offset:         138
        .size:           2
        .value_kind:     hidden_remainder_x
      - .offset:         140
        .size:           2
        .value_kind:     hidden_remainder_y
      - .offset:         142
        .size:           2
        .value_kind:     hidden_remainder_z
      - .offset:         160
        .size:           8
        .value_kind:     hidden_global_offset_x
      - .offset:         168
        .size:           8
        .value_kind:     hidden_global_offset_y
      - .offset:         176
        .size:           8
        .value_kind:     hidden_global_offset_z
      - .offset:         184
        .size:           2
        .value_kind:     hidden_grid_dims
    .group_segment_fixed_size: 0
    .kernarg_segment_align: 8
    .kernarg_segment_size: 376
    .language:       OpenCL C
    .language_version:
      - 2
      - 0
    .max_flat_workgroup_size: 1024
    .name:           _ZN2at6native12_GLOBAL__N_129segment_reduce_forward_kernelIfiEEvNS0_13ReductionTypeEPT_PKS4_PKT0_SA_llbS4_lllllll
    .private_segment_fixed_size: 0
    .sgpr_count:     46
    .sgpr_spill_count: 0
    .symbol:         _ZN2at6native12_GLOBAL__N_129segment_reduce_forward_kernelIfiEEvNS0_13ReductionTypeEPT_PKS4_PKT0_SA_llbS4_lllllll.kd
    .uniform_work_group_size: 1
    .uses_dynamic_stack: false
    .vgpr_count:     20
    .vgpr_spill_count: 0
    .wavefront_size: 32
  - .args:
      - .offset:         0
        .size:           48
        .value_kind:     by_value
    .group_segment_fixed_size: 32
    .kernarg_segment_align: 8
    .kernarg_segment_size: 48
    .language:       OpenCL C
    .language_version:
      - 2
      - 0
    .max_flat_workgroup_size: 256
    .name:           _ZN7rocprim17ROCPRIM_400000_NS6detail17trampoline_kernelINS0_14default_configENS1_32segmented_reduce_config_selectorIfEEZNS1_21segmented_reduce_implIS3_PKfPfPKifN6hipcub16HIPCUB_304000_NS6detail27convert_result_type_wrapperIS8_S9_N2at6native12_GLOBAL__N_19CustomMaxEEEEE10hipError_tPvRmT0_T1_jT2_SQ_T4_T3_P12ihipStream_tbEUlT_E_NS1_11comp_targetILNS1_3genE0ELNS1_11target_archE4294967295ELNS1_3gpuE0ELNS1_3repE0EEENS1_30default_config_static_selectorELNS0_4arch9wavefront6targetE0EEEvSP_
    .private_segment_fixed_size: 0
    .sgpr_count:     20
    .sgpr_spill_count: 0
    .symbol:         _ZN7rocprim17ROCPRIM_400000_NS6detail17trampoline_kernelINS0_14default_configENS1_32segmented_reduce_config_selectorIfEEZNS1_21segmented_reduce_implIS3_PKfPfPKifN6hipcub16HIPCUB_304000_NS6detail27convert_result_type_wrapperIS8_S9_N2at6native12_GLOBAL__N_19CustomMaxEEEEE10hipError_tPvRmT0_T1_jT2_SQ_T4_T3_P12ihipStream_tbEUlT_E_NS1_11comp_targetILNS1_3genE0ELNS1_11target_archE4294967295ELNS1_3gpuE0ELNS1_3repE0EEENS1_30default_config_static_selectorELNS0_4arch9wavefront6targetE0EEEvSP_.kd
    .uniform_work_group_size: 1
    .uses_dynamic_stack: false
    .vgpr_count:     33
    .vgpr_spill_count: 0
    .wavefront_size: 32
  - .args:
      - .offset:         0
        .size:           48
        .value_kind:     by_value
    .group_segment_fixed_size: 0
    .kernarg_segment_align: 8
    .kernarg_segment_size: 48
    .language:       OpenCL C
    .language_version:
      - 2
      - 0
    .max_flat_workgroup_size: 256
    .name:           _ZN7rocprim17ROCPRIM_400000_NS6detail17trampoline_kernelINS0_14default_configENS1_32segmented_reduce_config_selectorIfEEZNS1_21segmented_reduce_implIS3_PKfPfPKifN6hipcub16HIPCUB_304000_NS6detail27convert_result_type_wrapperIS8_S9_N2at6native12_GLOBAL__N_19CustomMaxEEEEE10hipError_tPvRmT0_T1_jT2_SQ_T4_T3_P12ihipStream_tbEUlT_E_NS1_11comp_targetILNS1_3genE5ELNS1_11target_archE942ELNS1_3gpuE9ELNS1_3repE0EEENS1_30default_config_static_selectorELNS0_4arch9wavefront6targetE0EEEvSP_
    .private_segment_fixed_size: 0
    .sgpr_count:     0
    .sgpr_spill_count: 0
    .symbol:         _ZN7rocprim17ROCPRIM_400000_NS6detail17trampoline_kernelINS0_14default_configENS1_32segmented_reduce_config_selectorIfEEZNS1_21segmented_reduce_implIS3_PKfPfPKifN6hipcub16HIPCUB_304000_NS6detail27convert_result_type_wrapperIS8_S9_N2at6native12_GLOBAL__N_19CustomMaxEEEEE10hipError_tPvRmT0_T1_jT2_SQ_T4_T3_P12ihipStream_tbEUlT_E_NS1_11comp_targetILNS1_3genE5ELNS1_11target_archE942ELNS1_3gpuE9ELNS1_3repE0EEENS1_30default_config_static_selectorELNS0_4arch9wavefront6targetE0EEEvSP_.kd
    .uniform_work_group_size: 1
    .uses_dynamic_stack: false
    .vgpr_count:     0
    .vgpr_spill_count: 0
    .wavefront_size: 32
  - .args:
      - .offset:         0
        .size:           48
        .value_kind:     by_value
    .group_segment_fixed_size: 0
    .kernarg_segment_align: 8
    .kernarg_segment_size: 48
    .language:       OpenCL C
    .language_version:
      - 2
      - 0
    .max_flat_workgroup_size: 256
    .name:           _ZN7rocprim17ROCPRIM_400000_NS6detail17trampoline_kernelINS0_14default_configENS1_32segmented_reduce_config_selectorIfEEZNS1_21segmented_reduce_implIS3_PKfPfPKifN6hipcub16HIPCUB_304000_NS6detail27convert_result_type_wrapperIS8_S9_N2at6native12_GLOBAL__N_19CustomMaxEEEEE10hipError_tPvRmT0_T1_jT2_SQ_T4_T3_P12ihipStream_tbEUlT_E_NS1_11comp_targetILNS1_3genE10ELNS1_11target_archE1201ELNS1_3gpuE5ELNS1_3repE0EEENS1_30default_config_static_selectorELNS0_4arch9wavefront6targetE0EEEvSP_
    .private_segment_fixed_size: 0
    .sgpr_count:     0
    .sgpr_spill_count: 0
    .symbol:         _ZN7rocprim17ROCPRIM_400000_NS6detail17trampoline_kernelINS0_14default_configENS1_32segmented_reduce_config_selectorIfEEZNS1_21segmented_reduce_implIS3_PKfPfPKifN6hipcub16HIPCUB_304000_NS6detail27convert_result_type_wrapperIS8_S9_N2at6native12_GLOBAL__N_19CustomMaxEEEEE10hipError_tPvRmT0_T1_jT2_SQ_T4_T3_P12ihipStream_tbEUlT_E_NS1_11comp_targetILNS1_3genE10ELNS1_11target_archE1201ELNS1_3gpuE5ELNS1_3repE0EEENS1_30default_config_static_selectorELNS0_4arch9wavefront6targetE0EEEvSP_.kd
    .uniform_work_group_size: 1
    .uses_dynamic_stack: false
    .vgpr_count:     0
    .vgpr_spill_count: 0
    .wavefront_size: 32
  - .args:
      - .offset:         0
        .size:           48
        .value_kind:     by_value
    .group_segment_fixed_size: 0
    .kernarg_segment_align: 8
    .kernarg_segment_size: 48
    .language:       OpenCL C
    .language_version:
      - 2
      - 0
    .max_flat_workgroup_size: 256
    .name:           _ZN7rocprim17ROCPRIM_400000_NS6detail17trampoline_kernelINS0_14default_configENS1_32segmented_reduce_config_selectorIfEEZNS1_21segmented_reduce_implIS3_PKfPfPKifN6hipcub16HIPCUB_304000_NS6detail27convert_result_type_wrapperIS8_S9_N2at6native12_GLOBAL__N_19CustomMaxEEEEE10hipError_tPvRmT0_T1_jT2_SQ_T4_T3_P12ihipStream_tbEUlT_E_NS1_11comp_targetILNS1_3genE4ELNS1_11target_archE910ELNS1_3gpuE8ELNS1_3repE0EEENS1_30default_config_static_selectorELNS0_4arch9wavefront6targetE0EEEvSP_
    .private_segment_fixed_size: 0
    .sgpr_count:     0
    .sgpr_spill_count: 0
    .symbol:         _ZN7rocprim17ROCPRIM_400000_NS6detail17trampoline_kernelINS0_14default_configENS1_32segmented_reduce_config_selectorIfEEZNS1_21segmented_reduce_implIS3_PKfPfPKifN6hipcub16HIPCUB_304000_NS6detail27convert_result_type_wrapperIS8_S9_N2at6native12_GLOBAL__N_19CustomMaxEEEEE10hipError_tPvRmT0_T1_jT2_SQ_T4_T3_P12ihipStream_tbEUlT_E_NS1_11comp_targetILNS1_3genE4ELNS1_11target_archE910ELNS1_3gpuE8ELNS1_3repE0EEENS1_30default_config_static_selectorELNS0_4arch9wavefront6targetE0EEEvSP_.kd
    .uniform_work_group_size: 1
    .uses_dynamic_stack: false
    .vgpr_count:     0
    .vgpr_spill_count: 0
    .wavefront_size: 32
  - .args:
      - .offset:         0
        .size:           48
        .value_kind:     by_value
    .group_segment_fixed_size: 0
    .kernarg_segment_align: 8
    .kernarg_segment_size: 48
    .language:       OpenCL C
    .language_version:
      - 2
      - 0
    .max_flat_workgroup_size: 256
    .name:           _ZN7rocprim17ROCPRIM_400000_NS6detail17trampoline_kernelINS0_14default_configENS1_32segmented_reduce_config_selectorIfEEZNS1_21segmented_reduce_implIS3_PKfPfPKifN6hipcub16HIPCUB_304000_NS6detail27convert_result_type_wrapperIS8_S9_N2at6native12_GLOBAL__N_19CustomMaxEEEEE10hipError_tPvRmT0_T1_jT2_SQ_T4_T3_P12ihipStream_tbEUlT_E_NS1_11comp_targetILNS1_3genE3ELNS1_11target_archE908ELNS1_3gpuE7ELNS1_3repE0EEENS1_30default_config_static_selectorELNS0_4arch9wavefront6targetE0EEEvSP_
    .private_segment_fixed_size: 0
    .sgpr_count:     0
    .sgpr_spill_count: 0
    .symbol:         _ZN7rocprim17ROCPRIM_400000_NS6detail17trampoline_kernelINS0_14default_configENS1_32segmented_reduce_config_selectorIfEEZNS1_21segmented_reduce_implIS3_PKfPfPKifN6hipcub16HIPCUB_304000_NS6detail27convert_result_type_wrapperIS8_S9_N2at6native12_GLOBAL__N_19CustomMaxEEEEE10hipError_tPvRmT0_T1_jT2_SQ_T4_T3_P12ihipStream_tbEUlT_E_NS1_11comp_targetILNS1_3genE3ELNS1_11target_archE908ELNS1_3gpuE7ELNS1_3repE0EEENS1_30default_config_static_selectorELNS0_4arch9wavefront6targetE0EEEvSP_.kd
    .uniform_work_group_size: 1
    .uses_dynamic_stack: false
    .vgpr_count:     0
    .vgpr_spill_count: 0
    .wavefront_size: 32
  - .args:
      - .offset:         0
        .size:           48
        .value_kind:     by_value
    .group_segment_fixed_size: 0
    .kernarg_segment_align: 8
    .kernarg_segment_size: 48
    .language:       OpenCL C
    .language_version:
      - 2
      - 0
    .max_flat_workgroup_size: 256
    .name:           _ZN7rocprim17ROCPRIM_400000_NS6detail17trampoline_kernelINS0_14default_configENS1_32segmented_reduce_config_selectorIfEEZNS1_21segmented_reduce_implIS3_PKfPfPKifN6hipcub16HIPCUB_304000_NS6detail27convert_result_type_wrapperIS8_S9_N2at6native12_GLOBAL__N_19CustomMaxEEEEE10hipError_tPvRmT0_T1_jT2_SQ_T4_T3_P12ihipStream_tbEUlT_E_NS1_11comp_targetILNS1_3genE2ELNS1_11target_archE906ELNS1_3gpuE6ELNS1_3repE0EEENS1_30default_config_static_selectorELNS0_4arch9wavefront6targetE0EEEvSP_
    .private_segment_fixed_size: 0
    .sgpr_count:     0
    .sgpr_spill_count: 0
    .symbol:         _ZN7rocprim17ROCPRIM_400000_NS6detail17trampoline_kernelINS0_14default_configENS1_32segmented_reduce_config_selectorIfEEZNS1_21segmented_reduce_implIS3_PKfPfPKifN6hipcub16HIPCUB_304000_NS6detail27convert_result_type_wrapperIS8_S9_N2at6native12_GLOBAL__N_19CustomMaxEEEEE10hipError_tPvRmT0_T1_jT2_SQ_T4_T3_P12ihipStream_tbEUlT_E_NS1_11comp_targetILNS1_3genE2ELNS1_11target_archE906ELNS1_3gpuE6ELNS1_3repE0EEENS1_30default_config_static_selectorELNS0_4arch9wavefront6targetE0EEEvSP_.kd
    .uniform_work_group_size: 1
    .uses_dynamic_stack: false
    .vgpr_count:     0
    .vgpr_spill_count: 0
    .wavefront_size: 32
  - .args:
      - .offset:         0
        .size:           48
        .value_kind:     by_value
    .group_segment_fixed_size: 0
    .kernarg_segment_align: 8
    .kernarg_segment_size: 48
    .language:       OpenCL C
    .language_version:
      - 2
      - 0
    .max_flat_workgroup_size: 256
    .name:           _ZN7rocprim17ROCPRIM_400000_NS6detail17trampoline_kernelINS0_14default_configENS1_32segmented_reduce_config_selectorIfEEZNS1_21segmented_reduce_implIS3_PKfPfPKifN6hipcub16HIPCUB_304000_NS6detail27convert_result_type_wrapperIS8_S9_N2at6native12_GLOBAL__N_19CustomMaxEEEEE10hipError_tPvRmT0_T1_jT2_SQ_T4_T3_P12ihipStream_tbEUlT_E_NS1_11comp_targetILNS1_3genE9ELNS1_11target_archE1100ELNS1_3gpuE3ELNS1_3repE0EEENS1_30default_config_static_selectorELNS0_4arch9wavefront6targetE0EEEvSP_
    .private_segment_fixed_size: 0
    .sgpr_count:     0
    .sgpr_spill_count: 0
    .symbol:         _ZN7rocprim17ROCPRIM_400000_NS6detail17trampoline_kernelINS0_14default_configENS1_32segmented_reduce_config_selectorIfEEZNS1_21segmented_reduce_implIS3_PKfPfPKifN6hipcub16HIPCUB_304000_NS6detail27convert_result_type_wrapperIS8_S9_N2at6native12_GLOBAL__N_19CustomMaxEEEEE10hipError_tPvRmT0_T1_jT2_SQ_T4_T3_P12ihipStream_tbEUlT_E_NS1_11comp_targetILNS1_3genE9ELNS1_11target_archE1100ELNS1_3gpuE3ELNS1_3repE0EEENS1_30default_config_static_selectorELNS0_4arch9wavefront6targetE0EEEvSP_.kd
    .uniform_work_group_size: 1
    .uses_dynamic_stack: false
    .vgpr_count:     0
    .vgpr_spill_count: 0
    .wavefront_size: 32
  - .args:
      - .offset:         0
        .size:           48
        .value_kind:     by_value
    .group_segment_fixed_size: 0
    .kernarg_segment_align: 8
    .kernarg_segment_size: 48
    .language:       OpenCL C
    .language_version:
      - 2
      - 0
    .max_flat_workgroup_size: 256
    .name:           _ZN7rocprim17ROCPRIM_400000_NS6detail17trampoline_kernelINS0_14default_configENS1_32segmented_reduce_config_selectorIfEEZNS1_21segmented_reduce_implIS3_PKfPfPKifN6hipcub16HIPCUB_304000_NS6detail27convert_result_type_wrapperIS8_S9_N2at6native12_GLOBAL__N_19CustomMaxEEEEE10hipError_tPvRmT0_T1_jT2_SQ_T4_T3_P12ihipStream_tbEUlT_E_NS1_11comp_targetILNS1_3genE8ELNS1_11target_archE1030ELNS1_3gpuE2ELNS1_3repE0EEENS1_30default_config_static_selectorELNS0_4arch9wavefront6targetE0EEEvSP_
    .private_segment_fixed_size: 0
    .sgpr_count:     0
    .sgpr_spill_count: 0
    .symbol:         _ZN7rocprim17ROCPRIM_400000_NS6detail17trampoline_kernelINS0_14default_configENS1_32segmented_reduce_config_selectorIfEEZNS1_21segmented_reduce_implIS3_PKfPfPKifN6hipcub16HIPCUB_304000_NS6detail27convert_result_type_wrapperIS8_S9_N2at6native12_GLOBAL__N_19CustomMaxEEEEE10hipError_tPvRmT0_T1_jT2_SQ_T4_T3_P12ihipStream_tbEUlT_E_NS1_11comp_targetILNS1_3genE8ELNS1_11target_archE1030ELNS1_3gpuE2ELNS1_3repE0EEENS1_30default_config_static_selectorELNS0_4arch9wavefront6targetE0EEEvSP_.kd
    .uniform_work_group_size: 1
    .uses_dynamic_stack: false
    .vgpr_count:     0
    .vgpr_spill_count: 0
    .wavefront_size: 32
  - .args:
      - .offset:         0
        .size:           48
        .value_kind:     by_value
    .group_segment_fixed_size: 32
    .kernarg_segment_align: 8
    .kernarg_segment_size: 48
    .language:       OpenCL C
    .language_version:
      - 2
      - 0
    .max_flat_workgroup_size: 256
    .name:           _ZN7rocprim17ROCPRIM_400000_NS6detail17trampoline_kernelINS0_14default_configENS1_32segmented_reduce_config_selectorIfEEZNS1_21segmented_reduce_implIS3_PKfPfPKifN6hipcub16HIPCUB_304000_NS6detail27convert_result_type_wrapperIS8_S9_N2at6native12_GLOBAL__N_19CustomSumEEEEE10hipError_tPvRmT0_T1_jT2_SQ_T4_T3_P12ihipStream_tbEUlT_E_NS1_11comp_targetILNS1_3genE0ELNS1_11target_archE4294967295ELNS1_3gpuE0ELNS1_3repE0EEENS1_30default_config_static_selectorELNS0_4arch9wavefront6targetE0EEEvSP_
    .private_segment_fixed_size: 0
    .sgpr_count:     32
    .sgpr_spill_count: 0
    .symbol:         _ZN7rocprim17ROCPRIM_400000_NS6detail17trampoline_kernelINS0_14default_configENS1_32segmented_reduce_config_selectorIfEEZNS1_21segmented_reduce_implIS3_PKfPfPKifN6hipcub16HIPCUB_304000_NS6detail27convert_result_type_wrapperIS8_S9_N2at6native12_GLOBAL__N_19CustomSumEEEEE10hipError_tPvRmT0_T1_jT2_SQ_T4_T3_P12ihipStream_tbEUlT_E_NS1_11comp_targetILNS1_3genE0ELNS1_11target_archE4294967295ELNS1_3gpuE0ELNS1_3repE0EEENS1_30default_config_static_selectorELNS0_4arch9wavefront6targetE0EEEvSP_.kd
    .uniform_work_group_size: 1
    .uses_dynamic_stack: false
    .vgpr_count:     24
    .vgpr_spill_count: 0
    .wavefront_size: 32
  - .args:
      - .offset:         0
        .size:           48
        .value_kind:     by_value
    .group_segment_fixed_size: 0
    .kernarg_segment_align: 8
    .kernarg_segment_size: 48
    .language:       OpenCL C
    .language_version:
      - 2
      - 0
    .max_flat_workgroup_size: 256
    .name:           _ZN7rocprim17ROCPRIM_400000_NS6detail17trampoline_kernelINS0_14default_configENS1_32segmented_reduce_config_selectorIfEEZNS1_21segmented_reduce_implIS3_PKfPfPKifN6hipcub16HIPCUB_304000_NS6detail27convert_result_type_wrapperIS8_S9_N2at6native12_GLOBAL__N_19CustomSumEEEEE10hipError_tPvRmT0_T1_jT2_SQ_T4_T3_P12ihipStream_tbEUlT_E_NS1_11comp_targetILNS1_3genE5ELNS1_11target_archE942ELNS1_3gpuE9ELNS1_3repE0EEENS1_30default_config_static_selectorELNS0_4arch9wavefront6targetE0EEEvSP_
    .private_segment_fixed_size: 0
    .sgpr_count:     0
    .sgpr_spill_count: 0
    .symbol:         _ZN7rocprim17ROCPRIM_400000_NS6detail17trampoline_kernelINS0_14default_configENS1_32segmented_reduce_config_selectorIfEEZNS1_21segmented_reduce_implIS3_PKfPfPKifN6hipcub16HIPCUB_304000_NS6detail27convert_result_type_wrapperIS8_S9_N2at6native12_GLOBAL__N_19CustomSumEEEEE10hipError_tPvRmT0_T1_jT2_SQ_T4_T3_P12ihipStream_tbEUlT_E_NS1_11comp_targetILNS1_3genE5ELNS1_11target_archE942ELNS1_3gpuE9ELNS1_3repE0EEENS1_30default_config_static_selectorELNS0_4arch9wavefront6targetE0EEEvSP_.kd
    .uniform_work_group_size: 1
    .uses_dynamic_stack: false
    .vgpr_count:     0
    .vgpr_spill_count: 0
    .wavefront_size: 32
  - .args:
      - .offset:         0
        .size:           48
        .value_kind:     by_value
    .group_segment_fixed_size: 0
    .kernarg_segment_align: 8
    .kernarg_segment_size: 48
    .language:       OpenCL C
    .language_version:
      - 2
      - 0
    .max_flat_workgroup_size: 256
    .name:           _ZN7rocprim17ROCPRIM_400000_NS6detail17trampoline_kernelINS0_14default_configENS1_32segmented_reduce_config_selectorIfEEZNS1_21segmented_reduce_implIS3_PKfPfPKifN6hipcub16HIPCUB_304000_NS6detail27convert_result_type_wrapperIS8_S9_N2at6native12_GLOBAL__N_19CustomSumEEEEE10hipError_tPvRmT0_T1_jT2_SQ_T4_T3_P12ihipStream_tbEUlT_E_NS1_11comp_targetILNS1_3genE10ELNS1_11target_archE1201ELNS1_3gpuE5ELNS1_3repE0EEENS1_30default_config_static_selectorELNS0_4arch9wavefront6targetE0EEEvSP_
    .private_segment_fixed_size: 0
    .sgpr_count:     0
    .sgpr_spill_count: 0
    .symbol:         _ZN7rocprim17ROCPRIM_400000_NS6detail17trampoline_kernelINS0_14default_configENS1_32segmented_reduce_config_selectorIfEEZNS1_21segmented_reduce_implIS3_PKfPfPKifN6hipcub16HIPCUB_304000_NS6detail27convert_result_type_wrapperIS8_S9_N2at6native12_GLOBAL__N_19CustomSumEEEEE10hipError_tPvRmT0_T1_jT2_SQ_T4_T3_P12ihipStream_tbEUlT_E_NS1_11comp_targetILNS1_3genE10ELNS1_11target_archE1201ELNS1_3gpuE5ELNS1_3repE0EEENS1_30default_config_static_selectorELNS0_4arch9wavefront6targetE0EEEvSP_.kd
    .uniform_work_group_size: 1
    .uses_dynamic_stack: false
    .vgpr_count:     0
    .vgpr_spill_count: 0
    .wavefront_size: 32
  - .args:
      - .offset:         0
        .size:           48
        .value_kind:     by_value
    .group_segment_fixed_size: 0
    .kernarg_segment_align: 8
    .kernarg_segment_size: 48
    .language:       OpenCL C
    .language_version:
      - 2
      - 0
    .max_flat_workgroup_size: 256
    .name:           _ZN7rocprim17ROCPRIM_400000_NS6detail17trampoline_kernelINS0_14default_configENS1_32segmented_reduce_config_selectorIfEEZNS1_21segmented_reduce_implIS3_PKfPfPKifN6hipcub16HIPCUB_304000_NS6detail27convert_result_type_wrapperIS8_S9_N2at6native12_GLOBAL__N_19CustomSumEEEEE10hipError_tPvRmT0_T1_jT2_SQ_T4_T3_P12ihipStream_tbEUlT_E_NS1_11comp_targetILNS1_3genE4ELNS1_11target_archE910ELNS1_3gpuE8ELNS1_3repE0EEENS1_30default_config_static_selectorELNS0_4arch9wavefront6targetE0EEEvSP_
    .private_segment_fixed_size: 0
    .sgpr_count:     0
    .sgpr_spill_count: 0
    .symbol:         _ZN7rocprim17ROCPRIM_400000_NS6detail17trampoline_kernelINS0_14default_configENS1_32segmented_reduce_config_selectorIfEEZNS1_21segmented_reduce_implIS3_PKfPfPKifN6hipcub16HIPCUB_304000_NS6detail27convert_result_type_wrapperIS8_S9_N2at6native12_GLOBAL__N_19CustomSumEEEEE10hipError_tPvRmT0_T1_jT2_SQ_T4_T3_P12ihipStream_tbEUlT_E_NS1_11comp_targetILNS1_3genE4ELNS1_11target_archE910ELNS1_3gpuE8ELNS1_3repE0EEENS1_30default_config_static_selectorELNS0_4arch9wavefront6targetE0EEEvSP_.kd
    .uniform_work_group_size: 1
    .uses_dynamic_stack: false
    .vgpr_count:     0
    .vgpr_spill_count: 0
    .wavefront_size: 32
  - .args:
      - .offset:         0
        .size:           48
        .value_kind:     by_value
    .group_segment_fixed_size: 0
    .kernarg_segment_align: 8
    .kernarg_segment_size: 48
    .language:       OpenCL C
    .language_version:
      - 2
      - 0
    .max_flat_workgroup_size: 256
    .name:           _ZN7rocprim17ROCPRIM_400000_NS6detail17trampoline_kernelINS0_14default_configENS1_32segmented_reduce_config_selectorIfEEZNS1_21segmented_reduce_implIS3_PKfPfPKifN6hipcub16HIPCUB_304000_NS6detail27convert_result_type_wrapperIS8_S9_N2at6native12_GLOBAL__N_19CustomSumEEEEE10hipError_tPvRmT0_T1_jT2_SQ_T4_T3_P12ihipStream_tbEUlT_E_NS1_11comp_targetILNS1_3genE3ELNS1_11target_archE908ELNS1_3gpuE7ELNS1_3repE0EEENS1_30default_config_static_selectorELNS0_4arch9wavefront6targetE0EEEvSP_
    .private_segment_fixed_size: 0
    .sgpr_count:     0
    .sgpr_spill_count: 0
    .symbol:         _ZN7rocprim17ROCPRIM_400000_NS6detail17trampoline_kernelINS0_14default_configENS1_32segmented_reduce_config_selectorIfEEZNS1_21segmented_reduce_implIS3_PKfPfPKifN6hipcub16HIPCUB_304000_NS6detail27convert_result_type_wrapperIS8_S9_N2at6native12_GLOBAL__N_19CustomSumEEEEE10hipError_tPvRmT0_T1_jT2_SQ_T4_T3_P12ihipStream_tbEUlT_E_NS1_11comp_targetILNS1_3genE3ELNS1_11target_archE908ELNS1_3gpuE7ELNS1_3repE0EEENS1_30default_config_static_selectorELNS0_4arch9wavefront6targetE0EEEvSP_.kd
    .uniform_work_group_size: 1
    .uses_dynamic_stack: false
    .vgpr_count:     0
    .vgpr_spill_count: 0
    .wavefront_size: 32
  - .args:
      - .offset:         0
        .size:           48
        .value_kind:     by_value
    .group_segment_fixed_size: 0
    .kernarg_segment_align: 8
    .kernarg_segment_size: 48
    .language:       OpenCL C
    .language_version:
      - 2
      - 0
    .max_flat_workgroup_size: 256
    .name:           _ZN7rocprim17ROCPRIM_400000_NS6detail17trampoline_kernelINS0_14default_configENS1_32segmented_reduce_config_selectorIfEEZNS1_21segmented_reduce_implIS3_PKfPfPKifN6hipcub16HIPCUB_304000_NS6detail27convert_result_type_wrapperIS8_S9_N2at6native12_GLOBAL__N_19CustomSumEEEEE10hipError_tPvRmT0_T1_jT2_SQ_T4_T3_P12ihipStream_tbEUlT_E_NS1_11comp_targetILNS1_3genE2ELNS1_11target_archE906ELNS1_3gpuE6ELNS1_3repE0EEENS1_30default_config_static_selectorELNS0_4arch9wavefront6targetE0EEEvSP_
    .private_segment_fixed_size: 0
    .sgpr_count:     0
    .sgpr_spill_count: 0
    .symbol:         _ZN7rocprim17ROCPRIM_400000_NS6detail17trampoline_kernelINS0_14default_configENS1_32segmented_reduce_config_selectorIfEEZNS1_21segmented_reduce_implIS3_PKfPfPKifN6hipcub16HIPCUB_304000_NS6detail27convert_result_type_wrapperIS8_S9_N2at6native12_GLOBAL__N_19CustomSumEEEEE10hipError_tPvRmT0_T1_jT2_SQ_T4_T3_P12ihipStream_tbEUlT_E_NS1_11comp_targetILNS1_3genE2ELNS1_11target_archE906ELNS1_3gpuE6ELNS1_3repE0EEENS1_30default_config_static_selectorELNS0_4arch9wavefront6targetE0EEEvSP_.kd
    .uniform_work_group_size: 1
    .uses_dynamic_stack: false
    .vgpr_count:     0
    .vgpr_spill_count: 0
    .wavefront_size: 32
  - .args:
      - .offset:         0
        .size:           48
        .value_kind:     by_value
    .group_segment_fixed_size: 0
    .kernarg_segment_align: 8
    .kernarg_segment_size: 48
    .language:       OpenCL C
    .language_version:
      - 2
      - 0
    .max_flat_workgroup_size: 256
    .name:           _ZN7rocprim17ROCPRIM_400000_NS6detail17trampoline_kernelINS0_14default_configENS1_32segmented_reduce_config_selectorIfEEZNS1_21segmented_reduce_implIS3_PKfPfPKifN6hipcub16HIPCUB_304000_NS6detail27convert_result_type_wrapperIS8_S9_N2at6native12_GLOBAL__N_19CustomSumEEEEE10hipError_tPvRmT0_T1_jT2_SQ_T4_T3_P12ihipStream_tbEUlT_E_NS1_11comp_targetILNS1_3genE9ELNS1_11target_archE1100ELNS1_3gpuE3ELNS1_3repE0EEENS1_30default_config_static_selectorELNS0_4arch9wavefront6targetE0EEEvSP_
    .private_segment_fixed_size: 0
    .sgpr_count:     0
    .sgpr_spill_count: 0
    .symbol:         _ZN7rocprim17ROCPRIM_400000_NS6detail17trampoline_kernelINS0_14default_configENS1_32segmented_reduce_config_selectorIfEEZNS1_21segmented_reduce_implIS3_PKfPfPKifN6hipcub16HIPCUB_304000_NS6detail27convert_result_type_wrapperIS8_S9_N2at6native12_GLOBAL__N_19CustomSumEEEEE10hipError_tPvRmT0_T1_jT2_SQ_T4_T3_P12ihipStream_tbEUlT_E_NS1_11comp_targetILNS1_3genE9ELNS1_11target_archE1100ELNS1_3gpuE3ELNS1_3repE0EEENS1_30default_config_static_selectorELNS0_4arch9wavefront6targetE0EEEvSP_.kd
    .uniform_work_group_size: 1
    .uses_dynamic_stack: false
    .vgpr_count:     0
    .vgpr_spill_count: 0
    .wavefront_size: 32
  - .args:
      - .offset:         0
        .size:           48
        .value_kind:     by_value
    .group_segment_fixed_size: 0
    .kernarg_segment_align: 8
    .kernarg_segment_size: 48
    .language:       OpenCL C
    .language_version:
      - 2
      - 0
    .max_flat_workgroup_size: 256
    .name:           _ZN7rocprim17ROCPRIM_400000_NS6detail17trampoline_kernelINS0_14default_configENS1_32segmented_reduce_config_selectorIfEEZNS1_21segmented_reduce_implIS3_PKfPfPKifN6hipcub16HIPCUB_304000_NS6detail27convert_result_type_wrapperIS8_S9_N2at6native12_GLOBAL__N_19CustomSumEEEEE10hipError_tPvRmT0_T1_jT2_SQ_T4_T3_P12ihipStream_tbEUlT_E_NS1_11comp_targetILNS1_3genE8ELNS1_11target_archE1030ELNS1_3gpuE2ELNS1_3repE0EEENS1_30default_config_static_selectorELNS0_4arch9wavefront6targetE0EEEvSP_
    .private_segment_fixed_size: 0
    .sgpr_count:     0
    .sgpr_spill_count: 0
    .symbol:         _ZN7rocprim17ROCPRIM_400000_NS6detail17trampoline_kernelINS0_14default_configENS1_32segmented_reduce_config_selectorIfEEZNS1_21segmented_reduce_implIS3_PKfPfPKifN6hipcub16HIPCUB_304000_NS6detail27convert_result_type_wrapperIS8_S9_N2at6native12_GLOBAL__N_19CustomSumEEEEE10hipError_tPvRmT0_T1_jT2_SQ_T4_T3_P12ihipStream_tbEUlT_E_NS1_11comp_targetILNS1_3genE8ELNS1_11target_archE1030ELNS1_3gpuE2ELNS1_3repE0EEENS1_30default_config_static_selectorELNS0_4arch9wavefront6targetE0EEEvSP_.kd
    .uniform_work_group_size: 1
    .uses_dynamic_stack: false
    .vgpr_count:     0
    .vgpr_spill_count: 0
    .wavefront_size: 32
  - .args:
      - .address_space:  global
        .offset:         0
        .size:           8
        .value_kind:     global_buffer
      - .address_space:  global
        .offset:         8
        .size:           8
        .value_kind:     global_buffer
      - .offset:         16
        .size:           8
        .value_kind:     by_value
      - .offset:         24
        .size:           1
        .value_kind:     by_value
      - .offset:         28
        .size:           4
        .value_kind:     by_value
      - .offset:         32
        .size:           4
        .value_kind:     hidden_block_count_x
      - .offset:         36
        .size:           4
        .value_kind:     hidden_block_count_y
      - .offset:         40
        .size:           4
        .value_kind:     hidden_block_count_z
      - .offset:         44
        .size:           2
        .value_kind:     hidden_group_size_x
      - .offset:         46
        .size:           2
        .value_kind:     hidden_group_size_y
      - .offset:         48
        .size:           2
        .value_kind:     hidden_group_size_z
      - .offset:         50
        .size:           2
        .value_kind:     hidden_remainder_x
      - .offset:         52
        .size:           2
        .value_kind:     hidden_remainder_y
      - .offset:         54
        .size:           2
        .value_kind:     hidden_remainder_z
      - .offset:         72
        .size:           8
        .value_kind:     hidden_global_offset_x
      - .offset:         80
        .size:           8
        .value_kind:     hidden_global_offset_y
      - .offset:         88
        .size:           8
        .value_kind:     hidden_global_offset_z
      - .offset:         96
        .size:           2
        .value_kind:     hidden_grid_dims
    .group_segment_fixed_size: 0
    .kernarg_segment_align: 8
    .kernarg_segment_size: 288
    .language:       OpenCL C
    .language_version:
      - 2
      - 0
    .max_flat_workgroup_size: 1024
    .name:           _ZN2at6native12_GLOBAL__N_119post_sum_div_kernelIfiEEvPT_PKT0_lbS3_
    .private_segment_fixed_size: 0
    .sgpr_count:     21
    .sgpr_spill_count: 0
    .symbol:         _ZN2at6native12_GLOBAL__N_119post_sum_div_kernelIfiEEvPT_PKT0_lbS3_.kd
    .uniform_work_group_size: 1
    .uses_dynamic_stack: false
    .vgpr_count:     13
    .vgpr_spill_count: 0
    .wavefront_size: 32
  - .args:
      - .offset:         0
        .size:           48
        .value_kind:     by_value
    .group_segment_fixed_size: 32
    .kernarg_segment_align: 8
    .kernarg_segment_size: 48
    .language:       OpenCL C
    .language_version:
      - 2
      - 0
    .max_flat_workgroup_size: 256
    .name:           _ZN7rocprim17ROCPRIM_400000_NS6detail17trampoline_kernelINS0_14default_configENS1_32segmented_reduce_config_selectorIfEEZNS1_21segmented_reduce_implIS3_PKfPfPKifN6hipcub16HIPCUB_304000_NS6detail27convert_result_type_wrapperIS8_S9_N2at6native12_GLOBAL__N_19CustomMinEEEEE10hipError_tPvRmT0_T1_jT2_SQ_T4_T3_P12ihipStream_tbEUlT_E_NS1_11comp_targetILNS1_3genE0ELNS1_11target_archE4294967295ELNS1_3gpuE0ELNS1_3repE0EEENS1_30default_config_static_selectorELNS0_4arch9wavefront6targetE0EEEvSP_
    .private_segment_fixed_size: 0
    .sgpr_count:     20
    .sgpr_spill_count: 0
    .symbol:         _ZN7rocprim17ROCPRIM_400000_NS6detail17trampoline_kernelINS0_14default_configENS1_32segmented_reduce_config_selectorIfEEZNS1_21segmented_reduce_implIS3_PKfPfPKifN6hipcub16HIPCUB_304000_NS6detail27convert_result_type_wrapperIS8_S9_N2at6native12_GLOBAL__N_19CustomMinEEEEE10hipError_tPvRmT0_T1_jT2_SQ_T4_T3_P12ihipStream_tbEUlT_E_NS1_11comp_targetILNS1_3genE0ELNS1_11target_archE4294967295ELNS1_3gpuE0ELNS1_3repE0EEENS1_30default_config_static_selectorELNS0_4arch9wavefront6targetE0EEEvSP_.kd
    .uniform_work_group_size: 1
    .uses_dynamic_stack: false
    .vgpr_count:     33
    .vgpr_spill_count: 0
    .wavefront_size: 32
  - .args:
      - .offset:         0
        .size:           48
        .value_kind:     by_value
    .group_segment_fixed_size: 0
    .kernarg_segment_align: 8
    .kernarg_segment_size: 48
    .language:       OpenCL C
    .language_version:
      - 2
      - 0
    .max_flat_workgroup_size: 256
    .name:           _ZN7rocprim17ROCPRIM_400000_NS6detail17trampoline_kernelINS0_14default_configENS1_32segmented_reduce_config_selectorIfEEZNS1_21segmented_reduce_implIS3_PKfPfPKifN6hipcub16HIPCUB_304000_NS6detail27convert_result_type_wrapperIS8_S9_N2at6native12_GLOBAL__N_19CustomMinEEEEE10hipError_tPvRmT0_T1_jT2_SQ_T4_T3_P12ihipStream_tbEUlT_E_NS1_11comp_targetILNS1_3genE5ELNS1_11target_archE942ELNS1_3gpuE9ELNS1_3repE0EEENS1_30default_config_static_selectorELNS0_4arch9wavefront6targetE0EEEvSP_
    .private_segment_fixed_size: 0
    .sgpr_count:     0
    .sgpr_spill_count: 0
    .symbol:         _ZN7rocprim17ROCPRIM_400000_NS6detail17trampoline_kernelINS0_14default_configENS1_32segmented_reduce_config_selectorIfEEZNS1_21segmented_reduce_implIS3_PKfPfPKifN6hipcub16HIPCUB_304000_NS6detail27convert_result_type_wrapperIS8_S9_N2at6native12_GLOBAL__N_19CustomMinEEEEE10hipError_tPvRmT0_T1_jT2_SQ_T4_T3_P12ihipStream_tbEUlT_E_NS1_11comp_targetILNS1_3genE5ELNS1_11target_archE942ELNS1_3gpuE9ELNS1_3repE0EEENS1_30default_config_static_selectorELNS0_4arch9wavefront6targetE0EEEvSP_.kd
    .uniform_work_group_size: 1
    .uses_dynamic_stack: false
    .vgpr_count:     0
    .vgpr_spill_count: 0
    .wavefront_size: 32
  - .args:
      - .offset:         0
        .size:           48
        .value_kind:     by_value
    .group_segment_fixed_size: 0
    .kernarg_segment_align: 8
    .kernarg_segment_size: 48
    .language:       OpenCL C
    .language_version:
      - 2
      - 0
    .max_flat_workgroup_size: 256
    .name:           _ZN7rocprim17ROCPRIM_400000_NS6detail17trampoline_kernelINS0_14default_configENS1_32segmented_reduce_config_selectorIfEEZNS1_21segmented_reduce_implIS3_PKfPfPKifN6hipcub16HIPCUB_304000_NS6detail27convert_result_type_wrapperIS8_S9_N2at6native12_GLOBAL__N_19CustomMinEEEEE10hipError_tPvRmT0_T1_jT2_SQ_T4_T3_P12ihipStream_tbEUlT_E_NS1_11comp_targetILNS1_3genE10ELNS1_11target_archE1201ELNS1_3gpuE5ELNS1_3repE0EEENS1_30default_config_static_selectorELNS0_4arch9wavefront6targetE0EEEvSP_
    .private_segment_fixed_size: 0
    .sgpr_count:     0
    .sgpr_spill_count: 0
    .symbol:         _ZN7rocprim17ROCPRIM_400000_NS6detail17trampoline_kernelINS0_14default_configENS1_32segmented_reduce_config_selectorIfEEZNS1_21segmented_reduce_implIS3_PKfPfPKifN6hipcub16HIPCUB_304000_NS6detail27convert_result_type_wrapperIS8_S9_N2at6native12_GLOBAL__N_19CustomMinEEEEE10hipError_tPvRmT0_T1_jT2_SQ_T4_T3_P12ihipStream_tbEUlT_E_NS1_11comp_targetILNS1_3genE10ELNS1_11target_archE1201ELNS1_3gpuE5ELNS1_3repE0EEENS1_30default_config_static_selectorELNS0_4arch9wavefront6targetE0EEEvSP_.kd
    .uniform_work_group_size: 1
    .uses_dynamic_stack: false
    .vgpr_count:     0
    .vgpr_spill_count: 0
    .wavefront_size: 32
  - .args:
      - .offset:         0
        .size:           48
        .value_kind:     by_value
    .group_segment_fixed_size: 0
    .kernarg_segment_align: 8
    .kernarg_segment_size: 48
    .language:       OpenCL C
    .language_version:
      - 2
      - 0
    .max_flat_workgroup_size: 256
    .name:           _ZN7rocprim17ROCPRIM_400000_NS6detail17trampoline_kernelINS0_14default_configENS1_32segmented_reduce_config_selectorIfEEZNS1_21segmented_reduce_implIS3_PKfPfPKifN6hipcub16HIPCUB_304000_NS6detail27convert_result_type_wrapperIS8_S9_N2at6native12_GLOBAL__N_19CustomMinEEEEE10hipError_tPvRmT0_T1_jT2_SQ_T4_T3_P12ihipStream_tbEUlT_E_NS1_11comp_targetILNS1_3genE4ELNS1_11target_archE910ELNS1_3gpuE8ELNS1_3repE0EEENS1_30default_config_static_selectorELNS0_4arch9wavefront6targetE0EEEvSP_
    .private_segment_fixed_size: 0
    .sgpr_count:     0
    .sgpr_spill_count: 0
    .symbol:         _ZN7rocprim17ROCPRIM_400000_NS6detail17trampoline_kernelINS0_14default_configENS1_32segmented_reduce_config_selectorIfEEZNS1_21segmented_reduce_implIS3_PKfPfPKifN6hipcub16HIPCUB_304000_NS6detail27convert_result_type_wrapperIS8_S9_N2at6native12_GLOBAL__N_19CustomMinEEEEE10hipError_tPvRmT0_T1_jT2_SQ_T4_T3_P12ihipStream_tbEUlT_E_NS1_11comp_targetILNS1_3genE4ELNS1_11target_archE910ELNS1_3gpuE8ELNS1_3repE0EEENS1_30default_config_static_selectorELNS0_4arch9wavefront6targetE0EEEvSP_.kd
    .uniform_work_group_size: 1
    .uses_dynamic_stack: false
    .vgpr_count:     0
    .vgpr_spill_count: 0
    .wavefront_size: 32
  - .args:
      - .offset:         0
        .size:           48
        .value_kind:     by_value
    .group_segment_fixed_size: 0
    .kernarg_segment_align: 8
    .kernarg_segment_size: 48
    .language:       OpenCL C
    .language_version:
      - 2
      - 0
    .max_flat_workgroup_size: 256
    .name:           _ZN7rocprim17ROCPRIM_400000_NS6detail17trampoline_kernelINS0_14default_configENS1_32segmented_reduce_config_selectorIfEEZNS1_21segmented_reduce_implIS3_PKfPfPKifN6hipcub16HIPCUB_304000_NS6detail27convert_result_type_wrapperIS8_S9_N2at6native12_GLOBAL__N_19CustomMinEEEEE10hipError_tPvRmT0_T1_jT2_SQ_T4_T3_P12ihipStream_tbEUlT_E_NS1_11comp_targetILNS1_3genE3ELNS1_11target_archE908ELNS1_3gpuE7ELNS1_3repE0EEENS1_30default_config_static_selectorELNS0_4arch9wavefront6targetE0EEEvSP_
    .private_segment_fixed_size: 0
    .sgpr_count:     0
    .sgpr_spill_count: 0
    .symbol:         _ZN7rocprim17ROCPRIM_400000_NS6detail17trampoline_kernelINS0_14default_configENS1_32segmented_reduce_config_selectorIfEEZNS1_21segmented_reduce_implIS3_PKfPfPKifN6hipcub16HIPCUB_304000_NS6detail27convert_result_type_wrapperIS8_S9_N2at6native12_GLOBAL__N_19CustomMinEEEEE10hipError_tPvRmT0_T1_jT2_SQ_T4_T3_P12ihipStream_tbEUlT_E_NS1_11comp_targetILNS1_3genE3ELNS1_11target_archE908ELNS1_3gpuE7ELNS1_3repE0EEENS1_30default_config_static_selectorELNS0_4arch9wavefront6targetE0EEEvSP_.kd
    .uniform_work_group_size: 1
    .uses_dynamic_stack: false
    .vgpr_count:     0
    .vgpr_spill_count: 0
    .wavefront_size: 32
  - .args:
      - .offset:         0
        .size:           48
        .value_kind:     by_value
    .group_segment_fixed_size: 0
    .kernarg_segment_align: 8
    .kernarg_segment_size: 48
    .language:       OpenCL C
    .language_version:
      - 2
      - 0
    .max_flat_workgroup_size: 256
    .name:           _ZN7rocprim17ROCPRIM_400000_NS6detail17trampoline_kernelINS0_14default_configENS1_32segmented_reduce_config_selectorIfEEZNS1_21segmented_reduce_implIS3_PKfPfPKifN6hipcub16HIPCUB_304000_NS6detail27convert_result_type_wrapperIS8_S9_N2at6native12_GLOBAL__N_19CustomMinEEEEE10hipError_tPvRmT0_T1_jT2_SQ_T4_T3_P12ihipStream_tbEUlT_E_NS1_11comp_targetILNS1_3genE2ELNS1_11target_archE906ELNS1_3gpuE6ELNS1_3repE0EEENS1_30default_config_static_selectorELNS0_4arch9wavefront6targetE0EEEvSP_
    .private_segment_fixed_size: 0
    .sgpr_count:     0
    .sgpr_spill_count: 0
    .symbol:         _ZN7rocprim17ROCPRIM_400000_NS6detail17trampoline_kernelINS0_14default_configENS1_32segmented_reduce_config_selectorIfEEZNS1_21segmented_reduce_implIS3_PKfPfPKifN6hipcub16HIPCUB_304000_NS6detail27convert_result_type_wrapperIS8_S9_N2at6native12_GLOBAL__N_19CustomMinEEEEE10hipError_tPvRmT0_T1_jT2_SQ_T4_T3_P12ihipStream_tbEUlT_E_NS1_11comp_targetILNS1_3genE2ELNS1_11target_archE906ELNS1_3gpuE6ELNS1_3repE0EEENS1_30default_config_static_selectorELNS0_4arch9wavefront6targetE0EEEvSP_.kd
    .uniform_work_group_size: 1
    .uses_dynamic_stack: false
    .vgpr_count:     0
    .vgpr_spill_count: 0
    .wavefront_size: 32
  - .args:
      - .offset:         0
        .size:           48
        .value_kind:     by_value
    .group_segment_fixed_size: 0
    .kernarg_segment_align: 8
    .kernarg_segment_size: 48
    .language:       OpenCL C
    .language_version:
      - 2
      - 0
    .max_flat_workgroup_size: 256
    .name:           _ZN7rocprim17ROCPRIM_400000_NS6detail17trampoline_kernelINS0_14default_configENS1_32segmented_reduce_config_selectorIfEEZNS1_21segmented_reduce_implIS3_PKfPfPKifN6hipcub16HIPCUB_304000_NS6detail27convert_result_type_wrapperIS8_S9_N2at6native12_GLOBAL__N_19CustomMinEEEEE10hipError_tPvRmT0_T1_jT2_SQ_T4_T3_P12ihipStream_tbEUlT_E_NS1_11comp_targetILNS1_3genE9ELNS1_11target_archE1100ELNS1_3gpuE3ELNS1_3repE0EEENS1_30default_config_static_selectorELNS0_4arch9wavefront6targetE0EEEvSP_
    .private_segment_fixed_size: 0
    .sgpr_count:     0
    .sgpr_spill_count: 0
    .symbol:         _ZN7rocprim17ROCPRIM_400000_NS6detail17trampoline_kernelINS0_14default_configENS1_32segmented_reduce_config_selectorIfEEZNS1_21segmented_reduce_implIS3_PKfPfPKifN6hipcub16HIPCUB_304000_NS6detail27convert_result_type_wrapperIS8_S9_N2at6native12_GLOBAL__N_19CustomMinEEEEE10hipError_tPvRmT0_T1_jT2_SQ_T4_T3_P12ihipStream_tbEUlT_E_NS1_11comp_targetILNS1_3genE9ELNS1_11target_archE1100ELNS1_3gpuE3ELNS1_3repE0EEENS1_30default_config_static_selectorELNS0_4arch9wavefront6targetE0EEEvSP_.kd
    .uniform_work_group_size: 1
    .uses_dynamic_stack: false
    .vgpr_count:     0
    .vgpr_spill_count: 0
    .wavefront_size: 32
  - .args:
      - .offset:         0
        .size:           48
        .value_kind:     by_value
    .group_segment_fixed_size: 0
    .kernarg_segment_align: 8
    .kernarg_segment_size: 48
    .language:       OpenCL C
    .language_version:
      - 2
      - 0
    .max_flat_workgroup_size: 256
    .name:           _ZN7rocprim17ROCPRIM_400000_NS6detail17trampoline_kernelINS0_14default_configENS1_32segmented_reduce_config_selectorIfEEZNS1_21segmented_reduce_implIS3_PKfPfPKifN6hipcub16HIPCUB_304000_NS6detail27convert_result_type_wrapperIS8_S9_N2at6native12_GLOBAL__N_19CustomMinEEEEE10hipError_tPvRmT0_T1_jT2_SQ_T4_T3_P12ihipStream_tbEUlT_E_NS1_11comp_targetILNS1_3genE8ELNS1_11target_archE1030ELNS1_3gpuE2ELNS1_3repE0EEENS1_30default_config_static_selectorELNS0_4arch9wavefront6targetE0EEEvSP_
    .private_segment_fixed_size: 0
    .sgpr_count:     0
    .sgpr_spill_count: 0
    .symbol:         _ZN7rocprim17ROCPRIM_400000_NS6detail17trampoline_kernelINS0_14default_configENS1_32segmented_reduce_config_selectorIfEEZNS1_21segmented_reduce_implIS3_PKfPfPKifN6hipcub16HIPCUB_304000_NS6detail27convert_result_type_wrapperIS8_S9_N2at6native12_GLOBAL__N_19CustomMinEEEEE10hipError_tPvRmT0_T1_jT2_SQ_T4_T3_P12ihipStream_tbEUlT_E_NS1_11comp_targetILNS1_3genE8ELNS1_11target_archE1030ELNS1_3gpuE2ELNS1_3repE0EEENS1_30default_config_static_selectorELNS0_4arch9wavefront6targetE0EEEvSP_.kd
    .uniform_work_group_size: 1
    .uses_dynamic_stack: false
    .vgpr_count:     0
    .vgpr_spill_count: 0
    .wavefront_size: 32
  - .args:
      - .offset:         0
        .size:           48
        .value_kind:     by_value
    .group_segment_fixed_size: 32
    .kernarg_segment_align: 8
    .kernarg_segment_size: 48
    .language:       OpenCL C
    .language_version:
      - 2
      - 0
    .max_flat_workgroup_size: 256
    .name:           _ZN7rocprim17ROCPRIM_400000_NS6detail17trampoline_kernelINS0_14default_configENS1_32segmented_reduce_config_selectorIfEEZNS1_21segmented_reduce_implIS3_PKfPfPKifN6hipcub16HIPCUB_304000_NS6detail27convert_result_type_wrapperIS8_S9_N2at6native12_GLOBAL__N_110CustomProdEEEEE10hipError_tPvRmT0_T1_jT2_SQ_T4_T3_P12ihipStream_tbEUlT_E_NS1_11comp_targetILNS1_3genE0ELNS1_11target_archE4294967295ELNS1_3gpuE0ELNS1_3repE0EEENS1_30default_config_static_selectorELNS0_4arch9wavefront6targetE0EEEvSP_
    .private_segment_fixed_size: 0
    .sgpr_count:     32
    .sgpr_spill_count: 0
    .symbol:         _ZN7rocprim17ROCPRIM_400000_NS6detail17trampoline_kernelINS0_14default_configENS1_32segmented_reduce_config_selectorIfEEZNS1_21segmented_reduce_implIS3_PKfPfPKifN6hipcub16HIPCUB_304000_NS6detail27convert_result_type_wrapperIS8_S9_N2at6native12_GLOBAL__N_110CustomProdEEEEE10hipError_tPvRmT0_T1_jT2_SQ_T4_T3_P12ihipStream_tbEUlT_E_NS1_11comp_targetILNS1_3genE0ELNS1_11target_archE4294967295ELNS1_3gpuE0ELNS1_3repE0EEENS1_30default_config_static_selectorELNS0_4arch9wavefront6targetE0EEEvSP_.kd
    .uniform_work_group_size: 1
    .uses_dynamic_stack: false
    .vgpr_count:     24
    .vgpr_spill_count: 0
    .wavefront_size: 32
  - .args:
      - .offset:         0
        .size:           48
        .value_kind:     by_value
    .group_segment_fixed_size: 0
    .kernarg_segment_align: 8
    .kernarg_segment_size: 48
    .language:       OpenCL C
    .language_version:
      - 2
      - 0
    .max_flat_workgroup_size: 256
    .name:           _ZN7rocprim17ROCPRIM_400000_NS6detail17trampoline_kernelINS0_14default_configENS1_32segmented_reduce_config_selectorIfEEZNS1_21segmented_reduce_implIS3_PKfPfPKifN6hipcub16HIPCUB_304000_NS6detail27convert_result_type_wrapperIS8_S9_N2at6native12_GLOBAL__N_110CustomProdEEEEE10hipError_tPvRmT0_T1_jT2_SQ_T4_T3_P12ihipStream_tbEUlT_E_NS1_11comp_targetILNS1_3genE5ELNS1_11target_archE942ELNS1_3gpuE9ELNS1_3repE0EEENS1_30default_config_static_selectorELNS0_4arch9wavefront6targetE0EEEvSP_
    .private_segment_fixed_size: 0
    .sgpr_count:     0
    .sgpr_spill_count: 0
    .symbol:         _ZN7rocprim17ROCPRIM_400000_NS6detail17trampoline_kernelINS0_14default_configENS1_32segmented_reduce_config_selectorIfEEZNS1_21segmented_reduce_implIS3_PKfPfPKifN6hipcub16HIPCUB_304000_NS6detail27convert_result_type_wrapperIS8_S9_N2at6native12_GLOBAL__N_110CustomProdEEEEE10hipError_tPvRmT0_T1_jT2_SQ_T4_T3_P12ihipStream_tbEUlT_E_NS1_11comp_targetILNS1_3genE5ELNS1_11target_archE942ELNS1_3gpuE9ELNS1_3repE0EEENS1_30default_config_static_selectorELNS0_4arch9wavefront6targetE0EEEvSP_.kd
    .uniform_work_group_size: 1
    .uses_dynamic_stack: false
    .vgpr_count:     0
    .vgpr_spill_count: 0
    .wavefront_size: 32
  - .args:
      - .offset:         0
        .size:           48
        .value_kind:     by_value
    .group_segment_fixed_size: 0
    .kernarg_segment_align: 8
    .kernarg_segment_size: 48
    .language:       OpenCL C
    .language_version:
      - 2
      - 0
    .max_flat_workgroup_size: 256
    .name:           _ZN7rocprim17ROCPRIM_400000_NS6detail17trampoline_kernelINS0_14default_configENS1_32segmented_reduce_config_selectorIfEEZNS1_21segmented_reduce_implIS3_PKfPfPKifN6hipcub16HIPCUB_304000_NS6detail27convert_result_type_wrapperIS8_S9_N2at6native12_GLOBAL__N_110CustomProdEEEEE10hipError_tPvRmT0_T1_jT2_SQ_T4_T3_P12ihipStream_tbEUlT_E_NS1_11comp_targetILNS1_3genE10ELNS1_11target_archE1201ELNS1_3gpuE5ELNS1_3repE0EEENS1_30default_config_static_selectorELNS0_4arch9wavefront6targetE0EEEvSP_
    .private_segment_fixed_size: 0
    .sgpr_count:     0
    .sgpr_spill_count: 0
    .symbol:         _ZN7rocprim17ROCPRIM_400000_NS6detail17trampoline_kernelINS0_14default_configENS1_32segmented_reduce_config_selectorIfEEZNS1_21segmented_reduce_implIS3_PKfPfPKifN6hipcub16HIPCUB_304000_NS6detail27convert_result_type_wrapperIS8_S9_N2at6native12_GLOBAL__N_110CustomProdEEEEE10hipError_tPvRmT0_T1_jT2_SQ_T4_T3_P12ihipStream_tbEUlT_E_NS1_11comp_targetILNS1_3genE10ELNS1_11target_archE1201ELNS1_3gpuE5ELNS1_3repE0EEENS1_30default_config_static_selectorELNS0_4arch9wavefront6targetE0EEEvSP_.kd
    .uniform_work_group_size: 1
    .uses_dynamic_stack: false
    .vgpr_count:     0
    .vgpr_spill_count: 0
    .wavefront_size: 32
  - .args:
      - .offset:         0
        .size:           48
        .value_kind:     by_value
    .group_segment_fixed_size: 0
    .kernarg_segment_align: 8
    .kernarg_segment_size: 48
    .language:       OpenCL C
    .language_version:
      - 2
      - 0
    .max_flat_workgroup_size: 256
    .name:           _ZN7rocprim17ROCPRIM_400000_NS6detail17trampoline_kernelINS0_14default_configENS1_32segmented_reduce_config_selectorIfEEZNS1_21segmented_reduce_implIS3_PKfPfPKifN6hipcub16HIPCUB_304000_NS6detail27convert_result_type_wrapperIS8_S9_N2at6native12_GLOBAL__N_110CustomProdEEEEE10hipError_tPvRmT0_T1_jT2_SQ_T4_T3_P12ihipStream_tbEUlT_E_NS1_11comp_targetILNS1_3genE4ELNS1_11target_archE910ELNS1_3gpuE8ELNS1_3repE0EEENS1_30default_config_static_selectorELNS0_4arch9wavefront6targetE0EEEvSP_
    .private_segment_fixed_size: 0
    .sgpr_count:     0
    .sgpr_spill_count: 0
    .symbol:         _ZN7rocprim17ROCPRIM_400000_NS6detail17trampoline_kernelINS0_14default_configENS1_32segmented_reduce_config_selectorIfEEZNS1_21segmented_reduce_implIS3_PKfPfPKifN6hipcub16HIPCUB_304000_NS6detail27convert_result_type_wrapperIS8_S9_N2at6native12_GLOBAL__N_110CustomProdEEEEE10hipError_tPvRmT0_T1_jT2_SQ_T4_T3_P12ihipStream_tbEUlT_E_NS1_11comp_targetILNS1_3genE4ELNS1_11target_archE910ELNS1_3gpuE8ELNS1_3repE0EEENS1_30default_config_static_selectorELNS0_4arch9wavefront6targetE0EEEvSP_.kd
    .uniform_work_group_size: 1
    .uses_dynamic_stack: false
    .vgpr_count:     0
    .vgpr_spill_count: 0
    .wavefront_size: 32
  - .args:
      - .offset:         0
        .size:           48
        .value_kind:     by_value
    .group_segment_fixed_size: 0
    .kernarg_segment_align: 8
    .kernarg_segment_size: 48
    .language:       OpenCL C
    .language_version:
      - 2
      - 0
    .max_flat_workgroup_size: 256
    .name:           _ZN7rocprim17ROCPRIM_400000_NS6detail17trampoline_kernelINS0_14default_configENS1_32segmented_reduce_config_selectorIfEEZNS1_21segmented_reduce_implIS3_PKfPfPKifN6hipcub16HIPCUB_304000_NS6detail27convert_result_type_wrapperIS8_S9_N2at6native12_GLOBAL__N_110CustomProdEEEEE10hipError_tPvRmT0_T1_jT2_SQ_T4_T3_P12ihipStream_tbEUlT_E_NS1_11comp_targetILNS1_3genE3ELNS1_11target_archE908ELNS1_3gpuE7ELNS1_3repE0EEENS1_30default_config_static_selectorELNS0_4arch9wavefront6targetE0EEEvSP_
    .private_segment_fixed_size: 0
    .sgpr_count:     0
    .sgpr_spill_count: 0
    .symbol:         _ZN7rocprim17ROCPRIM_400000_NS6detail17trampoline_kernelINS0_14default_configENS1_32segmented_reduce_config_selectorIfEEZNS1_21segmented_reduce_implIS3_PKfPfPKifN6hipcub16HIPCUB_304000_NS6detail27convert_result_type_wrapperIS8_S9_N2at6native12_GLOBAL__N_110CustomProdEEEEE10hipError_tPvRmT0_T1_jT2_SQ_T4_T3_P12ihipStream_tbEUlT_E_NS1_11comp_targetILNS1_3genE3ELNS1_11target_archE908ELNS1_3gpuE7ELNS1_3repE0EEENS1_30default_config_static_selectorELNS0_4arch9wavefront6targetE0EEEvSP_.kd
    .uniform_work_group_size: 1
    .uses_dynamic_stack: false
    .vgpr_count:     0
    .vgpr_spill_count: 0
    .wavefront_size: 32
  - .args:
      - .offset:         0
        .size:           48
        .value_kind:     by_value
    .group_segment_fixed_size: 0
    .kernarg_segment_align: 8
    .kernarg_segment_size: 48
    .language:       OpenCL C
    .language_version:
      - 2
      - 0
    .max_flat_workgroup_size: 256
    .name:           _ZN7rocprim17ROCPRIM_400000_NS6detail17trampoline_kernelINS0_14default_configENS1_32segmented_reduce_config_selectorIfEEZNS1_21segmented_reduce_implIS3_PKfPfPKifN6hipcub16HIPCUB_304000_NS6detail27convert_result_type_wrapperIS8_S9_N2at6native12_GLOBAL__N_110CustomProdEEEEE10hipError_tPvRmT0_T1_jT2_SQ_T4_T3_P12ihipStream_tbEUlT_E_NS1_11comp_targetILNS1_3genE2ELNS1_11target_archE906ELNS1_3gpuE6ELNS1_3repE0EEENS1_30default_config_static_selectorELNS0_4arch9wavefront6targetE0EEEvSP_
    .private_segment_fixed_size: 0
    .sgpr_count:     0
    .sgpr_spill_count: 0
    .symbol:         _ZN7rocprim17ROCPRIM_400000_NS6detail17trampoline_kernelINS0_14default_configENS1_32segmented_reduce_config_selectorIfEEZNS1_21segmented_reduce_implIS3_PKfPfPKifN6hipcub16HIPCUB_304000_NS6detail27convert_result_type_wrapperIS8_S9_N2at6native12_GLOBAL__N_110CustomProdEEEEE10hipError_tPvRmT0_T1_jT2_SQ_T4_T3_P12ihipStream_tbEUlT_E_NS1_11comp_targetILNS1_3genE2ELNS1_11target_archE906ELNS1_3gpuE6ELNS1_3repE0EEENS1_30default_config_static_selectorELNS0_4arch9wavefront6targetE0EEEvSP_.kd
    .uniform_work_group_size: 1
    .uses_dynamic_stack: false
    .vgpr_count:     0
    .vgpr_spill_count: 0
    .wavefront_size: 32
  - .args:
      - .offset:         0
        .size:           48
        .value_kind:     by_value
    .group_segment_fixed_size: 0
    .kernarg_segment_align: 8
    .kernarg_segment_size: 48
    .language:       OpenCL C
    .language_version:
      - 2
      - 0
    .max_flat_workgroup_size: 256
    .name:           _ZN7rocprim17ROCPRIM_400000_NS6detail17trampoline_kernelINS0_14default_configENS1_32segmented_reduce_config_selectorIfEEZNS1_21segmented_reduce_implIS3_PKfPfPKifN6hipcub16HIPCUB_304000_NS6detail27convert_result_type_wrapperIS8_S9_N2at6native12_GLOBAL__N_110CustomProdEEEEE10hipError_tPvRmT0_T1_jT2_SQ_T4_T3_P12ihipStream_tbEUlT_E_NS1_11comp_targetILNS1_3genE9ELNS1_11target_archE1100ELNS1_3gpuE3ELNS1_3repE0EEENS1_30default_config_static_selectorELNS0_4arch9wavefront6targetE0EEEvSP_
    .private_segment_fixed_size: 0
    .sgpr_count:     0
    .sgpr_spill_count: 0
    .symbol:         _ZN7rocprim17ROCPRIM_400000_NS6detail17trampoline_kernelINS0_14default_configENS1_32segmented_reduce_config_selectorIfEEZNS1_21segmented_reduce_implIS3_PKfPfPKifN6hipcub16HIPCUB_304000_NS6detail27convert_result_type_wrapperIS8_S9_N2at6native12_GLOBAL__N_110CustomProdEEEEE10hipError_tPvRmT0_T1_jT2_SQ_T4_T3_P12ihipStream_tbEUlT_E_NS1_11comp_targetILNS1_3genE9ELNS1_11target_archE1100ELNS1_3gpuE3ELNS1_3repE0EEENS1_30default_config_static_selectorELNS0_4arch9wavefront6targetE0EEEvSP_.kd
    .uniform_work_group_size: 1
    .uses_dynamic_stack: false
    .vgpr_count:     0
    .vgpr_spill_count: 0
    .wavefront_size: 32
  - .args:
      - .offset:         0
        .size:           48
        .value_kind:     by_value
    .group_segment_fixed_size: 0
    .kernarg_segment_align: 8
    .kernarg_segment_size: 48
    .language:       OpenCL C
    .language_version:
      - 2
      - 0
    .max_flat_workgroup_size: 256
    .name:           _ZN7rocprim17ROCPRIM_400000_NS6detail17trampoline_kernelINS0_14default_configENS1_32segmented_reduce_config_selectorIfEEZNS1_21segmented_reduce_implIS3_PKfPfPKifN6hipcub16HIPCUB_304000_NS6detail27convert_result_type_wrapperIS8_S9_N2at6native12_GLOBAL__N_110CustomProdEEEEE10hipError_tPvRmT0_T1_jT2_SQ_T4_T3_P12ihipStream_tbEUlT_E_NS1_11comp_targetILNS1_3genE8ELNS1_11target_archE1030ELNS1_3gpuE2ELNS1_3repE0EEENS1_30default_config_static_selectorELNS0_4arch9wavefront6targetE0EEEvSP_
    .private_segment_fixed_size: 0
    .sgpr_count:     0
    .sgpr_spill_count: 0
    .symbol:         _ZN7rocprim17ROCPRIM_400000_NS6detail17trampoline_kernelINS0_14default_configENS1_32segmented_reduce_config_selectorIfEEZNS1_21segmented_reduce_implIS3_PKfPfPKifN6hipcub16HIPCUB_304000_NS6detail27convert_result_type_wrapperIS8_S9_N2at6native12_GLOBAL__N_110CustomProdEEEEE10hipError_tPvRmT0_T1_jT2_SQ_T4_T3_P12ihipStream_tbEUlT_E_NS1_11comp_targetILNS1_3genE8ELNS1_11target_archE1030ELNS1_3gpuE2ELNS1_3repE0EEENS1_30default_config_static_selectorELNS0_4arch9wavefront6targetE0EEEvSP_.kd
    .uniform_work_group_size: 1
    .uses_dynamic_stack: false
    .vgpr_count:     0
    .vgpr_spill_count: 0
    .wavefront_size: 32
  - .args:
      - .offset:         0
        .size:           4
        .value_kind:     by_value
      - .address_space:  global
        .offset:         8
        .size:           8
        .value_kind:     global_buffer
      - .address_space:  global
        .offset:         16
        .size:           8
        .value_kind:     global_buffer
      - .address_space:  global
        .offset:         24
        .size:           8
        .value_kind:     global_buffer
      - .address_space:  global
        .offset:         32
        .size:           8
        .value_kind:     global_buffer
      - .offset:         40
        .size:           8
        .value_kind:     by_value
      - .offset:         48
        .size:           8
        .value_kind:     by_value
      - .offset:         56
        .size:           1
        .value_kind:     by_value
      - .offset:         58
        .size:           2
        .value_kind:     by_value
      - .offset:         64
        .size:           8
        .value_kind:     by_value
      - .offset:         72
        .size:           8
        .value_kind:     by_value
      - .offset:         80
        .size:           8
        .value_kind:     by_value
      - .offset:         88
        .size:           8
        .value_kind:     by_value
      - .offset:         96
        .size:           8
        .value_kind:     by_value
      - .offset:         104
        .size:           8
        .value_kind:     by_value
      - .offset:         112
        .size:           8
        .value_kind:     by_value
      - .offset:         120
        .size:           4
        .value_kind:     hidden_block_count_x
      - .offset:         124
        .size:           4
        .value_kind:     hidden_block_count_y
      - .offset:         128
        .size:           4
        .value_kind:     hidden_block_count_z
      - .offset:         132
        .size:           2
        .value_kind:     hidden_group_size_x
      - .offset:         134
        .size:           2
        .value_kind:     hidden_group_size_y
      - .offset:         136
        .size:           2
        .value_kind:     hidden_group_size_z
      - .offset:         138
        .size:           2
        .value_kind:     hidden_remainder_x
      - .offset:         140
        .size:           2
        .value_kind:     hidden_remainder_y
      - .offset:         142
        .size:           2
        .value_kind:     hidden_remainder_z
      - .offset:         160
        .size:           8
        .value_kind:     hidden_global_offset_x
      - .offset:         168
        .size:           8
        .value_kind:     hidden_global_offset_y
      - .offset:         176
        .size:           8
        .value_kind:     hidden_global_offset_z
      - .offset:         184
        .size:           2
        .value_kind:     hidden_grid_dims
    .group_segment_fixed_size: 0
    .kernarg_segment_align: 8
    .kernarg_segment_size: 376
    .language:       OpenCL C
    .language_version:
      - 2
      - 0
    .max_flat_workgroup_size: 1024
    .name:           _ZN2at6native12_GLOBAL__N_129segment_reduce_forward_kernelIN3c104HalfEiEEvNS0_13ReductionTypeEPT_PKS6_PKT0_SC_llbS6_lllllll
    .private_segment_fixed_size: 0
    .sgpr_count:     46
    .sgpr_spill_count: 0
    .symbol:         _ZN2at6native12_GLOBAL__N_129segment_reduce_forward_kernelIN3c104HalfEiEEvNS0_13ReductionTypeEPT_PKS6_PKT0_SC_llbS6_lllllll.kd
    .uniform_work_group_size: 1
    .uses_dynamic_stack: false
    .vgpr_count:     20
    .vgpr_spill_count: 0
    .wavefront_size: 32
  - .args:
      - .offset:         0
        .size:           48
        .value_kind:     by_value
    .group_segment_fixed_size: 16
    .kernarg_segment_align: 8
    .kernarg_segment_size: 48
    .language:       OpenCL C
    .language_version:
      - 2
      - 0
    .max_flat_workgroup_size: 256
    .name:           _ZN7rocprim17ROCPRIM_400000_NS6detail17trampoline_kernelINS0_14default_configENS1_32segmented_reduce_config_selectorIN3c104HalfEEEZNS1_21segmented_reduce_implIS3_PKS6_PS6_PKiS6_N6hipcub16HIPCUB_304000_NS6detail27convert_result_type_wrapperISA_SB_N2at6native12_GLOBAL__N_19CustomMaxEEEEE10hipError_tPvRmT0_T1_jT2_SS_T4_T3_P12ihipStream_tbEUlT_E_NS1_11comp_targetILNS1_3genE0ELNS1_11target_archE4294967295ELNS1_3gpuE0ELNS1_3repE0EEENS1_30default_config_static_selectorELNS0_4arch9wavefront6targetE0EEEvSR_
    .private_segment_fixed_size: 0
    .sgpr_count:     32
    .sgpr_spill_count: 0
    .symbol:         _ZN7rocprim17ROCPRIM_400000_NS6detail17trampoline_kernelINS0_14default_configENS1_32segmented_reduce_config_selectorIN3c104HalfEEEZNS1_21segmented_reduce_implIS3_PKS6_PS6_PKiS6_N6hipcub16HIPCUB_304000_NS6detail27convert_result_type_wrapperISA_SB_N2at6native12_GLOBAL__N_19CustomMaxEEEEE10hipError_tPvRmT0_T1_jT2_SS_T4_T3_P12ihipStream_tbEUlT_E_NS1_11comp_targetILNS1_3genE0ELNS1_11target_archE4294967295ELNS1_3gpuE0ELNS1_3repE0EEENS1_30default_config_static_selectorELNS0_4arch9wavefront6targetE0EEEvSR_.kd
    .uniform_work_group_size: 1
    .uses_dynamic_stack: false
    .vgpr_count:     24
    .vgpr_spill_count: 0
    .wavefront_size: 32
  - .args:
      - .offset:         0
        .size:           48
        .value_kind:     by_value
    .group_segment_fixed_size: 0
    .kernarg_segment_align: 8
    .kernarg_segment_size: 48
    .language:       OpenCL C
    .language_version:
      - 2
      - 0
    .max_flat_workgroup_size: 256
    .name:           _ZN7rocprim17ROCPRIM_400000_NS6detail17trampoline_kernelINS0_14default_configENS1_32segmented_reduce_config_selectorIN3c104HalfEEEZNS1_21segmented_reduce_implIS3_PKS6_PS6_PKiS6_N6hipcub16HIPCUB_304000_NS6detail27convert_result_type_wrapperISA_SB_N2at6native12_GLOBAL__N_19CustomMaxEEEEE10hipError_tPvRmT0_T1_jT2_SS_T4_T3_P12ihipStream_tbEUlT_E_NS1_11comp_targetILNS1_3genE5ELNS1_11target_archE942ELNS1_3gpuE9ELNS1_3repE0EEENS1_30default_config_static_selectorELNS0_4arch9wavefront6targetE0EEEvSR_
    .private_segment_fixed_size: 0
    .sgpr_count:     0
    .sgpr_spill_count: 0
    .symbol:         _ZN7rocprim17ROCPRIM_400000_NS6detail17trampoline_kernelINS0_14default_configENS1_32segmented_reduce_config_selectorIN3c104HalfEEEZNS1_21segmented_reduce_implIS3_PKS6_PS6_PKiS6_N6hipcub16HIPCUB_304000_NS6detail27convert_result_type_wrapperISA_SB_N2at6native12_GLOBAL__N_19CustomMaxEEEEE10hipError_tPvRmT0_T1_jT2_SS_T4_T3_P12ihipStream_tbEUlT_E_NS1_11comp_targetILNS1_3genE5ELNS1_11target_archE942ELNS1_3gpuE9ELNS1_3repE0EEENS1_30default_config_static_selectorELNS0_4arch9wavefront6targetE0EEEvSR_.kd
    .uniform_work_group_size: 1
    .uses_dynamic_stack: false
    .vgpr_count:     0
    .vgpr_spill_count: 0
    .wavefront_size: 32
  - .args:
      - .offset:         0
        .size:           48
        .value_kind:     by_value
    .group_segment_fixed_size: 0
    .kernarg_segment_align: 8
    .kernarg_segment_size: 48
    .language:       OpenCL C
    .language_version:
      - 2
      - 0
    .max_flat_workgroup_size: 256
    .name:           _ZN7rocprim17ROCPRIM_400000_NS6detail17trampoline_kernelINS0_14default_configENS1_32segmented_reduce_config_selectorIN3c104HalfEEEZNS1_21segmented_reduce_implIS3_PKS6_PS6_PKiS6_N6hipcub16HIPCUB_304000_NS6detail27convert_result_type_wrapperISA_SB_N2at6native12_GLOBAL__N_19CustomMaxEEEEE10hipError_tPvRmT0_T1_jT2_SS_T4_T3_P12ihipStream_tbEUlT_E_NS1_11comp_targetILNS1_3genE10ELNS1_11target_archE1201ELNS1_3gpuE5ELNS1_3repE0EEENS1_30default_config_static_selectorELNS0_4arch9wavefront6targetE0EEEvSR_
    .private_segment_fixed_size: 0
    .sgpr_count:     0
    .sgpr_spill_count: 0
    .symbol:         _ZN7rocprim17ROCPRIM_400000_NS6detail17trampoline_kernelINS0_14default_configENS1_32segmented_reduce_config_selectorIN3c104HalfEEEZNS1_21segmented_reduce_implIS3_PKS6_PS6_PKiS6_N6hipcub16HIPCUB_304000_NS6detail27convert_result_type_wrapperISA_SB_N2at6native12_GLOBAL__N_19CustomMaxEEEEE10hipError_tPvRmT0_T1_jT2_SS_T4_T3_P12ihipStream_tbEUlT_E_NS1_11comp_targetILNS1_3genE10ELNS1_11target_archE1201ELNS1_3gpuE5ELNS1_3repE0EEENS1_30default_config_static_selectorELNS0_4arch9wavefront6targetE0EEEvSR_.kd
    .uniform_work_group_size: 1
    .uses_dynamic_stack: false
    .vgpr_count:     0
    .vgpr_spill_count: 0
    .wavefront_size: 32
  - .args:
      - .offset:         0
        .size:           48
        .value_kind:     by_value
    .group_segment_fixed_size: 0
    .kernarg_segment_align: 8
    .kernarg_segment_size: 48
    .language:       OpenCL C
    .language_version:
      - 2
      - 0
    .max_flat_workgroup_size: 256
    .name:           _ZN7rocprim17ROCPRIM_400000_NS6detail17trampoline_kernelINS0_14default_configENS1_32segmented_reduce_config_selectorIN3c104HalfEEEZNS1_21segmented_reduce_implIS3_PKS6_PS6_PKiS6_N6hipcub16HIPCUB_304000_NS6detail27convert_result_type_wrapperISA_SB_N2at6native12_GLOBAL__N_19CustomMaxEEEEE10hipError_tPvRmT0_T1_jT2_SS_T4_T3_P12ihipStream_tbEUlT_E_NS1_11comp_targetILNS1_3genE4ELNS1_11target_archE910ELNS1_3gpuE8ELNS1_3repE0EEENS1_30default_config_static_selectorELNS0_4arch9wavefront6targetE0EEEvSR_
    .private_segment_fixed_size: 0
    .sgpr_count:     0
    .sgpr_spill_count: 0
    .symbol:         _ZN7rocprim17ROCPRIM_400000_NS6detail17trampoline_kernelINS0_14default_configENS1_32segmented_reduce_config_selectorIN3c104HalfEEEZNS1_21segmented_reduce_implIS3_PKS6_PS6_PKiS6_N6hipcub16HIPCUB_304000_NS6detail27convert_result_type_wrapperISA_SB_N2at6native12_GLOBAL__N_19CustomMaxEEEEE10hipError_tPvRmT0_T1_jT2_SS_T4_T3_P12ihipStream_tbEUlT_E_NS1_11comp_targetILNS1_3genE4ELNS1_11target_archE910ELNS1_3gpuE8ELNS1_3repE0EEENS1_30default_config_static_selectorELNS0_4arch9wavefront6targetE0EEEvSR_.kd
    .uniform_work_group_size: 1
    .uses_dynamic_stack: false
    .vgpr_count:     0
    .vgpr_spill_count: 0
    .wavefront_size: 32
  - .args:
      - .offset:         0
        .size:           48
        .value_kind:     by_value
    .group_segment_fixed_size: 0
    .kernarg_segment_align: 8
    .kernarg_segment_size: 48
    .language:       OpenCL C
    .language_version:
      - 2
      - 0
    .max_flat_workgroup_size: 256
    .name:           _ZN7rocprim17ROCPRIM_400000_NS6detail17trampoline_kernelINS0_14default_configENS1_32segmented_reduce_config_selectorIN3c104HalfEEEZNS1_21segmented_reduce_implIS3_PKS6_PS6_PKiS6_N6hipcub16HIPCUB_304000_NS6detail27convert_result_type_wrapperISA_SB_N2at6native12_GLOBAL__N_19CustomMaxEEEEE10hipError_tPvRmT0_T1_jT2_SS_T4_T3_P12ihipStream_tbEUlT_E_NS1_11comp_targetILNS1_3genE3ELNS1_11target_archE908ELNS1_3gpuE7ELNS1_3repE0EEENS1_30default_config_static_selectorELNS0_4arch9wavefront6targetE0EEEvSR_
    .private_segment_fixed_size: 0
    .sgpr_count:     0
    .sgpr_spill_count: 0
    .symbol:         _ZN7rocprim17ROCPRIM_400000_NS6detail17trampoline_kernelINS0_14default_configENS1_32segmented_reduce_config_selectorIN3c104HalfEEEZNS1_21segmented_reduce_implIS3_PKS6_PS6_PKiS6_N6hipcub16HIPCUB_304000_NS6detail27convert_result_type_wrapperISA_SB_N2at6native12_GLOBAL__N_19CustomMaxEEEEE10hipError_tPvRmT0_T1_jT2_SS_T4_T3_P12ihipStream_tbEUlT_E_NS1_11comp_targetILNS1_3genE3ELNS1_11target_archE908ELNS1_3gpuE7ELNS1_3repE0EEENS1_30default_config_static_selectorELNS0_4arch9wavefront6targetE0EEEvSR_.kd
    .uniform_work_group_size: 1
    .uses_dynamic_stack: false
    .vgpr_count:     0
    .vgpr_spill_count: 0
    .wavefront_size: 32
  - .args:
      - .offset:         0
        .size:           48
        .value_kind:     by_value
    .group_segment_fixed_size: 0
    .kernarg_segment_align: 8
    .kernarg_segment_size: 48
    .language:       OpenCL C
    .language_version:
      - 2
      - 0
    .max_flat_workgroup_size: 256
    .name:           _ZN7rocprim17ROCPRIM_400000_NS6detail17trampoline_kernelINS0_14default_configENS1_32segmented_reduce_config_selectorIN3c104HalfEEEZNS1_21segmented_reduce_implIS3_PKS6_PS6_PKiS6_N6hipcub16HIPCUB_304000_NS6detail27convert_result_type_wrapperISA_SB_N2at6native12_GLOBAL__N_19CustomMaxEEEEE10hipError_tPvRmT0_T1_jT2_SS_T4_T3_P12ihipStream_tbEUlT_E_NS1_11comp_targetILNS1_3genE2ELNS1_11target_archE906ELNS1_3gpuE6ELNS1_3repE0EEENS1_30default_config_static_selectorELNS0_4arch9wavefront6targetE0EEEvSR_
    .private_segment_fixed_size: 0
    .sgpr_count:     0
    .sgpr_spill_count: 0
    .symbol:         _ZN7rocprim17ROCPRIM_400000_NS6detail17trampoline_kernelINS0_14default_configENS1_32segmented_reduce_config_selectorIN3c104HalfEEEZNS1_21segmented_reduce_implIS3_PKS6_PS6_PKiS6_N6hipcub16HIPCUB_304000_NS6detail27convert_result_type_wrapperISA_SB_N2at6native12_GLOBAL__N_19CustomMaxEEEEE10hipError_tPvRmT0_T1_jT2_SS_T4_T3_P12ihipStream_tbEUlT_E_NS1_11comp_targetILNS1_3genE2ELNS1_11target_archE906ELNS1_3gpuE6ELNS1_3repE0EEENS1_30default_config_static_selectorELNS0_4arch9wavefront6targetE0EEEvSR_.kd
    .uniform_work_group_size: 1
    .uses_dynamic_stack: false
    .vgpr_count:     0
    .vgpr_spill_count: 0
    .wavefront_size: 32
  - .args:
      - .offset:         0
        .size:           48
        .value_kind:     by_value
    .group_segment_fixed_size: 0
    .kernarg_segment_align: 8
    .kernarg_segment_size: 48
    .language:       OpenCL C
    .language_version:
      - 2
      - 0
    .max_flat_workgroup_size: 256
    .name:           _ZN7rocprim17ROCPRIM_400000_NS6detail17trampoline_kernelINS0_14default_configENS1_32segmented_reduce_config_selectorIN3c104HalfEEEZNS1_21segmented_reduce_implIS3_PKS6_PS6_PKiS6_N6hipcub16HIPCUB_304000_NS6detail27convert_result_type_wrapperISA_SB_N2at6native12_GLOBAL__N_19CustomMaxEEEEE10hipError_tPvRmT0_T1_jT2_SS_T4_T3_P12ihipStream_tbEUlT_E_NS1_11comp_targetILNS1_3genE9ELNS1_11target_archE1100ELNS1_3gpuE3ELNS1_3repE0EEENS1_30default_config_static_selectorELNS0_4arch9wavefront6targetE0EEEvSR_
    .private_segment_fixed_size: 0
    .sgpr_count:     0
    .sgpr_spill_count: 0
    .symbol:         _ZN7rocprim17ROCPRIM_400000_NS6detail17trampoline_kernelINS0_14default_configENS1_32segmented_reduce_config_selectorIN3c104HalfEEEZNS1_21segmented_reduce_implIS3_PKS6_PS6_PKiS6_N6hipcub16HIPCUB_304000_NS6detail27convert_result_type_wrapperISA_SB_N2at6native12_GLOBAL__N_19CustomMaxEEEEE10hipError_tPvRmT0_T1_jT2_SS_T4_T3_P12ihipStream_tbEUlT_E_NS1_11comp_targetILNS1_3genE9ELNS1_11target_archE1100ELNS1_3gpuE3ELNS1_3repE0EEENS1_30default_config_static_selectorELNS0_4arch9wavefront6targetE0EEEvSR_.kd
    .uniform_work_group_size: 1
    .uses_dynamic_stack: false
    .vgpr_count:     0
    .vgpr_spill_count: 0
    .wavefront_size: 32
  - .args:
      - .offset:         0
        .size:           48
        .value_kind:     by_value
    .group_segment_fixed_size: 0
    .kernarg_segment_align: 8
    .kernarg_segment_size: 48
    .language:       OpenCL C
    .language_version:
      - 2
      - 0
    .max_flat_workgroup_size: 256
    .name:           _ZN7rocprim17ROCPRIM_400000_NS6detail17trampoline_kernelINS0_14default_configENS1_32segmented_reduce_config_selectorIN3c104HalfEEEZNS1_21segmented_reduce_implIS3_PKS6_PS6_PKiS6_N6hipcub16HIPCUB_304000_NS6detail27convert_result_type_wrapperISA_SB_N2at6native12_GLOBAL__N_19CustomMaxEEEEE10hipError_tPvRmT0_T1_jT2_SS_T4_T3_P12ihipStream_tbEUlT_E_NS1_11comp_targetILNS1_3genE8ELNS1_11target_archE1030ELNS1_3gpuE2ELNS1_3repE0EEENS1_30default_config_static_selectorELNS0_4arch9wavefront6targetE0EEEvSR_
    .private_segment_fixed_size: 0
    .sgpr_count:     0
    .sgpr_spill_count: 0
    .symbol:         _ZN7rocprim17ROCPRIM_400000_NS6detail17trampoline_kernelINS0_14default_configENS1_32segmented_reduce_config_selectorIN3c104HalfEEEZNS1_21segmented_reduce_implIS3_PKS6_PS6_PKiS6_N6hipcub16HIPCUB_304000_NS6detail27convert_result_type_wrapperISA_SB_N2at6native12_GLOBAL__N_19CustomMaxEEEEE10hipError_tPvRmT0_T1_jT2_SS_T4_T3_P12ihipStream_tbEUlT_E_NS1_11comp_targetILNS1_3genE8ELNS1_11target_archE1030ELNS1_3gpuE2ELNS1_3repE0EEENS1_30default_config_static_selectorELNS0_4arch9wavefront6targetE0EEEvSR_.kd
    .uniform_work_group_size: 1
    .uses_dynamic_stack: false
    .vgpr_count:     0
    .vgpr_spill_count: 0
    .wavefront_size: 32
  - .args:
      - .offset:         0
        .size:           48
        .value_kind:     by_value
    .group_segment_fixed_size: 16
    .kernarg_segment_align: 8
    .kernarg_segment_size: 48
    .language:       OpenCL C
    .language_version:
      - 2
      - 0
    .max_flat_workgroup_size: 256
    .name:           _ZN7rocprim17ROCPRIM_400000_NS6detail17trampoline_kernelINS0_14default_configENS1_32segmented_reduce_config_selectorIN3c104HalfEEEZNS1_21segmented_reduce_implIS3_PKS6_PS6_PKiS6_N6hipcub16HIPCUB_304000_NS6detail27convert_result_type_wrapperISA_SB_N2at6native12_GLOBAL__N_19CustomSumEEEEE10hipError_tPvRmT0_T1_jT2_SS_T4_T3_P12ihipStream_tbEUlT_E_NS1_11comp_targetILNS1_3genE0ELNS1_11target_archE4294967295ELNS1_3gpuE0ELNS1_3repE0EEENS1_30default_config_static_selectorELNS0_4arch9wavefront6targetE0EEEvSR_
    .private_segment_fixed_size: 0
    .sgpr_count:     28
    .sgpr_spill_count: 0
    .symbol:         _ZN7rocprim17ROCPRIM_400000_NS6detail17trampoline_kernelINS0_14default_configENS1_32segmented_reduce_config_selectorIN3c104HalfEEEZNS1_21segmented_reduce_implIS3_PKS6_PS6_PKiS6_N6hipcub16HIPCUB_304000_NS6detail27convert_result_type_wrapperISA_SB_N2at6native12_GLOBAL__N_19CustomSumEEEEE10hipError_tPvRmT0_T1_jT2_SS_T4_T3_P12ihipStream_tbEUlT_E_NS1_11comp_targetILNS1_3genE0ELNS1_11target_archE4294967295ELNS1_3gpuE0ELNS1_3repE0EEENS1_30default_config_static_selectorELNS0_4arch9wavefront6targetE0EEEvSR_.kd
    .uniform_work_group_size: 1
    .uses_dynamic_stack: false
    .vgpr_count:     24
    .vgpr_spill_count: 0
    .wavefront_size: 32
  - .args:
      - .offset:         0
        .size:           48
        .value_kind:     by_value
    .group_segment_fixed_size: 0
    .kernarg_segment_align: 8
    .kernarg_segment_size: 48
    .language:       OpenCL C
    .language_version:
      - 2
      - 0
    .max_flat_workgroup_size: 256
    .name:           _ZN7rocprim17ROCPRIM_400000_NS6detail17trampoline_kernelINS0_14default_configENS1_32segmented_reduce_config_selectorIN3c104HalfEEEZNS1_21segmented_reduce_implIS3_PKS6_PS6_PKiS6_N6hipcub16HIPCUB_304000_NS6detail27convert_result_type_wrapperISA_SB_N2at6native12_GLOBAL__N_19CustomSumEEEEE10hipError_tPvRmT0_T1_jT2_SS_T4_T3_P12ihipStream_tbEUlT_E_NS1_11comp_targetILNS1_3genE5ELNS1_11target_archE942ELNS1_3gpuE9ELNS1_3repE0EEENS1_30default_config_static_selectorELNS0_4arch9wavefront6targetE0EEEvSR_
    .private_segment_fixed_size: 0
    .sgpr_count:     0
    .sgpr_spill_count: 0
    .symbol:         _ZN7rocprim17ROCPRIM_400000_NS6detail17trampoline_kernelINS0_14default_configENS1_32segmented_reduce_config_selectorIN3c104HalfEEEZNS1_21segmented_reduce_implIS3_PKS6_PS6_PKiS6_N6hipcub16HIPCUB_304000_NS6detail27convert_result_type_wrapperISA_SB_N2at6native12_GLOBAL__N_19CustomSumEEEEE10hipError_tPvRmT0_T1_jT2_SS_T4_T3_P12ihipStream_tbEUlT_E_NS1_11comp_targetILNS1_3genE5ELNS1_11target_archE942ELNS1_3gpuE9ELNS1_3repE0EEENS1_30default_config_static_selectorELNS0_4arch9wavefront6targetE0EEEvSR_.kd
    .uniform_work_group_size: 1
    .uses_dynamic_stack: false
    .vgpr_count:     0
    .vgpr_spill_count: 0
    .wavefront_size: 32
  - .args:
      - .offset:         0
        .size:           48
        .value_kind:     by_value
    .group_segment_fixed_size: 0
    .kernarg_segment_align: 8
    .kernarg_segment_size: 48
    .language:       OpenCL C
    .language_version:
      - 2
      - 0
    .max_flat_workgroup_size: 256
    .name:           _ZN7rocprim17ROCPRIM_400000_NS6detail17trampoline_kernelINS0_14default_configENS1_32segmented_reduce_config_selectorIN3c104HalfEEEZNS1_21segmented_reduce_implIS3_PKS6_PS6_PKiS6_N6hipcub16HIPCUB_304000_NS6detail27convert_result_type_wrapperISA_SB_N2at6native12_GLOBAL__N_19CustomSumEEEEE10hipError_tPvRmT0_T1_jT2_SS_T4_T3_P12ihipStream_tbEUlT_E_NS1_11comp_targetILNS1_3genE10ELNS1_11target_archE1201ELNS1_3gpuE5ELNS1_3repE0EEENS1_30default_config_static_selectorELNS0_4arch9wavefront6targetE0EEEvSR_
    .private_segment_fixed_size: 0
    .sgpr_count:     0
    .sgpr_spill_count: 0
    .symbol:         _ZN7rocprim17ROCPRIM_400000_NS6detail17trampoline_kernelINS0_14default_configENS1_32segmented_reduce_config_selectorIN3c104HalfEEEZNS1_21segmented_reduce_implIS3_PKS6_PS6_PKiS6_N6hipcub16HIPCUB_304000_NS6detail27convert_result_type_wrapperISA_SB_N2at6native12_GLOBAL__N_19CustomSumEEEEE10hipError_tPvRmT0_T1_jT2_SS_T4_T3_P12ihipStream_tbEUlT_E_NS1_11comp_targetILNS1_3genE10ELNS1_11target_archE1201ELNS1_3gpuE5ELNS1_3repE0EEENS1_30default_config_static_selectorELNS0_4arch9wavefront6targetE0EEEvSR_.kd
    .uniform_work_group_size: 1
    .uses_dynamic_stack: false
    .vgpr_count:     0
    .vgpr_spill_count: 0
    .wavefront_size: 32
  - .args:
      - .offset:         0
        .size:           48
        .value_kind:     by_value
    .group_segment_fixed_size: 0
    .kernarg_segment_align: 8
    .kernarg_segment_size: 48
    .language:       OpenCL C
    .language_version:
      - 2
      - 0
    .max_flat_workgroup_size: 256
    .name:           _ZN7rocprim17ROCPRIM_400000_NS6detail17trampoline_kernelINS0_14default_configENS1_32segmented_reduce_config_selectorIN3c104HalfEEEZNS1_21segmented_reduce_implIS3_PKS6_PS6_PKiS6_N6hipcub16HIPCUB_304000_NS6detail27convert_result_type_wrapperISA_SB_N2at6native12_GLOBAL__N_19CustomSumEEEEE10hipError_tPvRmT0_T1_jT2_SS_T4_T3_P12ihipStream_tbEUlT_E_NS1_11comp_targetILNS1_3genE4ELNS1_11target_archE910ELNS1_3gpuE8ELNS1_3repE0EEENS1_30default_config_static_selectorELNS0_4arch9wavefront6targetE0EEEvSR_
    .private_segment_fixed_size: 0
    .sgpr_count:     0
    .sgpr_spill_count: 0
    .symbol:         _ZN7rocprim17ROCPRIM_400000_NS6detail17trampoline_kernelINS0_14default_configENS1_32segmented_reduce_config_selectorIN3c104HalfEEEZNS1_21segmented_reduce_implIS3_PKS6_PS6_PKiS6_N6hipcub16HIPCUB_304000_NS6detail27convert_result_type_wrapperISA_SB_N2at6native12_GLOBAL__N_19CustomSumEEEEE10hipError_tPvRmT0_T1_jT2_SS_T4_T3_P12ihipStream_tbEUlT_E_NS1_11comp_targetILNS1_3genE4ELNS1_11target_archE910ELNS1_3gpuE8ELNS1_3repE0EEENS1_30default_config_static_selectorELNS0_4arch9wavefront6targetE0EEEvSR_.kd
    .uniform_work_group_size: 1
    .uses_dynamic_stack: false
    .vgpr_count:     0
    .vgpr_spill_count: 0
    .wavefront_size: 32
  - .args:
      - .offset:         0
        .size:           48
        .value_kind:     by_value
    .group_segment_fixed_size: 0
    .kernarg_segment_align: 8
    .kernarg_segment_size: 48
    .language:       OpenCL C
    .language_version:
      - 2
      - 0
    .max_flat_workgroup_size: 256
    .name:           _ZN7rocprim17ROCPRIM_400000_NS6detail17trampoline_kernelINS0_14default_configENS1_32segmented_reduce_config_selectorIN3c104HalfEEEZNS1_21segmented_reduce_implIS3_PKS6_PS6_PKiS6_N6hipcub16HIPCUB_304000_NS6detail27convert_result_type_wrapperISA_SB_N2at6native12_GLOBAL__N_19CustomSumEEEEE10hipError_tPvRmT0_T1_jT2_SS_T4_T3_P12ihipStream_tbEUlT_E_NS1_11comp_targetILNS1_3genE3ELNS1_11target_archE908ELNS1_3gpuE7ELNS1_3repE0EEENS1_30default_config_static_selectorELNS0_4arch9wavefront6targetE0EEEvSR_
    .private_segment_fixed_size: 0
    .sgpr_count:     0
    .sgpr_spill_count: 0
    .symbol:         _ZN7rocprim17ROCPRIM_400000_NS6detail17trampoline_kernelINS0_14default_configENS1_32segmented_reduce_config_selectorIN3c104HalfEEEZNS1_21segmented_reduce_implIS3_PKS6_PS6_PKiS6_N6hipcub16HIPCUB_304000_NS6detail27convert_result_type_wrapperISA_SB_N2at6native12_GLOBAL__N_19CustomSumEEEEE10hipError_tPvRmT0_T1_jT2_SS_T4_T3_P12ihipStream_tbEUlT_E_NS1_11comp_targetILNS1_3genE3ELNS1_11target_archE908ELNS1_3gpuE7ELNS1_3repE0EEENS1_30default_config_static_selectorELNS0_4arch9wavefront6targetE0EEEvSR_.kd
    .uniform_work_group_size: 1
    .uses_dynamic_stack: false
    .vgpr_count:     0
    .vgpr_spill_count: 0
    .wavefront_size: 32
  - .args:
      - .offset:         0
        .size:           48
        .value_kind:     by_value
    .group_segment_fixed_size: 0
    .kernarg_segment_align: 8
    .kernarg_segment_size: 48
    .language:       OpenCL C
    .language_version:
      - 2
      - 0
    .max_flat_workgroup_size: 256
    .name:           _ZN7rocprim17ROCPRIM_400000_NS6detail17trampoline_kernelINS0_14default_configENS1_32segmented_reduce_config_selectorIN3c104HalfEEEZNS1_21segmented_reduce_implIS3_PKS6_PS6_PKiS6_N6hipcub16HIPCUB_304000_NS6detail27convert_result_type_wrapperISA_SB_N2at6native12_GLOBAL__N_19CustomSumEEEEE10hipError_tPvRmT0_T1_jT2_SS_T4_T3_P12ihipStream_tbEUlT_E_NS1_11comp_targetILNS1_3genE2ELNS1_11target_archE906ELNS1_3gpuE6ELNS1_3repE0EEENS1_30default_config_static_selectorELNS0_4arch9wavefront6targetE0EEEvSR_
    .private_segment_fixed_size: 0
    .sgpr_count:     0
    .sgpr_spill_count: 0
    .symbol:         _ZN7rocprim17ROCPRIM_400000_NS6detail17trampoline_kernelINS0_14default_configENS1_32segmented_reduce_config_selectorIN3c104HalfEEEZNS1_21segmented_reduce_implIS3_PKS6_PS6_PKiS6_N6hipcub16HIPCUB_304000_NS6detail27convert_result_type_wrapperISA_SB_N2at6native12_GLOBAL__N_19CustomSumEEEEE10hipError_tPvRmT0_T1_jT2_SS_T4_T3_P12ihipStream_tbEUlT_E_NS1_11comp_targetILNS1_3genE2ELNS1_11target_archE906ELNS1_3gpuE6ELNS1_3repE0EEENS1_30default_config_static_selectorELNS0_4arch9wavefront6targetE0EEEvSR_.kd
    .uniform_work_group_size: 1
    .uses_dynamic_stack: false
    .vgpr_count:     0
    .vgpr_spill_count: 0
    .wavefront_size: 32
  - .args:
      - .offset:         0
        .size:           48
        .value_kind:     by_value
    .group_segment_fixed_size: 0
    .kernarg_segment_align: 8
    .kernarg_segment_size: 48
    .language:       OpenCL C
    .language_version:
      - 2
      - 0
    .max_flat_workgroup_size: 256
    .name:           _ZN7rocprim17ROCPRIM_400000_NS6detail17trampoline_kernelINS0_14default_configENS1_32segmented_reduce_config_selectorIN3c104HalfEEEZNS1_21segmented_reduce_implIS3_PKS6_PS6_PKiS6_N6hipcub16HIPCUB_304000_NS6detail27convert_result_type_wrapperISA_SB_N2at6native12_GLOBAL__N_19CustomSumEEEEE10hipError_tPvRmT0_T1_jT2_SS_T4_T3_P12ihipStream_tbEUlT_E_NS1_11comp_targetILNS1_3genE9ELNS1_11target_archE1100ELNS1_3gpuE3ELNS1_3repE0EEENS1_30default_config_static_selectorELNS0_4arch9wavefront6targetE0EEEvSR_
    .private_segment_fixed_size: 0
    .sgpr_count:     0
    .sgpr_spill_count: 0
    .symbol:         _ZN7rocprim17ROCPRIM_400000_NS6detail17trampoline_kernelINS0_14default_configENS1_32segmented_reduce_config_selectorIN3c104HalfEEEZNS1_21segmented_reduce_implIS3_PKS6_PS6_PKiS6_N6hipcub16HIPCUB_304000_NS6detail27convert_result_type_wrapperISA_SB_N2at6native12_GLOBAL__N_19CustomSumEEEEE10hipError_tPvRmT0_T1_jT2_SS_T4_T3_P12ihipStream_tbEUlT_E_NS1_11comp_targetILNS1_3genE9ELNS1_11target_archE1100ELNS1_3gpuE3ELNS1_3repE0EEENS1_30default_config_static_selectorELNS0_4arch9wavefront6targetE0EEEvSR_.kd
    .uniform_work_group_size: 1
    .uses_dynamic_stack: false
    .vgpr_count:     0
    .vgpr_spill_count: 0
    .wavefront_size: 32
  - .args:
      - .offset:         0
        .size:           48
        .value_kind:     by_value
    .group_segment_fixed_size: 0
    .kernarg_segment_align: 8
    .kernarg_segment_size: 48
    .language:       OpenCL C
    .language_version:
      - 2
      - 0
    .max_flat_workgroup_size: 256
    .name:           _ZN7rocprim17ROCPRIM_400000_NS6detail17trampoline_kernelINS0_14default_configENS1_32segmented_reduce_config_selectorIN3c104HalfEEEZNS1_21segmented_reduce_implIS3_PKS6_PS6_PKiS6_N6hipcub16HIPCUB_304000_NS6detail27convert_result_type_wrapperISA_SB_N2at6native12_GLOBAL__N_19CustomSumEEEEE10hipError_tPvRmT0_T1_jT2_SS_T4_T3_P12ihipStream_tbEUlT_E_NS1_11comp_targetILNS1_3genE8ELNS1_11target_archE1030ELNS1_3gpuE2ELNS1_3repE0EEENS1_30default_config_static_selectorELNS0_4arch9wavefront6targetE0EEEvSR_
    .private_segment_fixed_size: 0
    .sgpr_count:     0
    .sgpr_spill_count: 0
    .symbol:         _ZN7rocprim17ROCPRIM_400000_NS6detail17trampoline_kernelINS0_14default_configENS1_32segmented_reduce_config_selectorIN3c104HalfEEEZNS1_21segmented_reduce_implIS3_PKS6_PS6_PKiS6_N6hipcub16HIPCUB_304000_NS6detail27convert_result_type_wrapperISA_SB_N2at6native12_GLOBAL__N_19CustomSumEEEEE10hipError_tPvRmT0_T1_jT2_SS_T4_T3_P12ihipStream_tbEUlT_E_NS1_11comp_targetILNS1_3genE8ELNS1_11target_archE1030ELNS1_3gpuE2ELNS1_3repE0EEENS1_30default_config_static_selectorELNS0_4arch9wavefront6targetE0EEEvSR_.kd
    .uniform_work_group_size: 1
    .uses_dynamic_stack: false
    .vgpr_count:     0
    .vgpr_spill_count: 0
    .wavefront_size: 32
  - .args:
      - .address_space:  global
        .offset:         0
        .size:           8
        .value_kind:     global_buffer
      - .address_space:  global
        .offset:         8
        .size:           8
        .value_kind:     global_buffer
      - .offset:         16
        .size:           8
        .value_kind:     by_value
      - .offset:         24
        .size:           1
        .value_kind:     by_value
      - .offset:         26
        .size:           2
        .value_kind:     by_value
      - .offset:         32
        .size:           4
        .value_kind:     hidden_block_count_x
      - .offset:         36
        .size:           4
        .value_kind:     hidden_block_count_y
      - .offset:         40
        .size:           4
        .value_kind:     hidden_block_count_z
      - .offset:         44
        .size:           2
        .value_kind:     hidden_group_size_x
      - .offset:         46
        .size:           2
        .value_kind:     hidden_group_size_y
      - .offset:         48
        .size:           2
        .value_kind:     hidden_group_size_z
      - .offset:         50
        .size:           2
        .value_kind:     hidden_remainder_x
      - .offset:         52
        .size:           2
        .value_kind:     hidden_remainder_y
      - .offset:         54
        .size:           2
        .value_kind:     hidden_remainder_z
      - .offset:         72
        .size:           8
        .value_kind:     hidden_global_offset_x
      - .offset:         80
        .size:           8
        .value_kind:     hidden_global_offset_y
      - .offset:         88
        .size:           8
        .value_kind:     hidden_global_offset_z
      - .offset:         96
        .size:           2
        .value_kind:     hidden_grid_dims
    .group_segment_fixed_size: 0
    .kernarg_segment_align: 8
    .kernarg_segment_size: 288
    .language:       OpenCL C
    .language_version:
      - 2
      - 0
    .max_flat_workgroup_size: 1024
    .name:           _ZN2at6native12_GLOBAL__N_119post_sum_div_kernelIN3c104HalfEiEEvPT_PKT0_lbS5_
    .private_segment_fixed_size: 0
    .sgpr_count:     21
    .sgpr_spill_count: 0
    .symbol:         _ZN2at6native12_GLOBAL__N_119post_sum_div_kernelIN3c104HalfEiEEvPT_PKT0_lbS5_.kd
    .uniform_work_group_size: 1
    .uses_dynamic_stack: false
    .vgpr_count:     12
    .vgpr_spill_count: 0
    .wavefront_size: 32
  - .args:
      - .offset:         0
        .size:           48
        .value_kind:     by_value
    .group_segment_fixed_size: 16
    .kernarg_segment_align: 8
    .kernarg_segment_size: 48
    .language:       OpenCL C
    .language_version:
      - 2
      - 0
    .max_flat_workgroup_size: 256
    .name:           _ZN7rocprim17ROCPRIM_400000_NS6detail17trampoline_kernelINS0_14default_configENS1_32segmented_reduce_config_selectorIN3c104HalfEEEZNS1_21segmented_reduce_implIS3_PKS6_PS6_PKiS6_N6hipcub16HIPCUB_304000_NS6detail27convert_result_type_wrapperISA_SB_N2at6native12_GLOBAL__N_19CustomMinEEEEE10hipError_tPvRmT0_T1_jT2_SS_T4_T3_P12ihipStream_tbEUlT_E_NS1_11comp_targetILNS1_3genE0ELNS1_11target_archE4294967295ELNS1_3gpuE0ELNS1_3repE0EEENS1_30default_config_static_selectorELNS0_4arch9wavefront6targetE0EEEvSR_
    .private_segment_fixed_size: 0
    .sgpr_count:     32
    .sgpr_spill_count: 0
    .symbol:         _ZN7rocprim17ROCPRIM_400000_NS6detail17trampoline_kernelINS0_14default_configENS1_32segmented_reduce_config_selectorIN3c104HalfEEEZNS1_21segmented_reduce_implIS3_PKS6_PS6_PKiS6_N6hipcub16HIPCUB_304000_NS6detail27convert_result_type_wrapperISA_SB_N2at6native12_GLOBAL__N_19CustomMinEEEEE10hipError_tPvRmT0_T1_jT2_SS_T4_T3_P12ihipStream_tbEUlT_E_NS1_11comp_targetILNS1_3genE0ELNS1_11target_archE4294967295ELNS1_3gpuE0ELNS1_3repE0EEENS1_30default_config_static_selectorELNS0_4arch9wavefront6targetE0EEEvSR_.kd
    .uniform_work_group_size: 1
    .uses_dynamic_stack: false
    .vgpr_count:     24
    .vgpr_spill_count: 0
    .wavefront_size: 32
  - .args:
      - .offset:         0
        .size:           48
        .value_kind:     by_value
    .group_segment_fixed_size: 0
    .kernarg_segment_align: 8
    .kernarg_segment_size: 48
    .language:       OpenCL C
    .language_version:
      - 2
      - 0
    .max_flat_workgroup_size: 256
    .name:           _ZN7rocprim17ROCPRIM_400000_NS6detail17trampoline_kernelINS0_14default_configENS1_32segmented_reduce_config_selectorIN3c104HalfEEEZNS1_21segmented_reduce_implIS3_PKS6_PS6_PKiS6_N6hipcub16HIPCUB_304000_NS6detail27convert_result_type_wrapperISA_SB_N2at6native12_GLOBAL__N_19CustomMinEEEEE10hipError_tPvRmT0_T1_jT2_SS_T4_T3_P12ihipStream_tbEUlT_E_NS1_11comp_targetILNS1_3genE5ELNS1_11target_archE942ELNS1_3gpuE9ELNS1_3repE0EEENS1_30default_config_static_selectorELNS0_4arch9wavefront6targetE0EEEvSR_
    .private_segment_fixed_size: 0
    .sgpr_count:     0
    .sgpr_spill_count: 0
    .symbol:         _ZN7rocprim17ROCPRIM_400000_NS6detail17trampoline_kernelINS0_14default_configENS1_32segmented_reduce_config_selectorIN3c104HalfEEEZNS1_21segmented_reduce_implIS3_PKS6_PS6_PKiS6_N6hipcub16HIPCUB_304000_NS6detail27convert_result_type_wrapperISA_SB_N2at6native12_GLOBAL__N_19CustomMinEEEEE10hipError_tPvRmT0_T1_jT2_SS_T4_T3_P12ihipStream_tbEUlT_E_NS1_11comp_targetILNS1_3genE5ELNS1_11target_archE942ELNS1_3gpuE9ELNS1_3repE0EEENS1_30default_config_static_selectorELNS0_4arch9wavefront6targetE0EEEvSR_.kd
    .uniform_work_group_size: 1
    .uses_dynamic_stack: false
    .vgpr_count:     0
    .vgpr_spill_count: 0
    .wavefront_size: 32
  - .args:
      - .offset:         0
        .size:           48
        .value_kind:     by_value
    .group_segment_fixed_size: 0
    .kernarg_segment_align: 8
    .kernarg_segment_size: 48
    .language:       OpenCL C
    .language_version:
      - 2
      - 0
    .max_flat_workgroup_size: 256
    .name:           _ZN7rocprim17ROCPRIM_400000_NS6detail17trampoline_kernelINS0_14default_configENS1_32segmented_reduce_config_selectorIN3c104HalfEEEZNS1_21segmented_reduce_implIS3_PKS6_PS6_PKiS6_N6hipcub16HIPCUB_304000_NS6detail27convert_result_type_wrapperISA_SB_N2at6native12_GLOBAL__N_19CustomMinEEEEE10hipError_tPvRmT0_T1_jT2_SS_T4_T3_P12ihipStream_tbEUlT_E_NS1_11comp_targetILNS1_3genE10ELNS1_11target_archE1201ELNS1_3gpuE5ELNS1_3repE0EEENS1_30default_config_static_selectorELNS0_4arch9wavefront6targetE0EEEvSR_
    .private_segment_fixed_size: 0
    .sgpr_count:     0
    .sgpr_spill_count: 0
    .symbol:         _ZN7rocprim17ROCPRIM_400000_NS6detail17trampoline_kernelINS0_14default_configENS1_32segmented_reduce_config_selectorIN3c104HalfEEEZNS1_21segmented_reduce_implIS3_PKS6_PS6_PKiS6_N6hipcub16HIPCUB_304000_NS6detail27convert_result_type_wrapperISA_SB_N2at6native12_GLOBAL__N_19CustomMinEEEEE10hipError_tPvRmT0_T1_jT2_SS_T4_T3_P12ihipStream_tbEUlT_E_NS1_11comp_targetILNS1_3genE10ELNS1_11target_archE1201ELNS1_3gpuE5ELNS1_3repE0EEENS1_30default_config_static_selectorELNS0_4arch9wavefront6targetE0EEEvSR_.kd
    .uniform_work_group_size: 1
    .uses_dynamic_stack: false
    .vgpr_count:     0
    .vgpr_spill_count: 0
    .wavefront_size: 32
  - .args:
      - .offset:         0
        .size:           48
        .value_kind:     by_value
    .group_segment_fixed_size: 0
    .kernarg_segment_align: 8
    .kernarg_segment_size: 48
    .language:       OpenCL C
    .language_version:
      - 2
      - 0
    .max_flat_workgroup_size: 256
    .name:           _ZN7rocprim17ROCPRIM_400000_NS6detail17trampoline_kernelINS0_14default_configENS1_32segmented_reduce_config_selectorIN3c104HalfEEEZNS1_21segmented_reduce_implIS3_PKS6_PS6_PKiS6_N6hipcub16HIPCUB_304000_NS6detail27convert_result_type_wrapperISA_SB_N2at6native12_GLOBAL__N_19CustomMinEEEEE10hipError_tPvRmT0_T1_jT2_SS_T4_T3_P12ihipStream_tbEUlT_E_NS1_11comp_targetILNS1_3genE4ELNS1_11target_archE910ELNS1_3gpuE8ELNS1_3repE0EEENS1_30default_config_static_selectorELNS0_4arch9wavefront6targetE0EEEvSR_
    .private_segment_fixed_size: 0
    .sgpr_count:     0
    .sgpr_spill_count: 0
    .symbol:         _ZN7rocprim17ROCPRIM_400000_NS6detail17trampoline_kernelINS0_14default_configENS1_32segmented_reduce_config_selectorIN3c104HalfEEEZNS1_21segmented_reduce_implIS3_PKS6_PS6_PKiS6_N6hipcub16HIPCUB_304000_NS6detail27convert_result_type_wrapperISA_SB_N2at6native12_GLOBAL__N_19CustomMinEEEEE10hipError_tPvRmT0_T1_jT2_SS_T4_T3_P12ihipStream_tbEUlT_E_NS1_11comp_targetILNS1_3genE4ELNS1_11target_archE910ELNS1_3gpuE8ELNS1_3repE0EEENS1_30default_config_static_selectorELNS0_4arch9wavefront6targetE0EEEvSR_.kd
    .uniform_work_group_size: 1
    .uses_dynamic_stack: false
    .vgpr_count:     0
    .vgpr_spill_count: 0
    .wavefront_size: 32
  - .args:
      - .offset:         0
        .size:           48
        .value_kind:     by_value
    .group_segment_fixed_size: 0
    .kernarg_segment_align: 8
    .kernarg_segment_size: 48
    .language:       OpenCL C
    .language_version:
      - 2
      - 0
    .max_flat_workgroup_size: 256
    .name:           _ZN7rocprim17ROCPRIM_400000_NS6detail17trampoline_kernelINS0_14default_configENS1_32segmented_reduce_config_selectorIN3c104HalfEEEZNS1_21segmented_reduce_implIS3_PKS6_PS6_PKiS6_N6hipcub16HIPCUB_304000_NS6detail27convert_result_type_wrapperISA_SB_N2at6native12_GLOBAL__N_19CustomMinEEEEE10hipError_tPvRmT0_T1_jT2_SS_T4_T3_P12ihipStream_tbEUlT_E_NS1_11comp_targetILNS1_3genE3ELNS1_11target_archE908ELNS1_3gpuE7ELNS1_3repE0EEENS1_30default_config_static_selectorELNS0_4arch9wavefront6targetE0EEEvSR_
    .private_segment_fixed_size: 0
    .sgpr_count:     0
    .sgpr_spill_count: 0
    .symbol:         _ZN7rocprim17ROCPRIM_400000_NS6detail17trampoline_kernelINS0_14default_configENS1_32segmented_reduce_config_selectorIN3c104HalfEEEZNS1_21segmented_reduce_implIS3_PKS6_PS6_PKiS6_N6hipcub16HIPCUB_304000_NS6detail27convert_result_type_wrapperISA_SB_N2at6native12_GLOBAL__N_19CustomMinEEEEE10hipError_tPvRmT0_T1_jT2_SS_T4_T3_P12ihipStream_tbEUlT_E_NS1_11comp_targetILNS1_3genE3ELNS1_11target_archE908ELNS1_3gpuE7ELNS1_3repE0EEENS1_30default_config_static_selectorELNS0_4arch9wavefront6targetE0EEEvSR_.kd
    .uniform_work_group_size: 1
    .uses_dynamic_stack: false
    .vgpr_count:     0
    .vgpr_spill_count: 0
    .wavefront_size: 32
  - .args:
      - .offset:         0
        .size:           48
        .value_kind:     by_value
    .group_segment_fixed_size: 0
    .kernarg_segment_align: 8
    .kernarg_segment_size: 48
    .language:       OpenCL C
    .language_version:
      - 2
      - 0
    .max_flat_workgroup_size: 256
    .name:           _ZN7rocprim17ROCPRIM_400000_NS6detail17trampoline_kernelINS0_14default_configENS1_32segmented_reduce_config_selectorIN3c104HalfEEEZNS1_21segmented_reduce_implIS3_PKS6_PS6_PKiS6_N6hipcub16HIPCUB_304000_NS6detail27convert_result_type_wrapperISA_SB_N2at6native12_GLOBAL__N_19CustomMinEEEEE10hipError_tPvRmT0_T1_jT2_SS_T4_T3_P12ihipStream_tbEUlT_E_NS1_11comp_targetILNS1_3genE2ELNS1_11target_archE906ELNS1_3gpuE6ELNS1_3repE0EEENS1_30default_config_static_selectorELNS0_4arch9wavefront6targetE0EEEvSR_
    .private_segment_fixed_size: 0
    .sgpr_count:     0
    .sgpr_spill_count: 0
    .symbol:         _ZN7rocprim17ROCPRIM_400000_NS6detail17trampoline_kernelINS0_14default_configENS1_32segmented_reduce_config_selectorIN3c104HalfEEEZNS1_21segmented_reduce_implIS3_PKS6_PS6_PKiS6_N6hipcub16HIPCUB_304000_NS6detail27convert_result_type_wrapperISA_SB_N2at6native12_GLOBAL__N_19CustomMinEEEEE10hipError_tPvRmT0_T1_jT2_SS_T4_T3_P12ihipStream_tbEUlT_E_NS1_11comp_targetILNS1_3genE2ELNS1_11target_archE906ELNS1_3gpuE6ELNS1_3repE0EEENS1_30default_config_static_selectorELNS0_4arch9wavefront6targetE0EEEvSR_.kd
    .uniform_work_group_size: 1
    .uses_dynamic_stack: false
    .vgpr_count:     0
    .vgpr_spill_count: 0
    .wavefront_size: 32
  - .args:
      - .offset:         0
        .size:           48
        .value_kind:     by_value
    .group_segment_fixed_size: 0
    .kernarg_segment_align: 8
    .kernarg_segment_size: 48
    .language:       OpenCL C
    .language_version:
      - 2
      - 0
    .max_flat_workgroup_size: 256
    .name:           _ZN7rocprim17ROCPRIM_400000_NS6detail17trampoline_kernelINS0_14default_configENS1_32segmented_reduce_config_selectorIN3c104HalfEEEZNS1_21segmented_reduce_implIS3_PKS6_PS6_PKiS6_N6hipcub16HIPCUB_304000_NS6detail27convert_result_type_wrapperISA_SB_N2at6native12_GLOBAL__N_19CustomMinEEEEE10hipError_tPvRmT0_T1_jT2_SS_T4_T3_P12ihipStream_tbEUlT_E_NS1_11comp_targetILNS1_3genE9ELNS1_11target_archE1100ELNS1_3gpuE3ELNS1_3repE0EEENS1_30default_config_static_selectorELNS0_4arch9wavefront6targetE0EEEvSR_
    .private_segment_fixed_size: 0
    .sgpr_count:     0
    .sgpr_spill_count: 0
    .symbol:         _ZN7rocprim17ROCPRIM_400000_NS6detail17trampoline_kernelINS0_14default_configENS1_32segmented_reduce_config_selectorIN3c104HalfEEEZNS1_21segmented_reduce_implIS3_PKS6_PS6_PKiS6_N6hipcub16HIPCUB_304000_NS6detail27convert_result_type_wrapperISA_SB_N2at6native12_GLOBAL__N_19CustomMinEEEEE10hipError_tPvRmT0_T1_jT2_SS_T4_T3_P12ihipStream_tbEUlT_E_NS1_11comp_targetILNS1_3genE9ELNS1_11target_archE1100ELNS1_3gpuE3ELNS1_3repE0EEENS1_30default_config_static_selectorELNS0_4arch9wavefront6targetE0EEEvSR_.kd
    .uniform_work_group_size: 1
    .uses_dynamic_stack: false
    .vgpr_count:     0
    .vgpr_spill_count: 0
    .wavefront_size: 32
  - .args:
      - .offset:         0
        .size:           48
        .value_kind:     by_value
    .group_segment_fixed_size: 0
    .kernarg_segment_align: 8
    .kernarg_segment_size: 48
    .language:       OpenCL C
    .language_version:
      - 2
      - 0
    .max_flat_workgroup_size: 256
    .name:           _ZN7rocprim17ROCPRIM_400000_NS6detail17trampoline_kernelINS0_14default_configENS1_32segmented_reduce_config_selectorIN3c104HalfEEEZNS1_21segmented_reduce_implIS3_PKS6_PS6_PKiS6_N6hipcub16HIPCUB_304000_NS6detail27convert_result_type_wrapperISA_SB_N2at6native12_GLOBAL__N_19CustomMinEEEEE10hipError_tPvRmT0_T1_jT2_SS_T4_T3_P12ihipStream_tbEUlT_E_NS1_11comp_targetILNS1_3genE8ELNS1_11target_archE1030ELNS1_3gpuE2ELNS1_3repE0EEENS1_30default_config_static_selectorELNS0_4arch9wavefront6targetE0EEEvSR_
    .private_segment_fixed_size: 0
    .sgpr_count:     0
    .sgpr_spill_count: 0
    .symbol:         _ZN7rocprim17ROCPRIM_400000_NS6detail17trampoline_kernelINS0_14default_configENS1_32segmented_reduce_config_selectorIN3c104HalfEEEZNS1_21segmented_reduce_implIS3_PKS6_PS6_PKiS6_N6hipcub16HIPCUB_304000_NS6detail27convert_result_type_wrapperISA_SB_N2at6native12_GLOBAL__N_19CustomMinEEEEE10hipError_tPvRmT0_T1_jT2_SS_T4_T3_P12ihipStream_tbEUlT_E_NS1_11comp_targetILNS1_3genE8ELNS1_11target_archE1030ELNS1_3gpuE2ELNS1_3repE0EEENS1_30default_config_static_selectorELNS0_4arch9wavefront6targetE0EEEvSR_.kd
    .uniform_work_group_size: 1
    .uses_dynamic_stack: false
    .vgpr_count:     0
    .vgpr_spill_count: 0
    .wavefront_size: 32
  - .args:
      - .offset:         0
        .size:           48
        .value_kind:     by_value
    .group_segment_fixed_size: 16
    .kernarg_segment_align: 8
    .kernarg_segment_size: 48
    .language:       OpenCL C
    .language_version:
      - 2
      - 0
    .max_flat_workgroup_size: 256
    .name:           _ZN7rocprim17ROCPRIM_400000_NS6detail17trampoline_kernelINS0_14default_configENS1_32segmented_reduce_config_selectorIN3c104HalfEEEZNS1_21segmented_reduce_implIS3_PKS6_PS6_PKiS6_N6hipcub16HIPCUB_304000_NS6detail27convert_result_type_wrapperISA_SB_N2at6native12_GLOBAL__N_110CustomProdEEEEE10hipError_tPvRmT0_T1_jT2_SS_T4_T3_P12ihipStream_tbEUlT_E_NS1_11comp_targetILNS1_3genE0ELNS1_11target_archE4294967295ELNS1_3gpuE0ELNS1_3repE0EEENS1_30default_config_static_selectorELNS0_4arch9wavefront6targetE0EEEvSR_
    .private_segment_fixed_size: 0
    .sgpr_count:     28
    .sgpr_spill_count: 0
    .symbol:         _ZN7rocprim17ROCPRIM_400000_NS6detail17trampoline_kernelINS0_14default_configENS1_32segmented_reduce_config_selectorIN3c104HalfEEEZNS1_21segmented_reduce_implIS3_PKS6_PS6_PKiS6_N6hipcub16HIPCUB_304000_NS6detail27convert_result_type_wrapperISA_SB_N2at6native12_GLOBAL__N_110CustomProdEEEEE10hipError_tPvRmT0_T1_jT2_SS_T4_T3_P12ihipStream_tbEUlT_E_NS1_11comp_targetILNS1_3genE0ELNS1_11target_archE4294967295ELNS1_3gpuE0ELNS1_3repE0EEENS1_30default_config_static_selectorELNS0_4arch9wavefront6targetE0EEEvSR_.kd
    .uniform_work_group_size: 1
    .uses_dynamic_stack: false
    .vgpr_count:     24
    .vgpr_spill_count: 0
    .wavefront_size: 32
  - .args:
      - .offset:         0
        .size:           48
        .value_kind:     by_value
    .group_segment_fixed_size: 0
    .kernarg_segment_align: 8
    .kernarg_segment_size: 48
    .language:       OpenCL C
    .language_version:
      - 2
      - 0
    .max_flat_workgroup_size: 256
    .name:           _ZN7rocprim17ROCPRIM_400000_NS6detail17trampoline_kernelINS0_14default_configENS1_32segmented_reduce_config_selectorIN3c104HalfEEEZNS1_21segmented_reduce_implIS3_PKS6_PS6_PKiS6_N6hipcub16HIPCUB_304000_NS6detail27convert_result_type_wrapperISA_SB_N2at6native12_GLOBAL__N_110CustomProdEEEEE10hipError_tPvRmT0_T1_jT2_SS_T4_T3_P12ihipStream_tbEUlT_E_NS1_11comp_targetILNS1_3genE5ELNS1_11target_archE942ELNS1_3gpuE9ELNS1_3repE0EEENS1_30default_config_static_selectorELNS0_4arch9wavefront6targetE0EEEvSR_
    .private_segment_fixed_size: 0
    .sgpr_count:     0
    .sgpr_spill_count: 0
    .symbol:         _ZN7rocprim17ROCPRIM_400000_NS6detail17trampoline_kernelINS0_14default_configENS1_32segmented_reduce_config_selectorIN3c104HalfEEEZNS1_21segmented_reduce_implIS3_PKS6_PS6_PKiS6_N6hipcub16HIPCUB_304000_NS6detail27convert_result_type_wrapperISA_SB_N2at6native12_GLOBAL__N_110CustomProdEEEEE10hipError_tPvRmT0_T1_jT2_SS_T4_T3_P12ihipStream_tbEUlT_E_NS1_11comp_targetILNS1_3genE5ELNS1_11target_archE942ELNS1_3gpuE9ELNS1_3repE0EEENS1_30default_config_static_selectorELNS0_4arch9wavefront6targetE0EEEvSR_.kd
    .uniform_work_group_size: 1
    .uses_dynamic_stack: false
    .vgpr_count:     0
    .vgpr_spill_count: 0
    .wavefront_size: 32
  - .args:
      - .offset:         0
        .size:           48
        .value_kind:     by_value
    .group_segment_fixed_size: 0
    .kernarg_segment_align: 8
    .kernarg_segment_size: 48
    .language:       OpenCL C
    .language_version:
      - 2
      - 0
    .max_flat_workgroup_size: 256
    .name:           _ZN7rocprim17ROCPRIM_400000_NS6detail17trampoline_kernelINS0_14default_configENS1_32segmented_reduce_config_selectorIN3c104HalfEEEZNS1_21segmented_reduce_implIS3_PKS6_PS6_PKiS6_N6hipcub16HIPCUB_304000_NS6detail27convert_result_type_wrapperISA_SB_N2at6native12_GLOBAL__N_110CustomProdEEEEE10hipError_tPvRmT0_T1_jT2_SS_T4_T3_P12ihipStream_tbEUlT_E_NS1_11comp_targetILNS1_3genE10ELNS1_11target_archE1201ELNS1_3gpuE5ELNS1_3repE0EEENS1_30default_config_static_selectorELNS0_4arch9wavefront6targetE0EEEvSR_
    .private_segment_fixed_size: 0
    .sgpr_count:     0
    .sgpr_spill_count: 0
    .symbol:         _ZN7rocprim17ROCPRIM_400000_NS6detail17trampoline_kernelINS0_14default_configENS1_32segmented_reduce_config_selectorIN3c104HalfEEEZNS1_21segmented_reduce_implIS3_PKS6_PS6_PKiS6_N6hipcub16HIPCUB_304000_NS6detail27convert_result_type_wrapperISA_SB_N2at6native12_GLOBAL__N_110CustomProdEEEEE10hipError_tPvRmT0_T1_jT2_SS_T4_T3_P12ihipStream_tbEUlT_E_NS1_11comp_targetILNS1_3genE10ELNS1_11target_archE1201ELNS1_3gpuE5ELNS1_3repE0EEENS1_30default_config_static_selectorELNS0_4arch9wavefront6targetE0EEEvSR_.kd
    .uniform_work_group_size: 1
    .uses_dynamic_stack: false
    .vgpr_count:     0
    .vgpr_spill_count: 0
    .wavefront_size: 32
  - .args:
      - .offset:         0
        .size:           48
        .value_kind:     by_value
    .group_segment_fixed_size: 0
    .kernarg_segment_align: 8
    .kernarg_segment_size: 48
    .language:       OpenCL C
    .language_version:
      - 2
      - 0
    .max_flat_workgroup_size: 256
    .name:           _ZN7rocprim17ROCPRIM_400000_NS6detail17trampoline_kernelINS0_14default_configENS1_32segmented_reduce_config_selectorIN3c104HalfEEEZNS1_21segmented_reduce_implIS3_PKS6_PS6_PKiS6_N6hipcub16HIPCUB_304000_NS6detail27convert_result_type_wrapperISA_SB_N2at6native12_GLOBAL__N_110CustomProdEEEEE10hipError_tPvRmT0_T1_jT2_SS_T4_T3_P12ihipStream_tbEUlT_E_NS1_11comp_targetILNS1_3genE4ELNS1_11target_archE910ELNS1_3gpuE8ELNS1_3repE0EEENS1_30default_config_static_selectorELNS0_4arch9wavefront6targetE0EEEvSR_
    .private_segment_fixed_size: 0
    .sgpr_count:     0
    .sgpr_spill_count: 0
    .symbol:         _ZN7rocprim17ROCPRIM_400000_NS6detail17trampoline_kernelINS0_14default_configENS1_32segmented_reduce_config_selectorIN3c104HalfEEEZNS1_21segmented_reduce_implIS3_PKS6_PS6_PKiS6_N6hipcub16HIPCUB_304000_NS6detail27convert_result_type_wrapperISA_SB_N2at6native12_GLOBAL__N_110CustomProdEEEEE10hipError_tPvRmT0_T1_jT2_SS_T4_T3_P12ihipStream_tbEUlT_E_NS1_11comp_targetILNS1_3genE4ELNS1_11target_archE910ELNS1_3gpuE8ELNS1_3repE0EEENS1_30default_config_static_selectorELNS0_4arch9wavefront6targetE0EEEvSR_.kd
    .uniform_work_group_size: 1
    .uses_dynamic_stack: false
    .vgpr_count:     0
    .vgpr_spill_count: 0
    .wavefront_size: 32
  - .args:
      - .offset:         0
        .size:           48
        .value_kind:     by_value
    .group_segment_fixed_size: 0
    .kernarg_segment_align: 8
    .kernarg_segment_size: 48
    .language:       OpenCL C
    .language_version:
      - 2
      - 0
    .max_flat_workgroup_size: 256
    .name:           _ZN7rocprim17ROCPRIM_400000_NS6detail17trampoline_kernelINS0_14default_configENS1_32segmented_reduce_config_selectorIN3c104HalfEEEZNS1_21segmented_reduce_implIS3_PKS6_PS6_PKiS6_N6hipcub16HIPCUB_304000_NS6detail27convert_result_type_wrapperISA_SB_N2at6native12_GLOBAL__N_110CustomProdEEEEE10hipError_tPvRmT0_T1_jT2_SS_T4_T3_P12ihipStream_tbEUlT_E_NS1_11comp_targetILNS1_3genE3ELNS1_11target_archE908ELNS1_3gpuE7ELNS1_3repE0EEENS1_30default_config_static_selectorELNS0_4arch9wavefront6targetE0EEEvSR_
    .private_segment_fixed_size: 0
    .sgpr_count:     0
    .sgpr_spill_count: 0
    .symbol:         _ZN7rocprim17ROCPRIM_400000_NS6detail17trampoline_kernelINS0_14default_configENS1_32segmented_reduce_config_selectorIN3c104HalfEEEZNS1_21segmented_reduce_implIS3_PKS6_PS6_PKiS6_N6hipcub16HIPCUB_304000_NS6detail27convert_result_type_wrapperISA_SB_N2at6native12_GLOBAL__N_110CustomProdEEEEE10hipError_tPvRmT0_T1_jT2_SS_T4_T3_P12ihipStream_tbEUlT_E_NS1_11comp_targetILNS1_3genE3ELNS1_11target_archE908ELNS1_3gpuE7ELNS1_3repE0EEENS1_30default_config_static_selectorELNS0_4arch9wavefront6targetE0EEEvSR_.kd
    .uniform_work_group_size: 1
    .uses_dynamic_stack: false
    .vgpr_count:     0
    .vgpr_spill_count: 0
    .wavefront_size: 32
  - .args:
      - .offset:         0
        .size:           48
        .value_kind:     by_value
    .group_segment_fixed_size: 0
    .kernarg_segment_align: 8
    .kernarg_segment_size: 48
    .language:       OpenCL C
    .language_version:
      - 2
      - 0
    .max_flat_workgroup_size: 256
    .name:           _ZN7rocprim17ROCPRIM_400000_NS6detail17trampoline_kernelINS0_14default_configENS1_32segmented_reduce_config_selectorIN3c104HalfEEEZNS1_21segmented_reduce_implIS3_PKS6_PS6_PKiS6_N6hipcub16HIPCUB_304000_NS6detail27convert_result_type_wrapperISA_SB_N2at6native12_GLOBAL__N_110CustomProdEEEEE10hipError_tPvRmT0_T1_jT2_SS_T4_T3_P12ihipStream_tbEUlT_E_NS1_11comp_targetILNS1_3genE2ELNS1_11target_archE906ELNS1_3gpuE6ELNS1_3repE0EEENS1_30default_config_static_selectorELNS0_4arch9wavefront6targetE0EEEvSR_
    .private_segment_fixed_size: 0
    .sgpr_count:     0
    .sgpr_spill_count: 0
    .symbol:         _ZN7rocprim17ROCPRIM_400000_NS6detail17trampoline_kernelINS0_14default_configENS1_32segmented_reduce_config_selectorIN3c104HalfEEEZNS1_21segmented_reduce_implIS3_PKS6_PS6_PKiS6_N6hipcub16HIPCUB_304000_NS6detail27convert_result_type_wrapperISA_SB_N2at6native12_GLOBAL__N_110CustomProdEEEEE10hipError_tPvRmT0_T1_jT2_SS_T4_T3_P12ihipStream_tbEUlT_E_NS1_11comp_targetILNS1_3genE2ELNS1_11target_archE906ELNS1_3gpuE6ELNS1_3repE0EEENS1_30default_config_static_selectorELNS0_4arch9wavefront6targetE0EEEvSR_.kd
    .uniform_work_group_size: 1
    .uses_dynamic_stack: false
    .vgpr_count:     0
    .vgpr_spill_count: 0
    .wavefront_size: 32
  - .args:
      - .offset:         0
        .size:           48
        .value_kind:     by_value
    .group_segment_fixed_size: 0
    .kernarg_segment_align: 8
    .kernarg_segment_size: 48
    .language:       OpenCL C
    .language_version:
      - 2
      - 0
    .max_flat_workgroup_size: 256
    .name:           _ZN7rocprim17ROCPRIM_400000_NS6detail17trampoline_kernelINS0_14default_configENS1_32segmented_reduce_config_selectorIN3c104HalfEEEZNS1_21segmented_reduce_implIS3_PKS6_PS6_PKiS6_N6hipcub16HIPCUB_304000_NS6detail27convert_result_type_wrapperISA_SB_N2at6native12_GLOBAL__N_110CustomProdEEEEE10hipError_tPvRmT0_T1_jT2_SS_T4_T3_P12ihipStream_tbEUlT_E_NS1_11comp_targetILNS1_3genE9ELNS1_11target_archE1100ELNS1_3gpuE3ELNS1_3repE0EEENS1_30default_config_static_selectorELNS0_4arch9wavefront6targetE0EEEvSR_
    .private_segment_fixed_size: 0
    .sgpr_count:     0
    .sgpr_spill_count: 0
    .symbol:         _ZN7rocprim17ROCPRIM_400000_NS6detail17trampoline_kernelINS0_14default_configENS1_32segmented_reduce_config_selectorIN3c104HalfEEEZNS1_21segmented_reduce_implIS3_PKS6_PS6_PKiS6_N6hipcub16HIPCUB_304000_NS6detail27convert_result_type_wrapperISA_SB_N2at6native12_GLOBAL__N_110CustomProdEEEEE10hipError_tPvRmT0_T1_jT2_SS_T4_T3_P12ihipStream_tbEUlT_E_NS1_11comp_targetILNS1_3genE9ELNS1_11target_archE1100ELNS1_3gpuE3ELNS1_3repE0EEENS1_30default_config_static_selectorELNS0_4arch9wavefront6targetE0EEEvSR_.kd
    .uniform_work_group_size: 1
    .uses_dynamic_stack: false
    .vgpr_count:     0
    .vgpr_spill_count: 0
    .wavefront_size: 32
  - .args:
      - .offset:         0
        .size:           48
        .value_kind:     by_value
    .group_segment_fixed_size: 0
    .kernarg_segment_align: 8
    .kernarg_segment_size: 48
    .language:       OpenCL C
    .language_version:
      - 2
      - 0
    .max_flat_workgroup_size: 256
    .name:           _ZN7rocprim17ROCPRIM_400000_NS6detail17trampoline_kernelINS0_14default_configENS1_32segmented_reduce_config_selectorIN3c104HalfEEEZNS1_21segmented_reduce_implIS3_PKS6_PS6_PKiS6_N6hipcub16HIPCUB_304000_NS6detail27convert_result_type_wrapperISA_SB_N2at6native12_GLOBAL__N_110CustomProdEEEEE10hipError_tPvRmT0_T1_jT2_SS_T4_T3_P12ihipStream_tbEUlT_E_NS1_11comp_targetILNS1_3genE8ELNS1_11target_archE1030ELNS1_3gpuE2ELNS1_3repE0EEENS1_30default_config_static_selectorELNS0_4arch9wavefront6targetE0EEEvSR_
    .private_segment_fixed_size: 0
    .sgpr_count:     0
    .sgpr_spill_count: 0
    .symbol:         _ZN7rocprim17ROCPRIM_400000_NS6detail17trampoline_kernelINS0_14default_configENS1_32segmented_reduce_config_selectorIN3c104HalfEEEZNS1_21segmented_reduce_implIS3_PKS6_PS6_PKiS6_N6hipcub16HIPCUB_304000_NS6detail27convert_result_type_wrapperISA_SB_N2at6native12_GLOBAL__N_110CustomProdEEEEE10hipError_tPvRmT0_T1_jT2_SS_T4_T3_P12ihipStream_tbEUlT_E_NS1_11comp_targetILNS1_3genE8ELNS1_11target_archE1030ELNS1_3gpuE2ELNS1_3repE0EEENS1_30default_config_static_selectorELNS0_4arch9wavefront6targetE0EEEvSR_.kd
    .uniform_work_group_size: 1
    .uses_dynamic_stack: false
    .vgpr_count:     0
    .vgpr_spill_count: 0
    .wavefront_size: 32
  - .args:
      - .offset:         0
        .size:           4
        .value_kind:     by_value
      - .address_space:  global
        .offset:         8
        .size:           8
        .value_kind:     global_buffer
      - .address_space:  global
        .offset:         16
        .size:           8
        .value_kind:     global_buffer
      - .address_space:  global
        .offset:         24
        .size:           8
        .value_kind:     global_buffer
      - .address_space:  global
        .offset:         32
        .size:           8
        .value_kind:     global_buffer
      - .offset:         40
        .size:           8
        .value_kind:     by_value
      - .offset:         48
        .size:           8
        .value_kind:     by_value
      - .offset:         56
        .size:           1
        .value_kind:     by_value
      - .offset:         58
        .size:           2
        .value_kind:     by_value
      - .offset:         64
        .size:           8
        .value_kind:     by_value
      - .offset:         72
        .size:           8
        .value_kind:     by_value
      - .offset:         80
        .size:           8
        .value_kind:     by_value
      - .offset:         88
        .size:           8
        .value_kind:     by_value
      - .offset:         96
        .size:           8
        .value_kind:     by_value
      - .offset:         104
        .size:           8
        .value_kind:     by_value
      - .offset:         112
        .size:           8
        .value_kind:     by_value
      - .offset:         120
        .size:           4
        .value_kind:     hidden_block_count_x
      - .offset:         124
        .size:           4
        .value_kind:     hidden_block_count_y
      - .offset:         128
        .size:           4
        .value_kind:     hidden_block_count_z
      - .offset:         132
        .size:           2
        .value_kind:     hidden_group_size_x
      - .offset:         134
        .size:           2
        .value_kind:     hidden_group_size_y
      - .offset:         136
        .size:           2
        .value_kind:     hidden_group_size_z
      - .offset:         138
        .size:           2
        .value_kind:     hidden_remainder_x
      - .offset:         140
        .size:           2
        .value_kind:     hidden_remainder_y
      - .offset:         142
        .size:           2
        .value_kind:     hidden_remainder_z
      - .offset:         160
        .size:           8
        .value_kind:     hidden_global_offset_x
      - .offset:         168
        .size:           8
        .value_kind:     hidden_global_offset_y
      - .offset:         176
        .size:           8
        .value_kind:     hidden_global_offset_z
      - .offset:         184
        .size:           2
        .value_kind:     hidden_grid_dims
    .group_segment_fixed_size: 0
    .kernarg_segment_align: 8
    .kernarg_segment_size: 376
    .language:       OpenCL C
    .language_version:
      - 2
      - 0
    .max_flat_workgroup_size: 1024
    .name:           _ZN2at6native12_GLOBAL__N_129segment_reduce_forward_kernelIN3c108BFloat16EiEEvNS0_13ReductionTypeEPT_PKS6_PKT0_SC_llbS6_lllllll
    .private_segment_fixed_size: 0
    .sgpr_count:     46
    .sgpr_spill_count: 0
    .symbol:         _ZN2at6native12_GLOBAL__N_129segment_reduce_forward_kernelIN3c108BFloat16EiEEvNS0_13ReductionTypeEPT_PKS6_PKT0_SC_llbS6_lllllll.kd
    .uniform_work_group_size: 1
    .uses_dynamic_stack: false
    .vgpr_count:     20
    .vgpr_spill_count: 0
    .wavefront_size: 32
  - .args:
      - .offset:         0
        .size:           48
        .value_kind:     by_value
    .group_segment_fixed_size: 16
    .kernarg_segment_align: 8
    .kernarg_segment_size: 48
    .language:       OpenCL C
    .language_version:
      - 2
      - 0
    .max_flat_workgroup_size: 256
    .name:           _ZN7rocprim17ROCPRIM_400000_NS6detail17trampoline_kernelINS0_14default_configENS1_32segmented_reduce_config_selectorIN3c108BFloat16EEEZNS1_21segmented_reduce_implIS3_PKS6_PS6_PKiS6_N6hipcub16HIPCUB_304000_NS6detail27convert_result_type_wrapperISA_SB_N2at6native12_GLOBAL__N_19CustomMaxEEEEE10hipError_tPvRmT0_T1_jT2_SS_T4_T3_P12ihipStream_tbEUlT_E_NS1_11comp_targetILNS1_3genE0ELNS1_11target_archE4294967295ELNS1_3gpuE0ELNS1_3repE0EEENS1_30default_config_static_selectorELNS0_4arch9wavefront6targetE0EEEvSR_
    .private_segment_fixed_size: 0
    .sgpr_count:     32
    .sgpr_spill_count: 0
    .symbol:         _ZN7rocprim17ROCPRIM_400000_NS6detail17trampoline_kernelINS0_14default_configENS1_32segmented_reduce_config_selectorIN3c108BFloat16EEEZNS1_21segmented_reduce_implIS3_PKS6_PS6_PKiS6_N6hipcub16HIPCUB_304000_NS6detail27convert_result_type_wrapperISA_SB_N2at6native12_GLOBAL__N_19CustomMaxEEEEE10hipError_tPvRmT0_T1_jT2_SS_T4_T3_P12ihipStream_tbEUlT_E_NS1_11comp_targetILNS1_3genE0ELNS1_11target_archE4294967295ELNS1_3gpuE0ELNS1_3repE0EEENS1_30default_config_static_selectorELNS0_4arch9wavefront6targetE0EEEvSR_.kd
    .uniform_work_group_size: 1
    .uses_dynamic_stack: false
    .vgpr_count:     24
    .vgpr_spill_count: 0
    .wavefront_size: 32
  - .args:
      - .offset:         0
        .size:           48
        .value_kind:     by_value
    .group_segment_fixed_size: 0
    .kernarg_segment_align: 8
    .kernarg_segment_size: 48
    .language:       OpenCL C
    .language_version:
      - 2
      - 0
    .max_flat_workgroup_size: 256
    .name:           _ZN7rocprim17ROCPRIM_400000_NS6detail17trampoline_kernelINS0_14default_configENS1_32segmented_reduce_config_selectorIN3c108BFloat16EEEZNS1_21segmented_reduce_implIS3_PKS6_PS6_PKiS6_N6hipcub16HIPCUB_304000_NS6detail27convert_result_type_wrapperISA_SB_N2at6native12_GLOBAL__N_19CustomMaxEEEEE10hipError_tPvRmT0_T1_jT2_SS_T4_T3_P12ihipStream_tbEUlT_E_NS1_11comp_targetILNS1_3genE5ELNS1_11target_archE942ELNS1_3gpuE9ELNS1_3repE0EEENS1_30default_config_static_selectorELNS0_4arch9wavefront6targetE0EEEvSR_
    .private_segment_fixed_size: 0
    .sgpr_count:     0
    .sgpr_spill_count: 0
    .symbol:         _ZN7rocprim17ROCPRIM_400000_NS6detail17trampoline_kernelINS0_14default_configENS1_32segmented_reduce_config_selectorIN3c108BFloat16EEEZNS1_21segmented_reduce_implIS3_PKS6_PS6_PKiS6_N6hipcub16HIPCUB_304000_NS6detail27convert_result_type_wrapperISA_SB_N2at6native12_GLOBAL__N_19CustomMaxEEEEE10hipError_tPvRmT0_T1_jT2_SS_T4_T3_P12ihipStream_tbEUlT_E_NS1_11comp_targetILNS1_3genE5ELNS1_11target_archE942ELNS1_3gpuE9ELNS1_3repE0EEENS1_30default_config_static_selectorELNS0_4arch9wavefront6targetE0EEEvSR_.kd
    .uniform_work_group_size: 1
    .uses_dynamic_stack: false
    .vgpr_count:     0
    .vgpr_spill_count: 0
    .wavefront_size: 32
  - .args:
      - .offset:         0
        .size:           48
        .value_kind:     by_value
    .group_segment_fixed_size: 0
    .kernarg_segment_align: 8
    .kernarg_segment_size: 48
    .language:       OpenCL C
    .language_version:
      - 2
      - 0
    .max_flat_workgroup_size: 256
    .name:           _ZN7rocprim17ROCPRIM_400000_NS6detail17trampoline_kernelINS0_14default_configENS1_32segmented_reduce_config_selectorIN3c108BFloat16EEEZNS1_21segmented_reduce_implIS3_PKS6_PS6_PKiS6_N6hipcub16HIPCUB_304000_NS6detail27convert_result_type_wrapperISA_SB_N2at6native12_GLOBAL__N_19CustomMaxEEEEE10hipError_tPvRmT0_T1_jT2_SS_T4_T3_P12ihipStream_tbEUlT_E_NS1_11comp_targetILNS1_3genE10ELNS1_11target_archE1201ELNS1_3gpuE5ELNS1_3repE0EEENS1_30default_config_static_selectorELNS0_4arch9wavefront6targetE0EEEvSR_
    .private_segment_fixed_size: 0
    .sgpr_count:     0
    .sgpr_spill_count: 0
    .symbol:         _ZN7rocprim17ROCPRIM_400000_NS6detail17trampoline_kernelINS0_14default_configENS1_32segmented_reduce_config_selectorIN3c108BFloat16EEEZNS1_21segmented_reduce_implIS3_PKS6_PS6_PKiS6_N6hipcub16HIPCUB_304000_NS6detail27convert_result_type_wrapperISA_SB_N2at6native12_GLOBAL__N_19CustomMaxEEEEE10hipError_tPvRmT0_T1_jT2_SS_T4_T3_P12ihipStream_tbEUlT_E_NS1_11comp_targetILNS1_3genE10ELNS1_11target_archE1201ELNS1_3gpuE5ELNS1_3repE0EEENS1_30default_config_static_selectorELNS0_4arch9wavefront6targetE0EEEvSR_.kd
    .uniform_work_group_size: 1
    .uses_dynamic_stack: false
    .vgpr_count:     0
    .vgpr_spill_count: 0
    .wavefront_size: 32
  - .args:
      - .offset:         0
        .size:           48
        .value_kind:     by_value
    .group_segment_fixed_size: 0
    .kernarg_segment_align: 8
    .kernarg_segment_size: 48
    .language:       OpenCL C
    .language_version:
      - 2
      - 0
    .max_flat_workgroup_size: 256
    .name:           _ZN7rocprim17ROCPRIM_400000_NS6detail17trampoline_kernelINS0_14default_configENS1_32segmented_reduce_config_selectorIN3c108BFloat16EEEZNS1_21segmented_reduce_implIS3_PKS6_PS6_PKiS6_N6hipcub16HIPCUB_304000_NS6detail27convert_result_type_wrapperISA_SB_N2at6native12_GLOBAL__N_19CustomMaxEEEEE10hipError_tPvRmT0_T1_jT2_SS_T4_T3_P12ihipStream_tbEUlT_E_NS1_11comp_targetILNS1_3genE4ELNS1_11target_archE910ELNS1_3gpuE8ELNS1_3repE0EEENS1_30default_config_static_selectorELNS0_4arch9wavefront6targetE0EEEvSR_
    .private_segment_fixed_size: 0
    .sgpr_count:     0
    .sgpr_spill_count: 0
    .symbol:         _ZN7rocprim17ROCPRIM_400000_NS6detail17trampoline_kernelINS0_14default_configENS1_32segmented_reduce_config_selectorIN3c108BFloat16EEEZNS1_21segmented_reduce_implIS3_PKS6_PS6_PKiS6_N6hipcub16HIPCUB_304000_NS6detail27convert_result_type_wrapperISA_SB_N2at6native12_GLOBAL__N_19CustomMaxEEEEE10hipError_tPvRmT0_T1_jT2_SS_T4_T3_P12ihipStream_tbEUlT_E_NS1_11comp_targetILNS1_3genE4ELNS1_11target_archE910ELNS1_3gpuE8ELNS1_3repE0EEENS1_30default_config_static_selectorELNS0_4arch9wavefront6targetE0EEEvSR_.kd
    .uniform_work_group_size: 1
    .uses_dynamic_stack: false
    .vgpr_count:     0
    .vgpr_spill_count: 0
    .wavefront_size: 32
  - .args:
      - .offset:         0
        .size:           48
        .value_kind:     by_value
    .group_segment_fixed_size: 0
    .kernarg_segment_align: 8
    .kernarg_segment_size: 48
    .language:       OpenCL C
    .language_version:
      - 2
      - 0
    .max_flat_workgroup_size: 256
    .name:           _ZN7rocprim17ROCPRIM_400000_NS6detail17trampoline_kernelINS0_14default_configENS1_32segmented_reduce_config_selectorIN3c108BFloat16EEEZNS1_21segmented_reduce_implIS3_PKS6_PS6_PKiS6_N6hipcub16HIPCUB_304000_NS6detail27convert_result_type_wrapperISA_SB_N2at6native12_GLOBAL__N_19CustomMaxEEEEE10hipError_tPvRmT0_T1_jT2_SS_T4_T3_P12ihipStream_tbEUlT_E_NS1_11comp_targetILNS1_3genE3ELNS1_11target_archE908ELNS1_3gpuE7ELNS1_3repE0EEENS1_30default_config_static_selectorELNS0_4arch9wavefront6targetE0EEEvSR_
    .private_segment_fixed_size: 0
    .sgpr_count:     0
    .sgpr_spill_count: 0
    .symbol:         _ZN7rocprim17ROCPRIM_400000_NS6detail17trampoline_kernelINS0_14default_configENS1_32segmented_reduce_config_selectorIN3c108BFloat16EEEZNS1_21segmented_reduce_implIS3_PKS6_PS6_PKiS6_N6hipcub16HIPCUB_304000_NS6detail27convert_result_type_wrapperISA_SB_N2at6native12_GLOBAL__N_19CustomMaxEEEEE10hipError_tPvRmT0_T1_jT2_SS_T4_T3_P12ihipStream_tbEUlT_E_NS1_11comp_targetILNS1_3genE3ELNS1_11target_archE908ELNS1_3gpuE7ELNS1_3repE0EEENS1_30default_config_static_selectorELNS0_4arch9wavefront6targetE0EEEvSR_.kd
    .uniform_work_group_size: 1
    .uses_dynamic_stack: false
    .vgpr_count:     0
    .vgpr_spill_count: 0
    .wavefront_size: 32
  - .args:
      - .offset:         0
        .size:           48
        .value_kind:     by_value
    .group_segment_fixed_size: 0
    .kernarg_segment_align: 8
    .kernarg_segment_size: 48
    .language:       OpenCL C
    .language_version:
      - 2
      - 0
    .max_flat_workgroup_size: 256
    .name:           _ZN7rocprim17ROCPRIM_400000_NS6detail17trampoline_kernelINS0_14default_configENS1_32segmented_reduce_config_selectorIN3c108BFloat16EEEZNS1_21segmented_reduce_implIS3_PKS6_PS6_PKiS6_N6hipcub16HIPCUB_304000_NS6detail27convert_result_type_wrapperISA_SB_N2at6native12_GLOBAL__N_19CustomMaxEEEEE10hipError_tPvRmT0_T1_jT2_SS_T4_T3_P12ihipStream_tbEUlT_E_NS1_11comp_targetILNS1_3genE2ELNS1_11target_archE906ELNS1_3gpuE6ELNS1_3repE0EEENS1_30default_config_static_selectorELNS0_4arch9wavefront6targetE0EEEvSR_
    .private_segment_fixed_size: 0
    .sgpr_count:     0
    .sgpr_spill_count: 0
    .symbol:         _ZN7rocprim17ROCPRIM_400000_NS6detail17trampoline_kernelINS0_14default_configENS1_32segmented_reduce_config_selectorIN3c108BFloat16EEEZNS1_21segmented_reduce_implIS3_PKS6_PS6_PKiS6_N6hipcub16HIPCUB_304000_NS6detail27convert_result_type_wrapperISA_SB_N2at6native12_GLOBAL__N_19CustomMaxEEEEE10hipError_tPvRmT0_T1_jT2_SS_T4_T3_P12ihipStream_tbEUlT_E_NS1_11comp_targetILNS1_3genE2ELNS1_11target_archE906ELNS1_3gpuE6ELNS1_3repE0EEENS1_30default_config_static_selectorELNS0_4arch9wavefront6targetE0EEEvSR_.kd
    .uniform_work_group_size: 1
    .uses_dynamic_stack: false
    .vgpr_count:     0
    .vgpr_spill_count: 0
    .wavefront_size: 32
  - .args:
      - .offset:         0
        .size:           48
        .value_kind:     by_value
    .group_segment_fixed_size: 0
    .kernarg_segment_align: 8
    .kernarg_segment_size: 48
    .language:       OpenCL C
    .language_version:
      - 2
      - 0
    .max_flat_workgroup_size: 256
    .name:           _ZN7rocprim17ROCPRIM_400000_NS6detail17trampoline_kernelINS0_14default_configENS1_32segmented_reduce_config_selectorIN3c108BFloat16EEEZNS1_21segmented_reduce_implIS3_PKS6_PS6_PKiS6_N6hipcub16HIPCUB_304000_NS6detail27convert_result_type_wrapperISA_SB_N2at6native12_GLOBAL__N_19CustomMaxEEEEE10hipError_tPvRmT0_T1_jT2_SS_T4_T3_P12ihipStream_tbEUlT_E_NS1_11comp_targetILNS1_3genE9ELNS1_11target_archE1100ELNS1_3gpuE3ELNS1_3repE0EEENS1_30default_config_static_selectorELNS0_4arch9wavefront6targetE0EEEvSR_
    .private_segment_fixed_size: 0
    .sgpr_count:     0
    .sgpr_spill_count: 0
    .symbol:         _ZN7rocprim17ROCPRIM_400000_NS6detail17trampoline_kernelINS0_14default_configENS1_32segmented_reduce_config_selectorIN3c108BFloat16EEEZNS1_21segmented_reduce_implIS3_PKS6_PS6_PKiS6_N6hipcub16HIPCUB_304000_NS6detail27convert_result_type_wrapperISA_SB_N2at6native12_GLOBAL__N_19CustomMaxEEEEE10hipError_tPvRmT0_T1_jT2_SS_T4_T3_P12ihipStream_tbEUlT_E_NS1_11comp_targetILNS1_3genE9ELNS1_11target_archE1100ELNS1_3gpuE3ELNS1_3repE0EEENS1_30default_config_static_selectorELNS0_4arch9wavefront6targetE0EEEvSR_.kd
    .uniform_work_group_size: 1
    .uses_dynamic_stack: false
    .vgpr_count:     0
    .vgpr_spill_count: 0
    .wavefront_size: 32
  - .args:
      - .offset:         0
        .size:           48
        .value_kind:     by_value
    .group_segment_fixed_size: 0
    .kernarg_segment_align: 8
    .kernarg_segment_size: 48
    .language:       OpenCL C
    .language_version:
      - 2
      - 0
    .max_flat_workgroup_size: 256
    .name:           _ZN7rocprim17ROCPRIM_400000_NS6detail17trampoline_kernelINS0_14default_configENS1_32segmented_reduce_config_selectorIN3c108BFloat16EEEZNS1_21segmented_reduce_implIS3_PKS6_PS6_PKiS6_N6hipcub16HIPCUB_304000_NS6detail27convert_result_type_wrapperISA_SB_N2at6native12_GLOBAL__N_19CustomMaxEEEEE10hipError_tPvRmT0_T1_jT2_SS_T4_T3_P12ihipStream_tbEUlT_E_NS1_11comp_targetILNS1_3genE8ELNS1_11target_archE1030ELNS1_3gpuE2ELNS1_3repE0EEENS1_30default_config_static_selectorELNS0_4arch9wavefront6targetE0EEEvSR_
    .private_segment_fixed_size: 0
    .sgpr_count:     0
    .sgpr_spill_count: 0
    .symbol:         _ZN7rocprim17ROCPRIM_400000_NS6detail17trampoline_kernelINS0_14default_configENS1_32segmented_reduce_config_selectorIN3c108BFloat16EEEZNS1_21segmented_reduce_implIS3_PKS6_PS6_PKiS6_N6hipcub16HIPCUB_304000_NS6detail27convert_result_type_wrapperISA_SB_N2at6native12_GLOBAL__N_19CustomMaxEEEEE10hipError_tPvRmT0_T1_jT2_SS_T4_T3_P12ihipStream_tbEUlT_E_NS1_11comp_targetILNS1_3genE8ELNS1_11target_archE1030ELNS1_3gpuE2ELNS1_3repE0EEENS1_30default_config_static_selectorELNS0_4arch9wavefront6targetE0EEEvSR_.kd
    .uniform_work_group_size: 1
    .uses_dynamic_stack: false
    .vgpr_count:     0
    .vgpr_spill_count: 0
    .wavefront_size: 32
  - .args:
      - .offset:         0
        .size:           48
        .value_kind:     by_value
    .group_segment_fixed_size: 16
    .kernarg_segment_align: 8
    .kernarg_segment_size: 48
    .language:       OpenCL C
    .language_version:
      - 2
      - 0
    .max_flat_workgroup_size: 256
    .name:           _ZN7rocprim17ROCPRIM_400000_NS6detail17trampoline_kernelINS0_14default_configENS1_32segmented_reduce_config_selectorIN3c108BFloat16EEEZNS1_21segmented_reduce_implIS3_PKS6_PS6_PKiS6_N6hipcub16HIPCUB_304000_NS6detail27convert_result_type_wrapperISA_SB_N2at6native12_GLOBAL__N_19CustomSumEEEEE10hipError_tPvRmT0_T1_jT2_SS_T4_T3_P12ihipStream_tbEUlT_E_NS1_11comp_targetILNS1_3genE0ELNS1_11target_archE4294967295ELNS1_3gpuE0ELNS1_3repE0EEENS1_30default_config_static_selectorELNS0_4arch9wavefront6targetE0EEEvSR_
    .private_segment_fixed_size: 0
    .sgpr_count:     32
    .sgpr_spill_count: 0
    .symbol:         _ZN7rocprim17ROCPRIM_400000_NS6detail17trampoline_kernelINS0_14default_configENS1_32segmented_reduce_config_selectorIN3c108BFloat16EEEZNS1_21segmented_reduce_implIS3_PKS6_PS6_PKiS6_N6hipcub16HIPCUB_304000_NS6detail27convert_result_type_wrapperISA_SB_N2at6native12_GLOBAL__N_19CustomSumEEEEE10hipError_tPvRmT0_T1_jT2_SS_T4_T3_P12ihipStream_tbEUlT_E_NS1_11comp_targetILNS1_3genE0ELNS1_11target_archE4294967295ELNS1_3gpuE0ELNS1_3repE0EEENS1_30default_config_static_selectorELNS0_4arch9wavefront6targetE0EEEvSR_.kd
    .uniform_work_group_size: 1
    .uses_dynamic_stack: false
    .vgpr_count:     24
    .vgpr_spill_count: 0
    .wavefront_size: 32
  - .args:
      - .offset:         0
        .size:           48
        .value_kind:     by_value
    .group_segment_fixed_size: 0
    .kernarg_segment_align: 8
    .kernarg_segment_size: 48
    .language:       OpenCL C
    .language_version:
      - 2
      - 0
    .max_flat_workgroup_size: 256
    .name:           _ZN7rocprim17ROCPRIM_400000_NS6detail17trampoline_kernelINS0_14default_configENS1_32segmented_reduce_config_selectorIN3c108BFloat16EEEZNS1_21segmented_reduce_implIS3_PKS6_PS6_PKiS6_N6hipcub16HIPCUB_304000_NS6detail27convert_result_type_wrapperISA_SB_N2at6native12_GLOBAL__N_19CustomSumEEEEE10hipError_tPvRmT0_T1_jT2_SS_T4_T3_P12ihipStream_tbEUlT_E_NS1_11comp_targetILNS1_3genE5ELNS1_11target_archE942ELNS1_3gpuE9ELNS1_3repE0EEENS1_30default_config_static_selectorELNS0_4arch9wavefront6targetE0EEEvSR_
    .private_segment_fixed_size: 0
    .sgpr_count:     0
    .sgpr_spill_count: 0
    .symbol:         _ZN7rocprim17ROCPRIM_400000_NS6detail17trampoline_kernelINS0_14default_configENS1_32segmented_reduce_config_selectorIN3c108BFloat16EEEZNS1_21segmented_reduce_implIS3_PKS6_PS6_PKiS6_N6hipcub16HIPCUB_304000_NS6detail27convert_result_type_wrapperISA_SB_N2at6native12_GLOBAL__N_19CustomSumEEEEE10hipError_tPvRmT0_T1_jT2_SS_T4_T3_P12ihipStream_tbEUlT_E_NS1_11comp_targetILNS1_3genE5ELNS1_11target_archE942ELNS1_3gpuE9ELNS1_3repE0EEENS1_30default_config_static_selectorELNS0_4arch9wavefront6targetE0EEEvSR_.kd
    .uniform_work_group_size: 1
    .uses_dynamic_stack: false
    .vgpr_count:     0
    .vgpr_spill_count: 0
    .wavefront_size: 32
  - .args:
      - .offset:         0
        .size:           48
        .value_kind:     by_value
    .group_segment_fixed_size: 0
    .kernarg_segment_align: 8
    .kernarg_segment_size: 48
    .language:       OpenCL C
    .language_version:
      - 2
      - 0
    .max_flat_workgroup_size: 256
    .name:           _ZN7rocprim17ROCPRIM_400000_NS6detail17trampoline_kernelINS0_14default_configENS1_32segmented_reduce_config_selectorIN3c108BFloat16EEEZNS1_21segmented_reduce_implIS3_PKS6_PS6_PKiS6_N6hipcub16HIPCUB_304000_NS6detail27convert_result_type_wrapperISA_SB_N2at6native12_GLOBAL__N_19CustomSumEEEEE10hipError_tPvRmT0_T1_jT2_SS_T4_T3_P12ihipStream_tbEUlT_E_NS1_11comp_targetILNS1_3genE10ELNS1_11target_archE1201ELNS1_3gpuE5ELNS1_3repE0EEENS1_30default_config_static_selectorELNS0_4arch9wavefront6targetE0EEEvSR_
    .private_segment_fixed_size: 0
    .sgpr_count:     0
    .sgpr_spill_count: 0
    .symbol:         _ZN7rocprim17ROCPRIM_400000_NS6detail17trampoline_kernelINS0_14default_configENS1_32segmented_reduce_config_selectorIN3c108BFloat16EEEZNS1_21segmented_reduce_implIS3_PKS6_PS6_PKiS6_N6hipcub16HIPCUB_304000_NS6detail27convert_result_type_wrapperISA_SB_N2at6native12_GLOBAL__N_19CustomSumEEEEE10hipError_tPvRmT0_T1_jT2_SS_T4_T3_P12ihipStream_tbEUlT_E_NS1_11comp_targetILNS1_3genE10ELNS1_11target_archE1201ELNS1_3gpuE5ELNS1_3repE0EEENS1_30default_config_static_selectorELNS0_4arch9wavefront6targetE0EEEvSR_.kd
    .uniform_work_group_size: 1
    .uses_dynamic_stack: false
    .vgpr_count:     0
    .vgpr_spill_count: 0
    .wavefront_size: 32
  - .args:
      - .offset:         0
        .size:           48
        .value_kind:     by_value
    .group_segment_fixed_size: 0
    .kernarg_segment_align: 8
    .kernarg_segment_size: 48
    .language:       OpenCL C
    .language_version:
      - 2
      - 0
    .max_flat_workgroup_size: 256
    .name:           _ZN7rocprim17ROCPRIM_400000_NS6detail17trampoline_kernelINS0_14default_configENS1_32segmented_reduce_config_selectorIN3c108BFloat16EEEZNS1_21segmented_reduce_implIS3_PKS6_PS6_PKiS6_N6hipcub16HIPCUB_304000_NS6detail27convert_result_type_wrapperISA_SB_N2at6native12_GLOBAL__N_19CustomSumEEEEE10hipError_tPvRmT0_T1_jT2_SS_T4_T3_P12ihipStream_tbEUlT_E_NS1_11comp_targetILNS1_3genE4ELNS1_11target_archE910ELNS1_3gpuE8ELNS1_3repE0EEENS1_30default_config_static_selectorELNS0_4arch9wavefront6targetE0EEEvSR_
    .private_segment_fixed_size: 0
    .sgpr_count:     0
    .sgpr_spill_count: 0
    .symbol:         _ZN7rocprim17ROCPRIM_400000_NS6detail17trampoline_kernelINS0_14default_configENS1_32segmented_reduce_config_selectorIN3c108BFloat16EEEZNS1_21segmented_reduce_implIS3_PKS6_PS6_PKiS6_N6hipcub16HIPCUB_304000_NS6detail27convert_result_type_wrapperISA_SB_N2at6native12_GLOBAL__N_19CustomSumEEEEE10hipError_tPvRmT0_T1_jT2_SS_T4_T3_P12ihipStream_tbEUlT_E_NS1_11comp_targetILNS1_3genE4ELNS1_11target_archE910ELNS1_3gpuE8ELNS1_3repE0EEENS1_30default_config_static_selectorELNS0_4arch9wavefront6targetE0EEEvSR_.kd
    .uniform_work_group_size: 1
    .uses_dynamic_stack: false
    .vgpr_count:     0
    .vgpr_spill_count: 0
    .wavefront_size: 32
  - .args:
      - .offset:         0
        .size:           48
        .value_kind:     by_value
    .group_segment_fixed_size: 0
    .kernarg_segment_align: 8
    .kernarg_segment_size: 48
    .language:       OpenCL C
    .language_version:
      - 2
      - 0
    .max_flat_workgroup_size: 256
    .name:           _ZN7rocprim17ROCPRIM_400000_NS6detail17trampoline_kernelINS0_14default_configENS1_32segmented_reduce_config_selectorIN3c108BFloat16EEEZNS1_21segmented_reduce_implIS3_PKS6_PS6_PKiS6_N6hipcub16HIPCUB_304000_NS6detail27convert_result_type_wrapperISA_SB_N2at6native12_GLOBAL__N_19CustomSumEEEEE10hipError_tPvRmT0_T1_jT2_SS_T4_T3_P12ihipStream_tbEUlT_E_NS1_11comp_targetILNS1_3genE3ELNS1_11target_archE908ELNS1_3gpuE7ELNS1_3repE0EEENS1_30default_config_static_selectorELNS0_4arch9wavefront6targetE0EEEvSR_
    .private_segment_fixed_size: 0
    .sgpr_count:     0
    .sgpr_spill_count: 0
    .symbol:         _ZN7rocprim17ROCPRIM_400000_NS6detail17trampoline_kernelINS0_14default_configENS1_32segmented_reduce_config_selectorIN3c108BFloat16EEEZNS1_21segmented_reduce_implIS3_PKS6_PS6_PKiS6_N6hipcub16HIPCUB_304000_NS6detail27convert_result_type_wrapperISA_SB_N2at6native12_GLOBAL__N_19CustomSumEEEEE10hipError_tPvRmT0_T1_jT2_SS_T4_T3_P12ihipStream_tbEUlT_E_NS1_11comp_targetILNS1_3genE3ELNS1_11target_archE908ELNS1_3gpuE7ELNS1_3repE0EEENS1_30default_config_static_selectorELNS0_4arch9wavefront6targetE0EEEvSR_.kd
    .uniform_work_group_size: 1
    .uses_dynamic_stack: false
    .vgpr_count:     0
    .vgpr_spill_count: 0
    .wavefront_size: 32
  - .args:
      - .offset:         0
        .size:           48
        .value_kind:     by_value
    .group_segment_fixed_size: 0
    .kernarg_segment_align: 8
    .kernarg_segment_size: 48
    .language:       OpenCL C
    .language_version:
      - 2
      - 0
    .max_flat_workgroup_size: 256
    .name:           _ZN7rocprim17ROCPRIM_400000_NS6detail17trampoline_kernelINS0_14default_configENS1_32segmented_reduce_config_selectorIN3c108BFloat16EEEZNS1_21segmented_reduce_implIS3_PKS6_PS6_PKiS6_N6hipcub16HIPCUB_304000_NS6detail27convert_result_type_wrapperISA_SB_N2at6native12_GLOBAL__N_19CustomSumEEEEE10hipError_tPvRmT0_T1_jT2_SS_T4_T3_P12ihipStream_tbEUlT_E_NS1_11comp_targetILNS1_3genE2ELNS1_11target_archE906ELNS1_3gpuE6ELNS1_3repE0EEENS1_30default_config_static_selectorELNS0_4arch9wavefront6targetE0EEEvSR_
    .private_segment_fixed_size: 0
    .sgpr_count:     0
    .sgpr_spill_count: 0
    .symbol:         _ZN7rocprim17ROCPRIM_400000_NS6detail17trampoline_kernelINS0_14default_configENS1_32segmented_reduce_config_selectorIN3c108BFloat16EEEZNS1_21segmented_reduce_implIS3_PKS6_PS6_PKiS6_N6hipcub16HIPCUB_304000_NS6detail27convert_result_type_wrapperISA_SB_N2at6native12_GLOBAL__N_19CustomSumEEEEE10hipError_tPvRmT0_T1_jT2_SS_T4_T3_P12ihipStream_tbEUlT_E_NS1_11comp_targetILNS1_3genE2ELNS1_11target_archE906ELNS1_3gpuE6ELNS1_3repE0EEENS1_30default_config_static_selectorELNS0_4arch9wavefront6targetE0EEEvSR_.kd
    .uniform_work_group_size: 1
    .uses_dynamic_stack: false
    .vgpr_count:     0
    .vgpr_spill_count: 0
    .wavefront_size: 32
  - .args:
      - .offset:         0
        .size:           48
        .value_kind:     by_value
    .group_segment_fixed_size: 0
    .kernarg_segment_align: 8
    .kernarg_segment_size: 48
    .language:       OpenCL C
    .language_version:
      - 2
      - 0
    .max_flat_workgroup_size: 256
    .name:           _ZN7rocprim17ROCPRIM_400000_NS6detail17trampoline_kernelINS0_14default_configENS1_32segmented_reduce_config_selectorIN3c108BFloat16EEEZNS1_21segmented_reduce_implIS3_PKS6_PS6_PKiS6_N6hipcub16HIPCUB_304000_NS6detail27convert_result_type_wrapperISA_SB_N2at6native12_GLOBAL__N_19CustomSumEEEEE10hipError_tPvRmT0_T1_jT2_SS_T4_T3_P12ihipStream_tbEUlT_E_NS1_11comp_targetILNS1_3genE9ELNS1_11target_archE1100ELNS1_3gpuE3ELNS1_3repE0EEENS1_30default_config_static_selectorELNS0_4arch9wavefront6targetE0EEEvSR_
    .private_segment_fixed_size: 0
    .sgpr_count:     0
    .sgpr_spill_count: 0
    .symbol:         _ZN7rocprim17ROCPRIM_400000_NS6detail17trampoline_kernelINS0_14default_configENS1_32segmented_reduce_config_selectorIN3c108BFloat16EEEZNS1_21segmented_reduce_implIS3_PKS6_PS6_PKiS6_N6hipcub16HIPCUB_304000_NS6detail27convert_result_type_wrapperISA_SB_N2at6native12_GLOBAL__N_19CustomSumEEEEE10hipError_tPvRmT0_T1_jT2_SS_T4_T3_P12ihipStream_tbEUlT_E_NS1_11comp_targetILNS1_3genE9ELNS1_11target_archE1100ELNS1_3gpuE3ELNS1_3repE0EEENS1_30default_config_static_selectorELNS0_4arch9wavefront6targetE0EEEvSR_.kd
    .uniform_work_group_size: 1
    .uses_dynamic_stack: false
    .vgpr_count:     0
    .vgpr_spill_count: 0
    .wavefront_size: 32
  - .args:
      - .offset:         0
        .size:           48
        .value_kind:     by_value
    .group_segment_fixed_size: 0
    .kernarg_segment_align: 8
    .kernarg_segment_size: 48
    .language:       OpenCL C
    .language_version:
      - 2
      - 0
    .max_flat_workgroup_size: 256
    .name:           _ZN7rocprim17ROCPRIM_400000_NS6detail17trampoline_kernelINS0_14default_configENS1_32segmented_reduce_config_selectorIN3c108BFloat16EEEZNS1_21segmented_reduce_implIS3_PKS6_PS6_PKiS6_N6hipcub16HIPCUB_304000_NS6detail27convert_result_type_wrapperISA_SB_N2at6native12_GLOBAL__N_19CustomSumEEEEE10hipError_tPvRmT0_T1_jT2_SS_T4_T3_P12ihipStream_tbEUlT_E_NS1_11comp_targetILNS1_3genE8ELNS1_11target_archE1030ELNS1_3gpuE2ELNS1_3repE0EEENS1_30default_config_static_selectorELNS0_4arch9wavefront6targetE0EEEvSR_
    .private_segment_fixed_size: 0
    .sgpr_count:     0
    .sgpr_spill_count: 0
    .symbol:         _ZN7rocprim17ROCPRIM_400000_NS6detail17trampoline_kernelINS0_14default_configENS1_32segmented_reduce_config_selectorIN3c108BFloat16EEEZNS1_21segmented_reduce_implIS3_PKS6_PS6_PKiS6_N6hipcub16HIPCUB_304000_NS6detail27convert_result_type_wrapperISA_SB_N2at6native12_GLOBAL__N_19CustomSumEEEEE10hipError_tPvRmT0_T1_jT2_SS_T4_T3_P12ihipStream_tbEUlT_E_NS1_11comp_targetILNS1_3genE8ELNS1_11target_archE1030ELNS1_3gpuE2ELNS1_3repE0EEENS1_30default_config_static_selectorELNS0_4arch9wavefront6targetE0EEEvSR_.kd
    .uniform_work_group_size: 1
    .uses_dynamic_stack: false
    .vgpr_count:     0
    .vgpr_spill_count: 0
    .wavefront_size: 32
  - .args:
      - .address_space:  global
        .offset:         0
        .size:           8
        .value_kind:     global_buffer
      - .address_space:  global
        .offset:         8
        .size:           8
        .value_kind:     global_buffer
      - .offset:         16
        .size:           8
        .value_kind:     by_value
      - .offset:         24
        .size:           1
        .value_kind:     by_value
      - .offset:         26
        .size:           2
        .value_kind:     by_value
      - .offset:         32
        .size:           4
        .value_kind:     hidden_block_count_x
      - .offset:         36
        .size:           4
        .value_kind:     hidden_block_count_y
      - .offset:         40
        .size:           4
        .value_kind:     hidden_block_count_z
      - .offset:         44
        .size:           2
        .value_kind:     hidden_group_size_x
      - .offset:         46
        .size:           2
        .value_kind:     hidden_group_size_y
      - .offset:         48
        .size:           2
        .value_kind:     hidden_group_size_z
      - .offset:         50
        .size:           2
        .value_kind:     hidden_remainder_x
      - .offset:         52
        .size:           2
        .value_kind:     hidden_remainder_y
      - .offset:         54
        .size:           2
        .value_kind:     hidden_remainder_z
      - .offset:         72
        .size:           8
        .value_kind:     hidden_global_offset_x
      - .offset:         80
        .size:           8
        .value_kind:     hidden_global_offset_y
      - .offset:         88
        .size:           8
        .value_kind:     hidden_global_offset_z
      - .offset:         96
        .size:           2
        .value_kind:     hidden_grid_dims
    .group_segment_fixed_size: 0
    .kernarg_segment_align: 8
    .kernarg_segment_size: 288
    .language:       OpenCL C
    .language_version:
      - 2
      - 0
    .max_flat_workgroup_size: 1024
    .name:           _ZN2at6native12_GLOBAL__N_119post_sum_div_kernelIN3c108BFloat16EiEEvPT_PKT0_lbS5_
    .private_segment_fixed_size: 0
    .sgpr_count:     21
    .sgpr_spill_count: 0
    .symbol:         _ZN2at6native12_GLOBAL__N_119post_sum_div_kernelIN3c108BFloat16EiEEvPT_PKT0_lbS5_.kd
    .uniform_work_group_size: 1
    .uses_dynamic_stack: false
    .vgpr_count:     13
    .vgpr_spill_count: 0
    .wavefront_size: 32
  - .args:
      - .offset:         0
        .size:           48
        .value_kind:     by_value
    .group_segment_fixed_size: 16
    .kernarg_segment_align: 8
    .kernarg_segment_size: 48
    .language:       OpenCL C
    .language_version:
      - 2
      - 0
    .max_flat_workgroup_size: 256
    .name:           _ZN7rocprim17ROCPRIM_400000_NS6detail17trampoline_kernelINS0_14default_configENS1_32segmented_reduce_config_selectorIN3c108BFloat16EEEZNS1_21segmented_reduce_implIS3_PKS6_PS6_PKiS6_N6hipcub16HIPCUB_304000_NS6detail27convert_result_type_wrapperISA_SB_N2at6native12_GLOBAL__N_19CustomMinEEEEE10hipError_tPvRmT0_T1_jT2_SS_T4_T3_P12ihipStream_tbEUlT_E_NS1_11comp_targetILNS1_3genE0ELNS1_11target_archE4294967295ELNS1_3gpuE0ELNS1_3repE0EEENS1_30default_config_static_selectorELNS0_4arch9wavefront6targetE0EEEvSR_
    .private_segment_fixed_size: 0
    .sgpr_count:     32
    .sgpr_spill_count: 0
    .symbol:         _ZN7rocprim17ROCPRIM_400000_NS6detail17trampoline_kernelINS0_14default_configENS1_32segmented_reduce_config_selectorIN3c108BFloat16EEEZNS1_21segmented_reduce_implIS3_PKS6_PS6_PKiS6_N6hipcub16HIPCUB_304000_NS6detail27convert_result_type_wrapperISA_SB_N2at6native12_GLOBAL__N_19CustomMinEEEEE10hipError_tPvRmT0_T1_jT2_SS_T4_T3_P12ihipStream_tbEUlT_E_NS1_11comp_targetILNS1_3genE0ELNS1_11target_archE4294967295ELNS1_3gpuE0ELNS1_3repE0EEENS1_30default_config_static_selectorELNS0_4arch9wavefront6targetE0EEEvSR_.kd
    .uniform_work_group_size: 1
    .uses_dynamic_stack: false
    .vgpr_count:     24
    .vgpr_spill_count: 0
    .wavefront_size: 32
  - .args:
      - .offset:         0
        .size:           48
        .value_kind:     by_value
    .group_segment_fixed_size: 0
    .kernarg_segment_align: 8
    .kernarg_segment_size: 48
    .language:       OpenCL C
    .language_version:
      - 2
      - 0
    .max_flat_workgroup_size: 256
    .name:           _ZN7rocprim17ROCPRIM_400000_NS6detail17trampoline_kernelINS0_14default_configENS1_32segmented_reduce_config_selectorIN3c108BFloat16EEEZNS1_21segmented_reduce_implIS3_PKS6_PS6_PKiS6_N6hipcub16HIPCUB_304000_NS6detail27convert_result_type_wrapperISA_SB_N2at6native12_GLOBAL__N_19CustomMinEEEEE10hipError_tPvRmT0_T1_jT2_SS_T4_T3_P12ihipStream_tbEUlT_E_NS1_11comp_targetILNS1_3genE5ELNS1_11target_archE942ELNS1_3gpuE9ELNS1_3repE0EEENS1_30default_config_static_selectorELNS0_4arch9wavefront6targetE0EEEvSR_
    .private_segment_fixed_size: 0
    .sgpr_count:     0
    .sgpr_spill_count: 0
    .symbol:         _ZN7rocprim17ROCPRIM_400000_NS6detail17trampoline_kernelINS0_14default_configENS1_32segmented_reduce_config_selectorIN3c108BFloat16EEEZNS1_21segmented_reduce_implIS3_PKS6_PS6_PKiS6_N6hipcub16HIPCUB_304000_NS6detail27convert_result_type_wrapperISA_SB_N2at6native12_GLOBAL__N_19CustomMinEEEEE10hipError_tPvRmT0_T1_jT2_SS_T4_T3_P12ihipStream_tbEUlT_E_NS1_11comp_targetILNS1_3genE5ELNS1_11target_archE942ELNS1_3gpuE9ELNS1_3repE0EEENS1_30default_config_static_selectorELNS0_4arch9wavefront6targetE0EEEvSR_.kd
    .uniform_work_group_size: 1
    .uses_dynamic_stack: false
    .vgpr_count:     0
    .vgpr_spill_count: 0
    .wavefront_size: 32
  - .args:
      - .offset:         0
        .size:           48
        .value_kind:     by_value
    .group_segment_fixed_size: 0
    .kernarg_segment_align: 8
    .kernarg_segment_size: 48
    .language:       OpenCL C
    .language_version:
      - 2
      - 0
    .max_flat_workgroup_size: 256
    .name:           _ZN7rocprim17ROCPRIM_400000_NS6detail17trampoline_kernelINS0_14default_configENS1_32segmented_reduce_config_selectorIN3c108BFloat16EEEZNS1_21segmented_reduce_implIS3_PKS6_PS6_PKiS6_N6hipcub16HIPCUB_304000_NS6detail27convert_result_type_wrapperISA_SB_N2at6native12_GLOBAL__N_19CustomMinEEEEE10hipError_tPvRmT0_T1_jT2_SS_T4_T3_P12ihipStream_tbEUlT_E_NS1_11comp_targetILNS1_3genE10ELNS1_11target_archE1201ELNS1_3gpuE5ELNS1_3repE0EEENS1_30default_config_static_selectorELNS0_4arch9wavefront6targetE0EEEvSR_
    .private_segment_fixed_size: 0
    .sgpr_count:     0
    .sgpr_spill_count: 0
    .symbol:         _ZN7rocprim17ROCPRIM_400000_NS6detail17trampoline_kernelINS0_14default_configENS1_32segmented_reduce_config_selectorIN3c108BFloat16EEEZNS1_21segmented_reduce_implIS3_PKS6_PS6_PKiS6_N6hipcub16HIPCUB_304000_NS6detail27convert_result_type_wrapperISA_SB_N2at6native12_GLOBAL__N_19CustomMinEEEEE10hipError_tPvRmT0_T1_jT2_SS_T4_T3_P12ihipStream_tbEUlT_E_NS1_11comp_targetILNS1_3genE10ELNS1_11target_archE1201ELNS1_3gpuE5ELNS1_3repE0EEENS1_30default_config_static_selectorELNS0_4arch9wavefront6targetE0EEEvSR_.kd
    .uniform_work_group_size: 1
    .uses_dynamic_stack: false
    .vgpr_count:     0
    .vgpr_spill_count: 0
    .wavefront_size: 32
  - .args:
      - .offset:         0
        .size:           48
        .value_kind:     by_value
    .group_segment_fixed_size: 0
    .kernarg_segment_align: 8
    .kernarg_segment_size: 48
    .language:       OpenCL C
    .language_version:
      - 2
      - 0
    .max_flat_workgroup_size: 256
    .name:           _ZN7rocprim17ROCPRIM_400000_NS6detail17trampoline_kernelINS0_14default_configENS1_32segmented_reduce_config_selectorIN3c108BFloat16EEEZNS1_21segmented_reduce_implIS3_PKS6_PS6_PKiS6_N6hipcub16HIPCUB_304000_NS6detail27convert_result_type_wrapperISA_SB_N2at6native12_GLOBAL__N_19CustomMinEEEEE10hipError_tPvRmT0_T1_jT2_SS_T4_T3_P12ihipStream_tbEUlT_E_NS1_11comp_targetILNS1_3genE4ELNS1_11target_archE910ELNS1_3gpuE8ELNS1_3repE0EEENS1_30default_config_static_selectorELNS0_4arch9wavefront6targetE0EEEvSR_
    .private_segment_fixed_size: 0
    .sgpr_count:     0
    .sgpr_spill_count: 0
    .symbol:         _ZN7rocprim17ROCPRIM_400000_NS6detail17trampoline_kernelINS0_14default_configENS1_32segmented_reduce_config_selectorIN3c108BFloat16EEEZNS1_21segmented_reduce_implIS3_PKS6_PS6_PKiS6_N6hipcub16HIPCUB_304000_NS6detail27convert_result_type_wrapperISA_SB_N2at6native12_GLOBAL__N_19CustomMinEEEEE10hipError_tPvRmT0_T1_jT2_SS_T4_T3_P12ihipStream_tbEUlT_E_NS1_11comp_targetILNS1_3genE4ELNS1_11target_archE910ELNS1_3gpuE8ELNS1_3repE0EEENS1_30default_config_static_selectorELNS0_4arch9wavefront6targetE0EEEvSR_.kd
    .uniform_work_group_size: 1
    .uses_dynamic_stack: false
    .vgpr_count:     0
    .vgpr_spill_count: 0
    .wavefront_size: 32
  - .args:
      - .offset:         0
        .size:           48
        .value_kind:     by_value
    .group_segment_fixed_size: 0
    .kernarg_segment_align: 8
    .kernarg_segment_size: 48
    .language:       OpenCL C
    .language_version:
      - 2
      - 0
    .max_flat_workgroup_size: 256
    .name:           _ZN7rocprim17ROCPRIM_400000_NS6detail17trampoline_kernelINS0_14default_configENS1_32segmented_reduce_config_selectorIN3c108BFloat16EEEZNS1_21segmented_reduce_implIS3_PKS6_PS6_PKiS6_N6hipcub16HIPCUB_304000_NS6detail27convert_result_type_wrapperISA_SB_N2at6native12_GLOBAL__N_19CustomMinEEEEE10hipError_tPvRmT0_T1_jT2_SS_T4_T3_P12ihipStream_tbEUlT_E_NS1_11comp_targetILNS1_3genE3ELNS1_11target_archE908ELNS1_3gpuE7ELNS1_3repE0EEENS1_30default_config_static_selectorELNS0_4arch9wavefront6targetE0EEEvSR_
    .private_segment_fixed_size: 0
    .sgpr_count:     0
    .sgpr_spill_count: 0
    .symbol:         _ZN7rocprim17ROCPRIM_400000_NS6detail17trampoline_kernelINS0_14default_configENS1_32segmented_reduce_config_selectorIN3c108BFloat16EEEZNS1_21segmented_reduce_implIS3_PKS6_PS6_PKiS6_N6hipcub16HIPCUB_304000_NS6detail27convert_result_type_wrapperISA_SB_N2at6native12_GLOBAL__N_19CustomMinEEEEE10hipError_tPvRmT0_T1_jT2_SS_T4_T3_P12ihipStream_tbEUlT_E_NS1_11comp_targetILNS1_3genE3ELNS1_11target_archE908ELNS1_3gpuE7ELNS1_3repE0EEENS1_30default_config_static_selectorELNS0_4arch9wavefront6targetE0EEEvSR_.kd
    .uniform_work_group_size: 1
    .uses_dynamic_stack: false
    .vgpr_count:     0
    .vgpr_spill_count: 0
    .wavefront_size: 32
  - .args:
      - .offset:         0
        .size:           48
        .value_kind:     by_value
    .group_segment_fixed_size: 0
    .kernarg_segment_align: 8
    .kernarg_segment_size: 48
    .language:       OpenCL C
    .language_version:
      - 2
      - 0
    .max_flat_workgroup_size: 256
    .name:           _ZN7rocprim17ROCPRIM_400000_NS6detail17trampoline_kernelINS0_14default_configENS1_32segmented_reduce_config_selectorIN3c108BFloat16EEEZNS1_21segmented_reduce_implIS3_PKS6_PS6_PKiS6_N6hipcub16HIPCUB_304000_NS6detail27convert_result_type_wrapperISA_SB_N2at6native12_GLOBAL__N_19CustomMinEEEEE10hipError_tPvRmT0_T1_jT2_SS_T4_T3_P12ihipStream_tbEUlT_E_NS1_11comp_targetILNS1_3genE2ELNS1_11target_archE906ELNS1_3gpuE6ELNS1_3repE0EEENS1_30default_config_static_selectorELNS0_4arch9wavefront6targetE0EEEvSR_
    .private_segment_fixed_size: 0
    .sgpr_count:     0
    .sgpr_spill_count: 0
    .symbol:         _ZN7rocprim17ROCPRIM_400000_NS6detail17trampoline_kernelINS0_14default_configENS1_32segmented_reduce_config_selectorIN3c108BFloat16EEEZNS1_21segmented_reduce_implIS3_PKS6_PS6_PKiS6_N6hipcub16HIPCUB_304000_NS6detail27convert_result_type_wrapperISA_SB_N2at6native12_GLOBAL__N_19CustomMinEEEEE10hipError_tPvRmT0_T1_jT2_SS_T4_T3_P12ihipStream_tbEUlT_E_NS1_11comp_targetILNS1_3genE2ELNS1_11target_archE906ELNS1_3gpuE6ELNS1_3repE0EEENS1_30default_config_static_selectorELNS0_4arch9wavefront6targetE0EEEvSR_.kd
    .uniform_work_group_size: 1
    .uses_dynamic_stack: false
    .vgpr_count:     0
    .vgpr_spill_count: 0
    .wavefront_size: 32
  - .args:
      - .offset:         0
        .size:           48
        .value_kind:     by_value
    .group_segment_fixed_size: 0
    .kernarg_segment_align: 8
    .kernarg_segment_size: 48
    .language:       OpenCL C
    .language_version:
      - 2
      - 0
    .max_flat_workgroup_size: 256
    .name:           _ZN7rocprim17ROCPRIM_400000_NS6detail17trampoline_kernelINS0_14default_configENS1_32segmented_reduce_config_selectorIN3c108BFloat16EEEZNS1_21segmented_reduce_implIS3_PKS6_PS6_PKiS6_N6hipcub16HIPCUB_304000_NS6detail27convert_result_type_wrapperISA_SB_N2at6native12_GLOBAL__N_19CustomMinEEEEE10hipError_tPvRmT0_T1_jT2_SS_T4_T3_P12ihipStream_tbEUlT_E_NS1_11comp_targetILNS1_3genE9ELNS1_11target_archE1100ELNS1_3gpuE3ELNS1_3repE0EEENS1_30default_config_static_selectorELNS0_4arch9wavefront6targetE0EEEvSR_
    .private_segment_fixed_size: 0
    .sgpr_count:     0
    .sgpr_spill_count: 0
    .symbol:         _ZN7rocprim17ROCPRIM_400000_NS6detail17trampoline_kernelINS0_14default_configENS1_32segmented_reduce_config_selectorIN3c108BFloat16EEEZNS1_21segmented_reduce_implIS3_PKS6_PS6_PKiS6_N6hipcub16HIPCUB_304000_NS6detail27convert_result_type_wrapperISA_SB_N2at6native12_GLOBAL__N_19CustomMinEEEEE10hipError_tPvRmT0_T1_jT2_SS_T4_T3_P12ihipStream_tbEUlT_E_NS1_11comp_targetILNS1_3genE9ELNS1_11target_archE1100ELNS1_3gpuE3ELNS1_3repE0EEENS1_30default_config_static_selectorELNS0_4arch9wavefront6targetE0EEEvSR_.kd
    .uniform_work_group_size: 1
    .uses_dynamic_stack: false
    .vgpr_count:     0
    .vgpr_spill_count: 0
    .wavefront_size: 32
  - .args:
      - .offset:         0
        .size:           48
        .value_kind:     by_value
    .group_segment_fixed_size: 0
    .kernarg_segment_align: 8
    .kernarg_segment_size: 48
    .language:       OpenCL C
    .language_version:
      - 2
      - 0
    .max_flat_workgroup_size: 256
    .name:           _ZN7rocprim17ROCPRIM_400000_NS6detail17trampoline_kernelINS0_14default_configENS1_32segmented_reduce_config_selectorIN3c108BFloat16EEEZNS1_21segmented_reduce_implIS3_PKS6_PS6_PKiS6_N6hipcub16HIPCUB_304000_NS6detail27convert_result_type_wrapperISA_SB_N2at6native12_GLOBAL__N_19CustomMinEEEEE10hipError_tPvRmT0_T1_jT2_SS_T4_T3_P12ihipStream_tbEUlT_E_NS1_11comp_targetILNS1_3genE8ELNS1_11target_archE1030ELNS1_3gpuE2ELNS1_3repE0EEENS1_30default_config_static_selectorELNS0_4arch9wavefront6targetE0EEEvSR_
    .private_segment_fixed_size: 0
    .sgpr_count:     0
    .sgpr_spill_count: 0
    .symbol:         _ZN7rocprim17ROCPRIM_400000_NS6detail17trampoline_kernelINS0_14default_configENS1_32segmented_reduce_config_selectorIN3c108BFloat16EEEZNS1_21segmented_reduce_implIS3_PKS6_PS6_PKiS6_N6hipcub16HIPCUB_304000_NS6detail27convert_result_type_wrapperISA_SB_N2at6native12_GLOBAL__N_19CustomMinEEEEE10hipError_tPvRmT0_T1_jT2_SS_T4_T3_P12ihipStream_tbEUlT_E_NS1_11comp_targetILNS1_3genE8ELNS1_11target_archE1030ELNS1_3gpuE2ELNS1_3repE0EEENS1_30default_config_static_selectorELNS0_4arch9wavefront6targetE0EEEvSR_.kd
    .uniform_work_group_size: 1
    .uses_dynamic_stack: false
    .vgpr_count:     0
    .vgpr_spill_count: 0
    .wavefront_size: 32
  - .args:
      - .offset:         0
        .size:           48
        .value_kind:     by_value
    .group_segment_fixed_size: 16
    .kernarg_segment_align: 8
    .kernarg_segment_size: 48
    .language:       OpenCL C
    .language_version:
      - 2
      - 0
    .max_flat_workgroup_size: 256
    .name:           _ZN7rocprim17ROCPRIM_400000_NS6detail17trampoline_kernelINS0_14default_configENS1_32segmented_reduce_config_selectorIN3c108BFloat16EEEZNS1_21segmented_reduce_implIS3_PKS6_PS6_PKiS6_N6hipcub16HIPCUB_304000_NS6detail27convert_result_type_wrapperISA_SB_N2at6native12_GLOBAL__N_110CustomProdEEEEE10hipError_tPvRmT0_T1_jT2_SS_T4_T3_P12ihipStream_tbEUlT_E_NS1_11comp_targetILNS1_3genE0ELNS1_11target_archE4294967295ELNS1_3gpuE0ELNS1_3repE0EEENS1_30default_config_static_selectorELNS0_4arch9wavefront6targetE0EEEvSR_
    .private_segment_fixed_size: 0
    .sgpr_count:     32
    .sgpr_spill_count: 0
    .symbol:         _ZN7rocprim17ROCPRIM_400000_NS6detail17trampoline_kernelINS0_14default_configENS1_32segmented_reduce_config_selectorIN3c108BFloat16EEEZNS1_21segmented_reduce_implIS3_PKS6_PS6_PKiS6_N6hipcub16HIPCUB_304000_NS6detail27convert_result_type_wrapperISA_SB_N2at6native12_GLOBAL__N_110CustomProdEEEEE10hipError_tPvRmT0_T1_jT2_SS_T4_T3_P12ihipStream_tbEUlT_E_NS1_11comp_targetILNS1_3genE0ELNS1_11target_archE4294967295ELNS1_3gpuE0ELNS1_3repE0EEENS1_30default_config_static_selectorELNS0_4arch9wavefront6targetE0EEEvSR_.kd
    .uniform_work_group_size: 1
    .uses_dynamic_stack: false
    .vgpr_count:     24
    .vgpr_spill_count: 0
    .wavefront_size: 32
  - .args:
      - .offset:         0
        .size:           48
        .value_kind:     by_value
    .group_segment_fixed_size: 0
    .kernarg_segment_align: 8
    .kernarg_segment_size: 48
    .language:       OpenCL C
    .language_version:
      - 2
      - 0
    .max_flat_workgroup_size: 256
    .name:           _ZN7rocprim17ROCPRIM_400000_NS6detail17trampoline_kernelINS0_14default_configENS1_32segmented_reduce_config_selectorIN3c108BFloat16EEEZNS1_21segmented_reduce_implIS3_PKS6_PS6_PKiS6_N6hipcub16HIPCUB_304000_NS6detail27convert_result_type_wrapperISA_SB_N2at6native12_GLOBAL__N_110CustomProdEEEEE10hipError_tPvRmT0_T1_jT2_SS_T4_T3_P12ihipStream_tbEUlT_E_NS1_11comp_targetILNS1_3genE5ELNS1_11target_archE942ELNS1_3gpuE9ELNS1_3repE0EEENS1_30default_config_static_selectorELNS0_4arch9wavefront6targetE0EEEvSR_
    .private_segment_fixed_size: 0
    .sgpr_count:     0
    .sgpr_spill_count: 0
    .symbol:         _ZN7rocprim17ROCPRIM_400000_NS6detail17trampoline_kernelINS0_14default_configENS1_32segmented_reduce_config_selectorIN3c108BFloat16EEEZNS1_21segmented_reduce_implIS3_PKS6_PS6_PKiS6_N6hipcub16HIPCUB_304000_NS6detail27convert_result_type_wrapperISA_SB_N2at6native12_GLOBAL__N_110CustomProdEEEEE10hipError_tPvRmT0_T1_jT2_SS_T4_T3_P12ihipStream_tbEUlT_E_NS1_11comp_targetILNS1_3genE5ELNS1_11target_archE942ELNS1_3gpuE9ELNS1_3repE0EEENS1_30default_config_static_selectorELNS0_4arch9wavefront6targetE0EEEvSR_.kd
    .uniform_work_group_size: 1
    .uses_dynamic_stack: false
    .vgpr_count:     0
    .vgpr_spill_count: 0
    .wavefront_size: 32
  - .args:
      - .offset:         0
        .size:           48
        .value_kind:     by_value
    .group_segment_fixed_size: 0
    .kernarg_segment_align: 8
    .kernarg_segment_size: 48
    .language:       OpenCL C
    .language_version:
      - 2
      - 0
    .max_flat_workgroup_size: 256
    .name:           _ZN7rocprim17ROCPRIM_400000_NS6detail17trampoline_kernelINS0_14default_configENS1_32segmented_reduce_config_selectorIN3c108BFloat16EEEZNS1_21segmented_reduce_implIS3_PKS6_PS6_PKiS6_N6hipcub16HIPCUB_304000_NS6detail27convert_result_type_wrapperISA_SB_N2at6native12_GLOBAL__N_110CustomProdEEEEE10hipError_tPvRmT0_T1_jT2_SS_T4_T3_P12ihipStream_tbEUlT_E_NS1_11comp_targetILNS1_3genE10ELNS1_11target_archE1201ELNS1_3gpuE5ELNS1_3repE0EEENS1_30default_config_static_selectorELNS0_4arch9wavefront6targetE0EEEvSR_
    .private_segment_fixed_size: 0
    .sgpr_count:     0
    .sgpr_spill_count: 0
    .symbol:         _ZN7rocprim17ROCPRIM_400000_NS6detail17trampoline_kernelINS0_14default_configENS1_32segmented_reduce_config_selectorIN3c108BFloat16EEEZNS1_21segmented_reduce_implIS3_PKS6_PS6_PKiS6_N6hipcub16HIPCUB_304000_NS6detail27convert_result_type_wrapperISA_SB_N2at6native12_GLOBAL__N_110CustomProdEEEEE10hipError_tPvRmT0_T1_jT2_SS_T4_T3_P12ihipStream_tbEUlT_E_NS1_11comp_targetILNS1_3genE10ELNS1_11target_archE1201ELNS1_3gpuE5ELNS1_3repE0EEENS1_30default_config_static_selectorELNS0_4arch9wavefront6targetE0EEEvSR_.kd
    .uniform_work_group_size: 1
    .uses_dynamic_stack: false
    .vgpr_count:     0
    .vgpr_spill_count: 0
    .wavefront_size: 32
  - .args:
      - .offset:         0
        .size:           48
        .value_kind:     by_value
    .group_segment_fixed_size: 0
    .kernarg_segment_align: 8
    .kernarg_segment_size: 48
    .language:       OpenCL C
    .language_version:
      - 2
      - 0
    .max_flat_workgroup_size: 256
    .name:           _ZN7rocprim17ROCPRIM_400000_NS6detail17trampoline_kernelINS0_14default_configENS1_32segmented_reduce_config_selectorIN3c108BFloat16EEEZNS1_21segmented_reduce_implIS3_PKS6_PS6_PKiS6_N6hipcub16HIPCUB_304000_NS6detail27convert_result_type_wrapperISA_SB_N2at6native12_GLOBAL__N_110CustomProdEEEEE10hipError_tPvRmT0_T1_jT2_SS_T4_T3_P12ihipStream_tbEUlT_E_NS1_11comp_targetILNS1_3genE4ELNS1_11target_archE910ELNS1_3gpuE8ELNS1_3repE0EEENS1_30default_config_static_selectorELNS0_4arch9wavefront6targetE0EEEvSR_
    .private_segment_fixed_size: 0
    .sgpr_count:     0
    .sgpr_spill_count: 0
    .symbol:         _ZN7rocprim17ROCPRIM_400000_NS6detail17trampoline_kernelINS0_14default_configENS1_32segmented_reduce_config_selectorIN3c108BFloat16EEEZNS1_21segmented_reduce_implIS3_PKS6_PS6_PKiS6_N6hipcub16HIPCUB_304000_NS6detail27convert_result_type_wrapperISA_SB_N2at6native12_GLOBAL__N_110CustomProdEEEEE10hipError_tPvRmT0_T1_jT2_SS_T4_T3_P12ihipStream_tbEUlT_E_NS1_11comp_targetILNS1_3genE4ELNS1_11target_archE910ELNS1_3gpuE8ELNS1_3repE0EEENS1_30default_config_static_selectorELNS0_4arch9wavefront6targetE0EEEvSR_.kd
    .uniform_work_group_size: 1
    .uses_dynamic_stack: false
    .vgpr_count:     0
    .vgpr_spill_count: 0
    .wavefront_size: 32
  - .args:
      - .offset:         0
        .size:           48
        .value_kind:     by_value
    .group_segment_fixed_size: 0
    .kernarg_segment_align: 8
    .kernarg_segment_size: 48
    .language:       OpenCL C
    .language_version:
      - 2
      - 0
    .max_flat_workgroup_size: 256
    .name:           _ZN7rocprim17ROCPRIM_400000_NS6detail17trampoline_kernelINS0_14default_configENS1_32segmented_reduce_config_selectorIN3c108BFloat16EEEZNS1_21segmented_reduce_implIS3_PKS6_PS6_PKiS6_N6hipcub16HIPCUB_304000_NS6detail27convert_result_type_wrapperISA_SB_N2at6native12_GLOBAL__N_110CustomProdEEEEE10hipError_tPvRmT0_T1_jT2_SS_T4_T3_P12ihipStream_tbEUlT_E_NS1_11comp_targetILNS1_3genE3ELNS1_11target_archE908ELNS1_3gpuE7ELNS1_3repE0EEENS1_30default_config_static_selectorELNS0_4arch9wavefront6targetE0EEEvSR_
    .private_segment_fixed_size: 0
    .sgpr_count:     0
    .sgpr_spill_count: 0
    .symbol:         _ZN7rocprim17ROCPRIM_400000_NS6detail17trampoline_kernelINS0_14default_configENS1_32segmented_reduce_config_selectorIN3c108BFloat16EEEZNS1_21segmented_reduce_implIS3_PKS6_PS6_PKiS6_N6hipcub16HIPCUB_304000_NS6detail27convert_result_type_wrapperISA_SB_N2at6native12_GLOBAL__N_110CustomProdEEEEE10hipError_tPvRmT0_T1_jT2_SS_T4_T3_P12ihipStream_tbEUlT_E_NS1_11comp_targetILNS1_3genE3ELNS1_11target_archE908ELNS1_3gpuE7ELNS1_3repE0EEENS1_30default_config_static_selectorELNS0_4arch9wavefront6targetE0EEEvSR_.kd
    .uniform_work_group_size: 1
    .uses_dynamic_stack: false
    .vgpr_count:     0
    .vgpr_spill_count: 0
    .wavefront_size: 32
  - .args:
      - .offset:         0
        .size:           48
        .value_kind:     by_value
    .group_segment_fixed_size: 0
    .kernarg_segment_align: 8
    .kernarg_segment_size: 48
    .language:       OpenCL C
    .language_version:
      - 2
      - 0
    .max_flat_workgroup_size: 256
    .name:           _ZN7rocprim17ROCPRIM_400000_NS6detail17trampoline_kernelINS0_14default_configENS1_32segmented_reduce_config_selectorIN3c108BFloat16EEEZNS1_21segmented_reduce_implIS3_PKS6_PS6_PKiS6_N6hipcub16HIPCUB_304000_NS6detail27convert_result_type_wrapperISA_SB_N2at6native12_GLOBAL__N_110CustomProdEEEEE10hipError_tPvRmT0_T1_jT2_SS_T4_T3_P12ihipStream_tbEUlT_E_NS1_11comp_targetILNS1_3genE2ELNS1_11target_archE906ELNS1_3gpuE6ELNS1_3repE0EEENS1_30default_config_static_selectorELNS0_4arch9wavefront6targetE0EEEvSR_
    .private_segment_fixed_size: 0
    .sgpr_count:     0
    .sgpr_spill_count: 0
    .symbol:         _ZN7rocprim17ROCPRIM_400000_NS6detail17trampoline_kernelINS0_14default_configENS1_32segmented_reduce_config_selectorIN3c108BFloat16EEEZNS1_21segmented_reduce_implIS3_PKS6_PS6_PKiS6_N6hipcub16HIPCUB_304000_NS6detail27convert_result_type_wrapperISA_SB_N2at6native12_GLOBAL__N_110CustomProdEEEEE10hipError_tPvRmT0_T1_jT2_SS_T4_T3_P12ihipStream_tbEUlT_E_NS1_11comp_targetILNS1_3genE2ELNS1_11target_archE906ELNS1_3gpuE6ELNS1_3repE0EEENS1_30default_config_static_selectorELNS0_4arch9wavefront6targetE0EEEvSR_.kd
    .uniform_work_group_size: 1
    .uses_dynamic_stack: false
    .vgpr_count:     0
    .vgpr_spill_count: 0
    .wavefront_size: 32
  - .args:
      - .offset:         0
        .size:           48
        .value_kind:     by_value
    .group_segment_fixed_size: 0
    .kernarg_segment_align: 8
    .kernarg_segment_size: 48
    .language:       OpenCL C
    .language_version:
      - 2
      - 0
    .max_flat_workgroup_size: 256
    .name:           _ZN7rocprim17ROCPRIM_400000_NS6detail17trampoline_kernelINS0_14default_configENS1_32segmented_reduce_config_selectorIN3c108BFloat16EEEZNS1_21segmented_reduce_implIS3_PKS6_PS6_PKiS6_N6hipcub16HIPCUB_304000_NS6detail27convert_result_type_wrapperISA_SB_N2at6native12_GLOBAL__N_110CustomProdEEEEE10hipError_tPvRmT0_T1_jT2_SS_T4_T3_P12ihipStream_tbEUlT_E_NS1_11comp_targetILNS1_3genE9ELNS1_11target_archE1100ELNS1_3gpuE3ELNS1_3repE0EEENS1_30default_config_static_selectorELNS0_4arch9wavefront6targetE0EEEvSR_
    .private_segment_fixed_size: 0
    .sgpr_count:     0
    .sgpr_spill_count: 0
    .symbol:         _ZN7rocprim17ROCPRIM_400000_NS6detail17trampoline_kernelINS0_14default_configENS1_32segmented_reduce_config_selectorIN3c108BFloat16EEEZNS1_21segmented_reduce_implIS3_PKS6_PS6_PKiS6_N6hipcub16HIPCUB_304000_NS6detail27convert_result_type_wrapperISA_SB_N2at6native12_GLOBAL__N_110CustomProdEEEEE10hipError_tPvRmT0_T1_jT2_SS_T4_T3_P12ihipStream_tbEUlT_E_NS1_11comp_targetILNS1_3genE9ELNS1_11target_archE1100ELNS1_3gpuE3ELNS1_3repE0EEENS1_30default_config_static_selectorELNS0_4arch9wavefront6targetE0EEEvSR_.kd
    .uniform_work_group_size: 1
    .uses_dynamic_stack: false
    .vgpr_count:     0
    .vgpr_spill_count: 0
    .wavefront_size: 32
  - .args:
      - .offset:         0
        .size:           48
        .value_kind:     by_value
    .group_segment_fixed_size: 0
    .kernarg_segment_align: 8
    .kernarg_segment_size: 48
    .language:       OpenCL C
    .language_version:
      - 2
      - 0
    .max_flat_workgroup_size: 256
    .name:           _ZN7rocprim17ROCPRIM_400000_NS6detail17trampoline_kernelINS0_14default_configENS1_32segmented_reduce_config_selectorIN3c108BFloat16EEEZNS1_21segmented_reduce_implIS3_PKS6_PS6_PKiS6_N6hipcub16HIPCUB_304000_NS6detail27convert_result_type_wrapperISA_SB_N2at6native12_GLOBAL__N_110CustomProdEEEEE10hipError_tPvRmT0_T1_jT2_SS_T4_T3_P12ihipStream_tbEUlT_E_NS1_11comp_targetILNS1_3genE8ELNS1_11target_archE1030ELNS1_3gpuE2ELNS1_3repE0EEENS1_30default_config_static_selectorELNS0_4arch9wavefront6targetE0EEEvSR_
    .private_segment_fixed_size: 0
    .sgpr_count:     0
    .sgpr_spill_count: 0
    .symbol:         _ZN7rocprim17ROCPRIM_400000_NS6detail17trampoline_kernelINS0_14default_configENS1_32segmented_reduce_config_selectorIN3c108BFloat16EEEZNS1_21segmented_reduce_implIS3_PKS6_PS6_PKiS6_N6hipcub16HIPCUB_304000_NS6detail27convert_result_type_wrapperISA_SB_N2at6native12_GLOBAL__N_110CustomProdEEEEE10hipError_tPvRmT0_T1_jT2_SS_T4_T3_P12ihipStream_tbEUlT_E_NS1_11comp_targetILNS1_3genE8ELNS1_11target_archE1030ELNS1_3gpuE2ELNS1_3repE0EEENS1_30default_config_static_selectorELNS0_4arch9wavefront6targetE0EEEvSR_.kd
    .uniform_work_group_size: 1
    .uses_dynamic_stack: false
    .vgpr_count:     0
    .vgpr_spill_count: 0
    .wavefront_size: 32
  - .args:
      - .offset:         0
        .size:           4
        .value_kind:     by_value
      - .address_space:  global
        .offset:         8
        .size:           8
        .value_kind:     global_buffer
      - .address_space:  global
        .offset:         16
        .size:           8
        .value_kind:     global_buffer
      - .address_space:  global
        .offset:         24
        .size:           8
        .value_kind:     global_buffer
      - .address_space:  global
        .offset:         32
        .size:           8
        .value_kind:     global_buffer
      - .offset:         40
        .size:           8
        .value_kind:     by_value
      - .offset:         48
        .size:           8
        .value_kind:     by_value
      - .offset:         56
        .size:           1
        .value_kind:     by_value
      - .offset:         64
        .size:           8
        .value_kind:     by_value
      - .offset:         72
        .size:           8
        .value_kind:     by_value
      - .offset:         80
        .size:           8
        .value_kind:     by_value
      - .offset:         88
        .size:           8
        .value_kind:     by_value
      - .offset:         96
        .size:           8
        .value_kind:     by_value
      - .offset:         104
        .size:           8
        .value_kind:     by_value
      - .offset:         112
        .size:           8
        .value_kind:     by_value
      - .offset:         120
        .size:           8
        .value_kind:     by_value
      - .offset:         128
        .size:           4
        .value_kind:     hidden_block_count_x
      - .offset:         132
        .size:           4
        .value_kind:     hidden_block_count_y
      - .offset:         136
        .size:           4
        .value_kind:     hidden_block_count_z
      - .offset:         140
        .size:           2
        .value_kind:     hidden_group_size_x
      - .offset:         142
        .size:           2
        .value_kind:     hidden_group_size_y
      - .offset:         144
        .size:           2
        .value_kind:     hidden_group_size_z
      - .offset:         146
        .size:           2
        .value_kind:     hidden_remainder_x
      - .offset:         148
        .size:           2
        .value_kind:     hidden_remainder_y
      - .offset:         150
        .size:           2
        .value_kind:     hidden_remainder_z
      - .offset:         168
        .size:           8
        .value_kind:     hidden_global_offset_x
      - .offset:         176
        .size:           8
        .value_kind:     hidden_global_offset_y
      - .offset:         184
        .size:           8
        .value_kind:     hidden_global_offset_z
      - .offset:         192
        .size:           2
        .value_kind:     hidden_grid_dims
    .group_segment_fixed_size: 0
    .kernarg_segment_align: 8
    .kernarg_segment_size: 384
    .language:       OpenCL C
    .language_version:
      - 2
      - 0
    .max_flat_workgroup_size: 1024
    .name:           _ZN2at6native12_GLOBAL__N_129segment_reduce_forward_kernelIdlEEvNS0_13ReductionTypeEPT_PKS4_PKT0_SA_llbS4_lllllll
    .private_segment_fixed_size: 0
    .sgpr_count:     48
    .sgpr_spill_count: 0
    .symbol:         _ZN2at6native12_GLOBAL__N_129segment_reduce_forward_kernelIdlEEvNS0_13ReductionTypeEPT_PKS4_PKT0_SA_llbS4_lllllll.kd
    .uniform_work_group_size: 1
    .uses_dynamic_stack: false
    .vgpr_count:     22
    .vgpr_spill_count: 0
    .wavefront_size: 32
  - .args:
      - .offset:         0
        .size:           56
        .value_kind:     by_value
    .group_segment_fixed_size: 64
    .kernarg_segment_align: 8
    .kernarg_segment_size: 56
    .language:       OpenCL C
    .language_version:
      - 2
      - 0
    .max_flat_workgroup_size: 256
    .name:           _ZN7rocprim17ROCPRIM_400000_NS6detail17trampoline_kernelINS0_14default_configENS1_32segmented_reduce_config_selectorIdEEZNS1_21segmented_reduce_implIS3_PKdPdPKldN6hipcub16HIPCUB_304000_NS6detail27convert_result_type_wrapperIS8_S9_N2at6native12_GLOBAL__N_19CustomMaxEEEEE10hipError_tPvRmT0_T1_jT2_SQ_T4_T3_P12ihipStream_tbEUlT_E_NS1_11comp_targetILNS1_3genE0ELNS1_11target_archE4294967295ELNS1_3gpuE0ELNS1_3repE0EEENS1_30default_config_static_selectorELNS0_4arch9wavefront6targetE0EEEvSP_
    .private_segment_fixed_size: 0
    .sgpr_count:     24
    .sgpr_spill_count: 0
    .symbol:         _ZN7rocprim17ROCPRIM_400000_NS6detail17trampoline_kernelINS0_14default_configENS1_32segmented_reduce_config_selectorIdEEZNS1_21segmented_reduce_implIS3_PKdPdPKldN6hipcub16HIPCUB_304000_NS6detail27convert_result_type_wrapperIS8_S9_N2at6native12_GLOBAL__N_19CustomMaxEEEEE10hipError_tPvRmT0_T1_jT2_SQ_T4_T3_P12ihipStream_tbEUlT_E_NS1_11comp_targetILNS1_3genE0ELNS1_11target_archE4294967295ELNS1_3gpuE0ELNS1_3repE0EEENS1_30default_config_static_selectorELNS0_4arch9wavefront6targetE0EEEvSP_.kd
    .uniform_work_group_size: 1
    .uses_dynamic_stack: false
    .vgpr_count:     26
    .vgpr_spill_count: 0
    .wavefront_size: 32
  - .args:
      - .offset:         0
        .size:           56
        .value_kind:     by_value
    .group_segment_fixed_size: 0
    .kernarg_segment_align: 8
    .kernarg_segment_size: 56
    .language:       OpenCL C
    .language_version:
      - 2
      - 0
    .max_flat_workgroup_size: 256
    .name:           _ZN7rocprim17ROCPRIM_400000_NS6detail17trampoline_kernelINS0_14default_configENS1_32segmented_reduce_config_selectorIdEEZNS1_21segmented_reduce_implIS3_PKdPdPKldN6hipcub16HIPCUB_304000_NS6detail27convert_result_type_wrapperIS8_S9_N2at6native12_GLOBAL__N_19CustomMaxEEEEE10hipError_tPvRmT0_T1_jT2_SQ_T4_T3_P12ihipStream_tbEUlT_E_NS1_11comp_targetILNS1_3genE5ELNS1_11target_archE942ELNS1_3gpuE9ELNS1_3repE0EEENS1_30default_config_static_selectorELNS0_4arch9wavefront6targetE0EEEvSP_
    .private_segment_fixed_size: 0
    .sgpr_count:     0
    .sgpr_spill_count: 0
    .symbol:         _ZN7rocprim17ROCPRIM_400000_NS6detail17trampoline_kernelINS0_14default_configENS1_32segmented_reduce_config_selectorIdEEZNS1_21segmented_reduce_implIS3_PKdPdPKldN6hipcub16HIPCUB_304000_NS6detail27convert_result_type_wrapperIS8_S9_N2at6native12_GLOBAL__N_19CustomMaxEEEEE10hipError_tPvRmT0_T1_jT2_SQ_T4_T3_P12ihipStream_tbEUlT_E_NS1_11comp_targetILNS1_3genE5ELNS1_11target_archE942ELNS1_3gpuE9ELNS1_3repE0EEENS1_30default_config_static_selectorELNS0_4arch9wavefront6targetE0EEEvSP_.kd
    .uniform_work_group_size: 1
    .uses_dynamic_stack: false
    .vgpr_count:     0
    .vgpr_spill_count: 0
    .wavefront_size: 32
  - .args:
      - .offset:         0
        .size:           56
        .value_kind:     by_value
    .group_segment_fixed_size: 0
    .kernarg_segment_align: 8
    .kernarg_segment_size: 56
    .language:       OpenCL C
    .language_version:
      - 2
      - 0
    .max_flat_workgroup_size: 256
    .name:           _ZN7rocprim17ROCPRIM_400000_NS6detail17trampoline_kernelINS0_14default_configENS1_32segmented_reduce_config_selectorIdEEZNS1_21segmented_reduce_implIS3_PKdPdPKldN6hipcub16HIPCUB_304000_NS6detail27convert_result_type_wrapperIS8_S9_N2at6native12_GLOBAL__N_19CustomMaxEEEEE10hipError_tPvRmT0_T1_jT2_SQ_T4_T3_P12ihipStream_tbEUlT_E_NS1_11comp_targetILNS1_3genE10ELNS1_11target_archE1201ELNS1_3gpuE5ELNS1_3repE0EEENS1_30default_config_static_selectorELNS0_4arch9wavefront6targetE0EEEvSP_
    .private_segment_fixed_size: 0
    .sgpr_count:     0
    .sgpr_spill_count: 0
    .symbol:         _ZN7rocprim17ROCPRIM_400000_NS6detail17trampoline_kernelINS0_14default_configENS1_32segmented_reduce_config_selectorIdEEZNS1_21segmented_reduce_implIS3_PKdPdPKldN6hipcub16HIPCUB_304000_NS6detail27convert_result_type_wrapperIS8_S9_N2at6native12_GLOBAL__N_19CustomMaxEEEEE10hipError_tPvRmT0_T1_jT2_SQ_T4_T3_P12ihipStream_tbEUlT_E_NS1_11comp_targetILNS1_3genE10ELNS1_11target_archE1201ELNS1_3gpuE5ELNS1_3repE0EEENS1_30default_config_static_selectorELNS0_4arch9wavefront6targetE0EEEvSP_.kd
    .uniform_work_group_size: 1
    .uses_dynamic_stack: false
    .vgpr_count:     0
    .vgpr_spill_count: 0
    .wavefront_size: 32
  - .args:
      - .offset:         0
        .size:           56
        .value_kind:     by_value
    .group_segment_fixed_size: 0
    .kernarg_segment_align: 8
    .kernarg_segment_size: 56
    .language:       OpenCL C
    .language_version:
      - 2
      - 0
    .max_flat_workgroup_size: 256
    .name:           _ZN7rocprim17ROCPRIM_400000_NS6detail17trampoline_kernelINS0_14default_configENS1_32segmented_reduce_config_selectorIdEEZNS1_21segmented_reduce_implIS3_PKdPdPKldN6hipcub16HIPCUB_304000_NS6detail27convert_result_type_wrapperIS8_S9_N2at6native12_GLOBAL__N_19CustomMaxEEEEE10hipError_tPvRmT0_T1_jT2_SQ_T4_T3_P12ihipStream_tbEUlT_E_NS1_11comp_targetILNS1_3genE4ELNS1_11target_archE910ELNS1_3gpuE8ELNS1_3repE0EEENS1_30default_config_static_selectorELNS0_4arch9wavefront6targetE0EEEvSP_
    .private_segment_fixed_size: 0
    .sgpr_count:     0
    .sgpr_spill_count: 0
    .symbol:         _ZN7rocprim17ROCPRIM_400000_NS6detail17trampoline_kernelINS0_14default_configENS1_32segmented_reduce_config_selectorIdEEZNS1_21segmented_reduce_implIS3_PKdPdPKldN6hipcub16HIPCUB_304000_NS6detail27convert_result_type_wrapperIS8_S9_N2at6native12_GLOBAL__N_19CustomMaxEEEEE10hipError_tPvRmT0_T1_jT2_SQ_T4_T3_P12ihipStream_tbEUlT_E_NS1_11comp_targetILNS1_3genE4ELNS1_11target_archE910ELNS1_3gpuE8ELNS1_3repE0EEENS1_30default_config_static_selectorELNS0_4arch9wavefront6targetE0EEEvSP_.kd
    .uniform_work_group_size: 1
    .uses_dynamic_stack: false
    .vgpr_count:     0
    .vgpr_spill_count: 0
    .wavefront_size: 32
  - .args:
      - .offset:         0
        .size:           56
        .value_kind:     by_value
    .group_segment_fixed_size: 0
    .kernarg_segment_align: 8
    .kernarg_segment_size: 56
    .language:       OpenCL C
    .language_version:
      - 2
      - 0
    .max_flat_workgroup_size: 256
    .name:           _ZN7rocprim17ROCPRIM_400000_NS6detail17trampoline_kernelINS0_14default_configENS1_32segmented_reduce_config_selectorIdEEZNS1_21segmented_reduce_implIS3_PKdPdPKldN6hipcub16HIPCUB_304000_NS6detail27convert_result_type_wrapperIS8_S9_N2at6native12_GLOBAL__N_19CustomMaxEEEEE10hipError_tPvRmT0_T1_jT2_SQ_T4_T3_P12ihipStream_tbEUlT_E_NS1_11comp_targetILNS1_3genE3ELNS1_11target_archE908ELNS1_3gpuE7ELNS1_3repE0EEENS1_30default_config_static_selectorELNS0_4arch9wavefront6targetE0EEEvSP_
    .private_segment_fixed_size: 0
    .sgpr_count:     0
    .sgpr_spill_count: 0
    .symbol:         _ZN7rocprim17ROCPRIM_400000_NS6detail17trampoline_kernelINS0_14default_configENS1_32segmented_reduce_config_selectorIdEEZNS1_21segmented_reduce_implIS3_PKdPdPKldN6hipcub16HIPCUB_304000_NS6detail27convert_result_type_wrapperIS8_S9_N2at6native12_GLOBAL__N_19CustomMaxEEEEE10hipError_tPvRmT0_T1_jT2_SQ_T4_T3_P12ihipStream_tbEUlT_E_NS1_11comp_targetILNS1_3genE3ELNS1_11target_archE908ELNS1_3gpuE7ELNS1_3repE0EEENS1_30default_config_static_selectorELNS0_4arch9wavefront6targetE0EEEvSP_.kd
    .uniform_work_group_size: 1
    .uses_dynamic_stack: false
    .vgpr_count:     0
    .vgpr_spill_count: 0
    .wavefront_size: 32
  - .args:
      - .offset:         0
        .size:           56
        .value_kind:     by_value
    .group_segment_fixed_size: 0
    .kernarg_segment_align: 8
    .kernarg_segment_size: 56
    .language:       OpenCL C
    .language_version:
      - 2
      - 0
    .max_flat_workgroup_size: 256
    .name:           _ZN7rocprim17ROCPRIM_400000_NS6detail17trampoline_kernelINS0_14default_configENS1_32segmented_reduce_config_selectorIdEEZNS1_21segmented_reduce_implIS3_PKdPdPKldN6hipcub16HIPCUB_304000_NS6detail27convert_result_type_wrapperIS8_S9_N2at6native12_GLOBAL__N_19CustomMaxEEEEE10hipError_tPvRmT0_T1_jT2_SQ_T4_T3_P12ihipStream_tbEUlT_E_NS1_11comp_targetILNS1_3genE2ELNS1_11target_archE906ELNS1_3gpuE6ELNS1_3repE0EEENS1_30default_config_static_selectorELNS0_4arch9wavefront6targetE0EEEvSP_
    .private_segment_fixed_size: 0
    .sgpr_count:     0
    .sgpr_spill_count: 0
    .symbol:         _ZN7rocprim17ROCPRIM_400000_NS6detail17trampoline_kernelINS0_14default_configENS1_32segmented_reduce_config_selectorIdEEZNS1_21segmented_reduce_implIS3_PKdPdPKldN6hipcub16HIPCUB_304000_NS6detail27convert_result_type_wrapperIS8_S9_N2at6native12_GLOBAL__N_19CustomMaxEEEEE10hipError_tPvRmT0_T1_jT2_SQ_T4_T3_P12ihipStream_tbEUlT_E_NS1_11comp_targetILNS1_3genE2ELNS1_11target_archE906ELNS1_3gpuE6ELNS1_3repE0EEENS1_30default_config_static_selectorELNS0_4arch9wavefront6targetE0EEEvSP_.kd
    .uniform_work_group_size: 1
    .uses_dynamic_stack: false
    .vgpr_count:     0
    .vgpr_spill_count: 0
    .wavefront_size: 32
  - .args:
      - .offset:         0
        .size:           56
        .value_kind:     by_value
    .group_segment_fixed_size: 0
    .kernarg_segment_align: 8
    .kernarg_segment_size: 56
    .language:       OpenCL C
    .language_version:
      - 2
      - 0
    .max_flat_workgroup_size: 256
    .name:           _ZN7rocprim17ROCPRIM_400000_NS6detail17trampoline_kernelINS0_14default_configENS1_32segmented_reduce_config_selectorIdEEZNS1_21segmented_reduce_implIS3_PKdPdPKldN6hipcub16HIPCUB_304000_NS6detail27convert_result_type_wrapperIS8_S9_N2at6native12_GLOBAL__N_19CustomMaxEEEEE10hipError_tPvRmT0_T1_jT2_SQ_T4_T3_P12ihipStream_tbEUlT_E_NS1_11comp_targetILNS1_3genE9ELNS1_11target_archE1100ELNS1_3gpuE3ELNS1_3repE0EEENS1_30default_config_static_selectorELNS0_4arch9wavefront6targetE0EEEvSP_
    .private_segment_fixed_size: 0
    .sgpr_count:     0
    .sgpr_spill_count: 0
    .symbol:         _ZN7rocprim17ROCPRIM_400000_NS6detail17trampoline_kernelINS0_14default_configENS1_32segmented_reduce_config_selectorIdEEZNS1_21segmented_reduce_implIS3_PKdPdPKldN6hipcub16HIPCUB_304000_NS6detail27convert_result_type_wrapperIS8_S9_N2at6native12_GLOBAL__N_19CustomMaxEEEEE10hipError_tPvRmT0_T1_jT2_SQ_T4_T3_P12ihipStream_tbEUlT_E_NS1_11comp_targetILNS1_3genE9ELNS1_11target_archE1100ELNS1_3gpuE3ELNS1_3repE0EEENS1_30default_config_static_selectorELNS0_4arch9wavefront6targetE0EEEvSP_.kd
    .uniform_work_group_size: 1
    .uses_dynamic_stack: false
    .vgpr_count:     0
    .vgpr_spill_count: 0
    .wavefront_size: 32
  - .args:
      - .offset:         0
        .size:           56
        .value_kind:     by_value
    .group_segment_fixed_size: 0
    .kernarg_segment_align: 8
    .kernarg_segment_size: 56
    .language:       OpenCL C
    .language_version:
      - 2
      - 0
    .max_flat_workgroup_size: 256
    .name:           _ZN7rocprim17ROCPRIM_400000_NS6detail17trampoline_kernelINS0_14default_configENS1_32segmented_reduce_config_selectorIdEEZNS1_21segmented_reduce_implIS3_PKdPdPKldN6hipcub16HIPCUB_304000_NS6detail27convert_result_type_wrapperIS8_S9_N2at6native12_GLOBAL__N_19CustomMaxEEEEE10hipError_tPvRmT0_T1_jT2_SQ_T4_T3_P12ihipStream_tbEUlT_E_NS1_11comp_targetILNS1_3genE8ELNS1_11target_archE1030ELNS1_3gpuE2ELNS1_3repE0EEENS1_30default_config_static_selectorELNS0_4arch9wavefront6targetE0EEEvSP_
    .private_segment_fixed_size: 0
    .sgpr_count:     0
    .sgpr_spill_count: 0
    .symbol:         _ZN7rocprim17ROCPRIM_400000_NS6detail17trampoline_kernelINS0_14default_configENS1_32segmented_reduce_config_selectorIdEEZNS1_21segmented_reduce_implIS3_PKdPdPKldN6hipcub16HIPCUB_304000_NS6detail27convert_result_type_wrapperIS8_S9_N2at6native12_GLOBAL__N_19CustomMaxEEEEE10hipError_tPvRmT0_T1_jT2_SQ_T4_T3_P12ihipStream_tbEUlT_E_NS1_11comp_targetILNS1_3genE8ELNS1_11target_archE1030ELNS1_3gpuE2ELNS1_3repE0EEENS1_30default_config_static_selectorELNS0_4arch9wavefront6targetE0EEEvSP_.kd
    .uniform_work_group_size: 1
    .uses_dynamic_stack: false
    .vgpr_count:     0
    .vgpr_spill_count: 0
    .wavefront_size: 32
  - .args:
      - .offset:         0
        .size:           56
        .value_kind:     by_value
    .group_segment_fixed_size: 64
    .kernarg_segment_align: 8
    .kernarg_segment_size: 56
    .language:       OpenCL C
    .language_version:
      - 2
      - 0
    .max_flat_workgroup_size: 256
    .name:           _ZN7rocprim17ROCPRIM_400000_NS6detail17trampoline_kernelINS0_14default_configENS1_32segmented_reduce_config_selectorIdEEZNS1_21segmented_reduce_implIS3_PKdPdPKldN6hipcub16HIPCUB_304000_NS6detail27convert_result_type_wrapperIS8_S9_N2at6native12_GLOBAL__N_19CustomSumEEEEE10hipError_tPvRmT0_T1_jT2_SQ_T4_T3_P12ihipStream_tbEUlT_E_NS1_11comp_targetILNS1_3genE0ELNS1_11target_archE4294967295ELNS1_3gpuE0ELNS1_3repE0EEENS1_30default_config_static_selectorELNS0_4arch9wavefront6targetE0EEEvSP_
    .private_segment_fixed_size: 0
    .sgpr_count:     27
    .sgpr_spill_count: 0
    .symbol:         _ZN7rocprim17ROCPRIM_400000_NS6detail17trampoline_kernelINS0_14default_configENS1_32segmented_reduce_config_selectorIdEEZNS1_21segmented_reduce_implIS3_PKdPdPKldN6hipcub16HIPCUB_304000_NS6detail27convert_result_type_wrapperIS8_S9_N2at6native12_GLOBAL__N_19CustomSumEEEEE10hipError_tPvRmT0_T1_jT2_SQ_T4_T3_P12ihipStream_tbEUlT_E_NS1_11comp_targetILNS1_3genE0ELNS1_11target_archE4294967295ELNS1_3gpuE0ELNS1_3repE0EEENS1_30default_config_static_selectorELNS0_4arch9wavefront6targetE0EEEvSP_.kd
    .uniform_work_group_size: 1
    .uses_dynamic_stack: false
    .vgpr_count:     22
    .vgpr_spill_count: 0
    .wavefront_size: 32
  - .args:
      - .offset:         0
        .size:           56
        .value_kind:     by_value
    .group_segment_fixed_size: 0
    .kernarg_segment_align: 8
    .kernarg_segment_size: 56
    .language:       OpenCL C
    .language_version:
      - 2
      - 0
    .max_flat_workgroup_size: 256
    .name:           _ZN7rocprim17ROCPRIM_400000_NS6detail17trampoline_kernelINS0_14default_configENS1_32segmented_reduce_config_selectorIdEEZNS1_21segmented_reduce_implIS3_PKdPdPKldN6hipcub16HIPCUB_304000_NS6detail27convert_result_type_wrapperIS8_S9_N2at6native12_GLOBAL__N_19CustomSumEEEEE10hipError_tPvRmT0_T1_jT2_SQ_T4_T3_P12ihipStream_tbEUlT_E_NS1_11comp_targetILNS1_3genE5ELNS1_11target_archE942ELNS1_3gpuE9ELNS1_3repE0EEENS1_30default_config_static_selectorELNS0_4arch9wavefront6targetE0EEEvSP_
    .private_segment_fixed_size: 0
    .sgpr_count:     0
    .sgpr_spill_count: 0
    .symbol:         _ZN7rocprim17ROCPRIM_400000_NS6detail17trampoline_kernelINS0_14default_configENS1_32segmented_reduce_config_selectorIdEEZNS1_21segmented_reduce_implIS3_PKdPdPKldN6hipcub16HIPCUB_304000_NS6detail27convert_result_type_wrapperIS8_S9_N2at6native12_GLOBAL__N_19CustomSumEEEEE10hipError_tPvRmT0_T1_jT2_SQ_T4_T3_P12ihipStream_tbEUlT_E_NS1_11comp_targetILNS1_3genE5ELNS1_11target_archE942ELNS1_3gpuE9ELNS1_3repE0EEENS1_30default_config_static_selectorELNS0_4arch9wavefront6targetE0EEEvSP_.kd
    .uniform_work_group_size: 1
    .uses_dynamic_stack: false
    .vgpr_count:     0
    .vgpr_spill_count: 0
    .wavefront_size: 32
  - .args:
      - .offset:         0
        .size:           56
        .value_kind:     by_value
    .group_segment_fixed_size: 0
    .kernarg_segment_align: 8
    .kernarg_segment_size: 56
    .language:       OpenCL C
    .language_version:
      - 2
      - 0
    .max_flat_workgroup_size: 256
    .name:           _ZN7rocprim17ROCPRIM_400000_NS6detail17trampoline_kernelINS0_14default_configENS1_32segmented_reduce_config_selectorIdEEZNS1_21segmented_reduce_implIS3_PKdPdPKldN6hipcub16HIPCUB_304000_NS6detail27convert_result_type_wrapperIS8_S9_N2at6native12_GLOBAL__N_19CustomSumEEEEE10hipError_tPvRmT0_T1_jT2_SQ_T4_T3_P12ihipStream_tbEUlT_E_NS1_11comp_targetILNS1_3genE10ELNS1_11target_archE1201ELNS1_3gpuE5ELNS1_3repE0EEENS1_30default_config_static_selectorELNS0_4arch9wavefront6targetE0EEEvSP_
    .private_segment_fixed_size: 0
    .sgpr_count:     0
    .sgpr_spill_count: 0
    .symbol:         _ZN7rocprim17ROCPRIM_400000_NS6detail17trampoline_kernelINS0_14default_configENS1_32segmented_reduce_config_selectorIdEEZNS1_21segmented_reduce_implIS3_PKdPdPKldN6hipcub16HIPCUB_304000_NS6detail27convert_result_type_wrapperIS8_S9_N2at6native12_GLOBAL__N_19CustomSumEEEEE10hipError_tPvRmT0_T1_jT2_SQ_T4_T3_P12ihipStream_tbEUlT_E_NS1_11comp_targetILNS1_3genE10ELNS1_11target_archE1201ELNS1_3gpuE5ELNS1_3repE0EEENS1_30default_config_static_selectorELNS0_4arch9wavefront6targetE0EEEvSP_.kd
    .uniform_work_group_size: 1
    .uses_dynamic_stack: false
    .vgpr_count:     0
    .vgpr_spill_count: 0
    .wavefront_size: 32
  - .args:
      - .offset:         0
        .size:           56
        .value_kind:     by_value
    .group_segment_fixed_size: 0
    .kernarg_segment_align: 8
    .kernarg_segment_size: 56
    .language:       OpenCL C
    .language_version:
      - 2
      - 0
    .max_flat_workgroup_size: 256
    .name:           _ZN7rocprim17ROCPRIM_400000_NS6detail17trampoline_kernelINS0_14default_configENS1_32segmented_reduce_config_selectorIdEEZNS1_21segmented_reduce_implIS3_PKdPdPKldN6hipcub16HIPCUB_304000_NS6detail27convert_result_type_wrapperIS8_S9_N2at6native12_GLOBAL__N_19CustomSumEEEEE10hipError_tPvRmT0_T1_jT2_SQ_T4_T3_P12ihipStream_tbEUlT_E_NS1_11comp_targetILNS1_3genE4ELNS1_11target_archE910ELNS1_3gpuE8ELNS1_3repE0EEENS1_30default_config_static_selectorELNS0_4arch9wavefront6targetE0EEEvSP_
    .private_segment_fixed_size: 0
    .sgpr_count:     0
    .sgpr_spill_count: 0
    .symbol:         _ZN7rocprim17ROCPRIM_400000_NS6detail17trampoline_kernelINS0_14default_configENS1_32segmented_reduce_config_selectorIdEEZNS1_21segmented_reduce_implIS3_PKdPdPKldN6hipcub16HIPCUB_304000_NS6detail27convert_result_type_wrapperIS8_S9_N2at6native12_GLOBAL__N_19CustomSumEEEEE10hipError_tPvRmT0_T1_jT2_SQ_T4_T3_P12ihipStream_tbEUlT_E_NS1_11comp_targetILNS1_3genE4ELNS1_11target_archE910ELNS1_3gpuE8ELNS1_3repE0EEENS1_30default_config_static_selectorELNS0_4arch9wavefront6targetE0EEEvSP_.kd
    .uniform_work_group_size: 1
    .uses_dynamic_stack: false
    .vgpr_count:     0
    .vgpr_spill_count: 0
    .wavefront_size: 32
  - .args:
      - .offset:         0
        .size:           56
        .value_kind:     by_value
    .group_segment_fixed_size: 0
    .kernarg_segment_align: 8
    .kernarg_segment_size: 56
    .language:       OpenCL C
    .language_version:
      - 2
      - 0
    .max_flat_workgroup_size: 256
    .name:           _ZN7rocprim17ROCPRIM_400000_NS6detail17trampoline_kernelINS0_14default_configENS1_32segmented_reduce_config_selectorIdEEZNS1_21segmented_reduce_implIS3_PKdPdPKldN6hipcub16HIPCUB_304000_NS6detail27convert_result_type_wrapperIS8_S9_N2at6native12_GLOBAL__N_19CustomSumEEEEE10hipError_tPvRmT0_T1_jT2_SQ_T4_T3_P12ihipStream_tbEUlT_E_NS1_11comp_targetILNS1_3genE3ELNS1_11target_archE908ELNS1_3gpuE7ELNS1_3repE0EEENS1_30default_config_static_selectorELNS0_4arch9wavefront6targetE0EEEvSP_
    .private_segment_fixed_size: 0
    .sgpr_count:     0
    .sgpr_spill_count: 0
    .symbol:         _ZN7rocprim17ROCPRIM_400000_NS6detail17trampoline_kernelINS0_14default_configENS1_32segmented_reduce_config_selectorIdEEZNS1_21segmented_reduce_implIS3_PKdPdPKldN6hipcub16HIPCUB_304000_NS6detail27convert_result_type_wrapperIS8_S9_N2at6native12_GLOBAL__N_19CustomSumEEEEE10hipError_tPvRmT0_T1_jT2_SQ_T4_T3_P12ihipStream_tbEUlT_E_NS1_11comp_targetILNS1_3genE3ELNS1_11target_archE908ELNS1_3gpuE7ELNS1_3repE0EEENS1_30default_config_static_selectorELNS0_4arch9wavefront6targetE0EEEvSP_.kd
    .uniform_work_group_size: 1
    .uses_dynamic_stack: false
    .vgpr_count:     0
    .vgpr_spill_count: 0
    .wavefront_size: 32
  - .args:
      - .offset:         0
        .size:           56
        .value_kind:     by_value
    .group_segment_fixed_size: 0
    .kernarg_segment_align: 8
    .kernarg_segment_size: 56
    .language:       OpenCL C
    .language_version:
      - 2
      - 0
    .max_flat_workgroup_size: 256
    .name:           _ZN7rocprim17ROCPRIM_400000_NS6detail17trampoline_kernelINS0_14default_configENS1_32segmented_reduce_config_selectorIdEEZNS1_21segmented_reduce_implIS3_PKdPdPKldN6hipcub16HIPCUB_304000_NS6detail27convert_result_type_wrapperIS8_S9_N2at6native12_GLOBAL__N_19CustomSumEEEEE10hipError_tPvRmT0_T1_jT2_SQ_T4_T3_P12ihipStream_tbEUlT_E_NS1_11comp_targetILNS1_3genE2ELNS1_11target_archE906ELNS1_3gpuE6ELNS1_3repE0EEENS1_30default_config_static_selectorELNS0_4arch9wavefront6targetE0EEEvSP_
    .private_segment_fixed_size: 0
    .sgpr_count:     0
    .sgpr_spill_count: 0
    .symbol:         _ZN7rocprim17ROCPRIM_400000_NS6detail17trampoline_kernelINS0_14default_configENS1_32segmented_reduce_config_selectorIdEEZNS1_21segmented_reduce_implIS3_PKdPdPKldN6hipcub16HIPCUB_304000_NS6detail27convert_result_type_wrapperIS8_S9_N2at6native12_GLOBAL__N_19CustomSumEEEEE10hipError_tPvRmT0_T1_jT2_SQ_T4_T3_P12ihipStream_tbEUlT_E_NS1_11comp_targetILNS1_3genE2ELNS1_11target_archE906ELNS1_3gpuE6ELNS1_3repE0EEENS1_30default_config_static_selectorELNS0_4arch9wavefront6targetE0EEEvSP_.kd
    .uniform_work_group_size: 1
    .uses_dynamic_stack: false
    .vgpr_count:     0
    .vgpr_spill_count: 0
    .wavefront_size: 32
  - .args:
      - .offset:         0
        .size:           56
        .value_kind:     by_value
    .group_segment_fixed_size: 0
    .kernarg_segment_align: 8
    .kernarg_segment_size: 56
    .language:       OpenCL C
    .language_version:
      - 2
      - 0
    .max_flat_workgroup_size: 256
    .name:           _ZN7rocprim17ROCPRIM_400000_NS6detail17trampoline_kernelINS0_14default_configENS1_32segmented_reduce_config_selectorIdEEZNS1_21segmented_reduce_implIS3_PKdPdPKldN6hipcub16HIPCUB_304000_NS6detail27convert_result_type_wrapperIS8_S9_N2at6native12_GLOBAL__N_19CustomSumEEEEE10hipError_tPvRmT0_T1_jT2_SQ_T4_T3_P12ihipStream_tbEUlT_E_NS1_11comp_targetILNS1_3genE9ELNS1_11target_archE1100ELNS1_3gpuE3ELNS1_3repE0EEENS1_30default_config_static_selectorELNS0_4arch9wavefront6targetE0EEEvSP_
    .private_segment_fixed_size: 0
    .sgpr_count:     0
    .sgpr_spill_count: 0
    .symbol:         _ZN7rocprim17ROCPRIM_400000_NS6detail17trampoline_kernelINS0_14default_configENS1_32segmented_reduce_config_selectorIdEEZNS1_21segmented_reduce_implIS3_PKdPdPKldN6hipcub16HIPCUB_304000_NS6detail27convert_result_type_wrapperIS8_S9_N2at6native12_GLOBAL__N_19CustomSumEEEEE10hipError_tPvRmT0_T1_jT2_SQ_T4_T3_P12ihipStream_tbEUlT_E_NS1_11comp_targetILNS1_3genE9ELNS1_11target_archE1100ELNS1_3gpuE3ELNS1_3repE0EEENS1_30default_config_static_selectorELNS0_4arch9wavefront6targetE0EEEvSP_.kd
    .uniform_work_group_size: 1
    .uses_dynamic_stack: false
    .vgpr_count:     0
    .vgpr_spill_count: 0
    .wavefront_size: 32
  - .args:
      - .offset:         0
        .size:           56
        .value_kind:     by_value
    .group_segment_fixed_size: 0
    .kernarg_segment_align: 8
    .kernarg_segment_size: 56
    .language:       OpenCL C
    .language_version:
      - 2
      - 0
    .max_flat_workgroup_size: 256
    .name:           _ZN7rocprim17ROCPRIM_400000_NS6detail17trampoline_kernelINS0_14default_configENS1_32segmented_reduce_config_selectorIdEEZNS1_21segmented_reduce_implIS3_PKdPdPKldN6hipcub16HIPCUB_304000_NS6detail27convert_result_type_wrapperIS8_S9_N2at6native12_GLOBAL__N_19CustomSumEEEEE10hipError_tPvRmT0_T1_jT2_SQ_T4_T3_P12ihipStream_tbEUlT_E_NS1_11comp_targetILNS1_3genE8ELNS1_11target_archE1030ELNS1_3gpuE2ELNS1_3repE0EEENS1_30default_config_static_selectorELNS0_4arch9wavefront6targetE0EEEvSP_
    .private_segment_fixed_size: 0
    .sgpr_count:     0
    .sgpr_spill_count: 0
    .symbol:         _ZN7rocprim17ROCPRIM_400000_NS6detail17trampoline_kernelINS0_14default_configENS1_32segmented_reduce_config_selectorIdEEZNS1_21segmented_reduce_implIS3_PKdPdPKldN6hipcub16HIPCUB_304000_NS6detail27convert_result_type_wrapperIS8_S9_N2at6native12_GLOBAL__N_19CustomSumEEEEE10hipError_tPvRmT0_T1_jT2_SQ_T4_T3_P12ihipStream_tbEUlT_E_NS1_11comp_targetILNS1_3genE8ELNS1_11target_archE1030ELNS1_3gpuE2ELNS1_3repE0EEENS1_30default_config_static_selectorELNS0_4arch9wavefront6targetE0EEEvSP_.kd
    .uniform_work_group_size: 1
    .uses_dynamic_stack: false
    .vgpr_count:     0
    .vgpr_spill_count: 0
    .wavefront_size: 32
  - .args:
      - .address_space:  global
        .offset:         0
        .size:           8
        .value_kind:     global_buffer
      - .address_space:  global
        .offset:         8
        .size:           8
        .value_kind:     global_buffer
      - .offset:         16
        .size:           8
        .value_kind:     by_value
      - .offset:         24
        .size:           1
        .value_kind:     by_value
      - .offset:         32
        .size:           8
        .value_kind:     by_value
      - .offset:         40
        .size:           4
        .value_kind:     hidden_block_count_x
      - .offset:         44
        .size:           4
        .value_kind:     hidden_block_count_y
      - .offset:         48
        .size:           4
        .value_kind:     hidden_block_count_z
      - .offset:         52
        .size:           2
        .value_kind:     hidden_group_size_x
      - .offset:         54
        .size:           2
        .value_kind:     hidden_group_size_y
      - .offset:         56
        .size:           2
        .value_kind:     hidden_group_size_z
      - .offset:         58
        .size:           2
        .value_kind:     hidden_remainder_x
      - .offset:         60
        .size:           2
        .value_kind:     hidden_remainder_y
      - .offset:         62
        .size:           2
        .value_kind:     hidden_remainder_z
      - .offset:         80
        .size:           8
        .value_kind:     hidden_global_offset_x
      - .offset:         88
        .size:           8
        .value_kind:     hidden_global_offset_y
      - .offset:         96
        .size:           8
        .value_kind:     hidden_global_offset_z
      - .offset:         104
        .size:           2
        .value_kind:     hidden_grid_dims
    .group_segment_fixed_size: 0
    .kernarg_segment_align: 8
    .kernarg_segment_size: 296
    .language:       OpenCL C
    .language_version:
      - 2
      - 0
    .max_flat_workgroup_size: 1024
    .name:           _ZN2at6native12_GLOBAL__N_119post_sum_div_kernelIdlEEvPT_PKT0_lbS3_
    .private_segment_fixed_size: 0
    .sgpr_count:     22
    .sgpr_spill_count: 0
    .symbol:         _ZN2at6native12_GLOBAL__N_119post_sum_div_kernelIdlEEvPT_PKT0_lbS3_.kd
    .uniform_work_group_size: 1
    .uses_dynamic_stack: false
    .vgpr_count:     18
    .vgpr_spill_count: 0
    .wavefront_size: 32
  - .args:
      - .offset:         0
        .size:           56
        .value_kind:     by_value
    .group_segment_fixed_size: 64
    .kernarg_segment_align: 8
    .kernarg_segment_size: 56
    .language:       OpenCL C
    .language_version:
      - 2
      - 0
    .max_flat_workgroup_size: 256
    .name:           _ZN7rocprim17ROCPRIM_400000_NS6detail17trampoline_kernelINS0_14default_configENS1_32segmented_reduce_config_selectorIdEEZNS1_21segmented_reduce_implIS3_PKdPdPKldN6hipcub16HIPCUB_304000_NS6detail27convert_result_type_wrapperIS8_S9_N2at6native12_GLOBAL__N_19CustomMinEEEEE10hipError_tPvRmT0_T1_jT2_SQ_T4_T3_P12ihipStream_tbEUlT_E_NS1_11comp_targetILNS1_3genE0ELNS1_11target_archE4294967295ELNS1_3gpuE0ELNS1_3repE0EEENS1_30default_config_static_selectorELNS0_4arch9wavefront6targetE0EEEvSP_
    .private_segment_fixed_size: 0
    .sgpr_count:     24
    .sgpr_spill_count: 0
    .symbol:         _ZN7rocprim17ROCPRIM_400000_NS6detail17trampoline_kernelINS0_14default_configENS1_32segmented_reduce_config_selectorIdEEZNS1_21segmented_reduce_implIS3_PKdPdPKldN6hipcub16HIPCUB_304000_NS6detail27convert_result_type_wrapperIS8_S9_N2at6native12_GLOBAL__N_19CustomMinEEEEE10hipError_tPvRmT0_T1_jT2_SQ_T4_T3_P12ihipStream_tbEUlT_E_NS1_11comp_targetILNS1_3genE0ELNS1_11target_archE4294967295ELNS1_3gpuE0ELNS1_3repE0EEENS1_30default_config_static_selectorELNS0_4arch9wavefront6targetE0EEEvSP_.kd
    .uniform_work_group_size: 1
    .uses_dynamic_stack: false
    .vgpr_count:     26
    .vgpr_spill_count: 0
    .wavefront_size: 32
  - .args:
      - .offset:         0
        .size:           56
        .value_kind:     by_value
    .group_segment_fixed_size: 0
    .kernarg_segment_align: 8
    .kernarg_segment_size: 56
    .language:       OpenCL C
    .language_version:
      - 2
      - 0
    .max_flat_workgroup_size: 256
    .name:           _ZN7rocprim17ROCPRIM_400000_NS6detail17trampoline_kernelINS0_14default_configENS1_32segmented_reduce_config_selectorIdEEZNS1_21segmented_reduce_implIS3_PKdPdPKldN6hipcub16HIPCUB_304000_NS6detail27convert_result_type_wrapperIS8_S9_N2at6native12_GLOBAL__N_19CustomMinEEEEE10hipError_tPvRmT0_T1_jT2_SQ_T4_T3_P12ihipStream_tbEUlT_E_NS1_11comp_targetILNS1_3genE5ELNS1_11target_archE942ELNS1_3gpuE9ELNS1_3repE0EEENS1_30default_config_static_selectorELNS0_4arch9wavefront6targetE0EEEvSP_
    .private_segment_fixed_size: 0
    .sgpr_count:     0
    .sgpr_spill_count: 0
    .symbol:         _ZN7rocprim17ROCPRIM_400000_NS6detail17trampoline_kernelINS0_14default_configENS1_32segmented_reduce_config_selectorIdEEZNS1_21segmented_reduce_implIS3_PKdPdPKldN6hipcub16HIPCUB_304000_NS6detail27convert_result_type_wrapperIS8_S9_N2at6native12_GLOBAL__N_19CustomMinEEEEE10hipError_tPvRmT0_T1_jT2_SQ_T4_T3_P12ihipStream_tbEUlT_E_NS1_11comp_targetILNS1_3genE5ELNS1_11target_archE942ELNS1_3gpuE9ELNS1_3repE0EEENS1_30default_config_static_selectorELNS0_4arch9wavefront6targetE0EEEvSP_.kd
    .uniform_work_group_size: 1
    .uses_dynamic_stack: false
    .vgpr_count:     0
    .vgpr_spill_count: 0
    .wavefront_size: 32
  - .args:
      - .offset:         0
        .size:           56
        .value_kind:     by_value
    .group_segment_fixed_size: 0
    .kernarg_segment_align: 8
    .kernarg_segment_size: 56
    .language:       OpenCL C
    .language_version:
      - 2
      - 0
    .max_flat_workgroup_size: 256
    .name:           _ZN7rocprim17ROCPRIM_400000_NS6detail17trampoline_kernelINS0_14default_configENS1_32segmented_reduce_config_selectorIdEEZNS1_21segmented_reduce_implIS3_PKdPdPKldN6hipcub16HIPCUB_304000_NS6detail27convert_result_type_wrapperIS8_S9_N2at6native12_GLOBAL__N_19CustomMinEEEEE10hipError_tPvRmT0_T1_jT2_SQ_T4_T3_P12ihipStream_tbEUlT_E_NS1_11comp_targetILNS1_3genE10ELNS1_11target_archE1201ELNS1_3gpuE5ELNS1_3repE0EEENS1_30default_config_static_selectorELNS0_4arch9wavefront6targetE0EEEvSP_
    .private_segment_fixed_size: 0
    .sgpr_count:     0
    .sgpr_spill_count: 0
    .symbol:         _ZN7rocprim17ROCPRIM_400000_NS6detail17trampoline_kernelINS0_14default_configENS1_32segmented_reduce_config_selectorIdEEZNS1_21segmented_reduce_implIS3_PKdPdPKldN6hipcub16HIPCUB_304000_NS6detail27convert_result_type_wrapperIS8_S9_N2at6native12_GLOBAL__N_19CustomMinEEEEE10hipError_tPvRmT0_T1_jT2_SQ_T4_T3_P12ihipStream_tbEUlT_E_NS1_11comp_targetILNS1_3genE10ELNS1_11target_archE1201ELNS1_3gpuE5ELNS1_3repE0EEENS1_30default_config_static_selectorELNS0_4arch9wavefront6targetE0EEEvSP_.kd
    .uniform_work_group_size: 1
    .uses_dynamic_stack: false
    .vgpr_count:     0
    .vgpr_spill_count: 0
    .wavefront_size: 32
  - .args:
      - .offset:         0
        .size:           56
        .value_kind:     by_value
    .group_segment_fixed_size: 0
    .kernarg_segment_align: 8
    .kernarg_segment_size: 56
    .language:       OpenCL C
    .language_version:
      - 2
      - 0
    .max_flat_workgroup_size: 256
    .name:           _ZN7rocprim17ROCPRIM_400000_NS6detail17trampoline_kernelINS0_14default_configENS1_32segmented_reduce_config_selectorIdEEZNS1_21segmented_reduce_implIS3_PKdPdPKldN6hipcub16HIPCUB_304000_NS6detail27convert_result_type_wrapperIS8_S9_N2at6native12_GLOBAL__N_19CustomMinEEEEE10hipError_tPvRmT0_T1_jT2_SQ_T4_T3_P12ihipStream_tbEUlT_E_NS1_11comp_targetILNS1_3genE4ELNS1_11target_archE910ELNS1_3gpuE8ELNS1_3repE0EEENS1_30default_config_static_selectorELNS0_4arch9wavefront6targetE0EEEvSP_
    .private_segment_fixed_size: 0
    .sgpr_count:     0
    .sgpr_spill_count: 0
    .symbol:         _ZN7rocprim17ROCPRIM_400000_NS6detail17trampoline_kernelINS0_14default_configENS1_32segmented_reduce_config_selectorIdEEZNS1_21segmented_reduce_implIS3_PKdPdPKldN6hipcub16HIPCUB_304000_NS6detail27convert_result_type_wrapperIS8_S9_N2at6native12_GLOBAL__N_19CustomMinEEEEE10hipError_tPvRmT0_T1_jT2_SQ_T4_T3_P12ihipStream_tbEUlT_E_NS1_11comp_targetILNS1_3genE4ELNS1_11target_archE910ELNS1_3gpuE8ELNS1_3repE0EEENS1_30default_config_static_selectorELNS0_4arch9wavefront6targetE0EEEvSP_.kd
    .uniform_work_group_size: 1
    .uses_dynamic_stack: false
    .vgpr_count:     0
    .vgpr_spill_count: 0
    .wavefront_size: 32
  - .args:
      - .offset:         0
        .size:           56
        .value_kind:     by_value
    .group_segment_fixed_size: 0
    .kernarg_segment_align: 8
    .kernarg_segment_size: 56
    .language:       OpenCL C
    .language_version:
      - 2
      - 0
    .max_flat_workgroup_size: 256
    .name:           _ZN7rocprim17ROCPRIM_400000_NS6detail17trampoline_kernelINS0_14default_configENS1_32segmented_reduce_config_selectorIdEEZNS1_21segmented_reduce_implIS3_PKdPdPKldN6hipcub16HIPCUB_304000_NS6detail27convert_result_type_wrapperIS8_S9_N2at6native12_GLOBAL__N_19CustomMinEEEEE10hipError_tPvRmT0_T1_jT2_SQ_T4_T3_P12ihipStream_tbEUlT_E_NS1_11comp_targetILNS1_3genE3ELNS1_11target_archE908ELNS1_3gpuE7ELNS1_3repE0EEENS1_30default_config_static_selectorELNS0_4arch9wavefront6targetE0EEEvSP_
    .private_segment_fixed_size: 0
    .sgpr_count:     0
    .sgpr_spill_count: 0
    .symbol:         _ZN7rocprim17ROCPRIM_400000_NS6detail17trampoline_kernelINS0_14default_configENS1_32segmented_reduce_config_selectorIdEEZNS1_21segmented_reduce_implIS3_PKdPdPKldN6hipcub16HIPCUB_304000_NS6detail27convert_result_type_wrapperIS8_S9_N2at6native12_GLOBAL__N_19CustomMinEEEEE10hipError_tPvRmT0_T1_jT2_SQ_T4_T3_P12ihipStream_tbEUlT_E_NS1_11comp_targetILNS1_3genE3ELNS1_11target_archE908ELNS1_3gpuE7ELNS1_3repE0EEENS1_30default_config_static_selectorELNS0_4arch9wavefront6targetE0EEEvSP_.kd
    .uniform_work_group_size: 1
    .uses_dynamic_stack: false
    .vgpr_count:     0
    .vgpr_spill_count: 0
    .wavefront_size: 32
  - .args:
      - .offset:         0
        .size:           56
        .value_kind:     by_value
    .group_segment_fixed_size: 0
    .kernarg_segment_align: 8
    .kernarg_segment_size: 56
    .language:       OpenCL C
    .language_version:
      - 2
      - 0
    .max_flat_workgroup_size: 256
    .name:           _ZN7rocprim17ROCPRIM_400000_NS6detail17trampoline_kernelINS0_14default_configENS1_32segmented_reduce_config_selectorIdEEZNS1_21segmented_reduce_implIS3_PKdPdPKldN6hipcub16HIPCUB_304000_NS6detail27convert_result_type_wrapperIS8_S9_N2at6native12_GLOBAL__N_19CustomMinEEEEE10hipError_tPvRmT0_T1_jT2_SQ_T4_T3_P12ihipStream_tbEUlT_E_NS1_11comp_targetILNS1_3genE2ELNS1_11target_archE906ELNS1_3gpuE6ELNS1_3repE0EEENS1_30default_config_static_selectorELNS0_4arch9wavefront6targetE0EEEvSP_
    .private_segment_fixed_size: 0
    .sgpr_count:     0
    .sgpr_spill_count: 0
    .symbol:         _ZN7rocprim17ROCPRIM_400000_NS6detail17trampoline_kernelINS0_14default_configENS1_32segmented_reduce_config_selectorIdEEZNS1_21segmented_reduce_implIS3_PKdPdPKldN6hipcub16HIPCUB_304000_NS6detail27convert_result_type_wrapperIS8_S9_N2at6native12_GLOBAL__N_19CustomMinEEEEE10hipError_tPvRmT0_T1_jT2_SQ_T4_T3_P12ihipStream_tbEUlT_E_NS1_11comp_targetILNS1_3genE2ELNS1_11target_archE906ELNS1_3gpuE6ELNS1_3repE0EEENS1_30default_config_static_selectorELNS0_4arch9wavefront6targetE0EEEvSP_.kd
    .uniform_work_group_size: 1
    .uses_dynamic_stack: false
    .vgpr_count:     0
    .vgpr_spill_count: 0
    .wavefront_size: 32
  - .args:
      - .offset:         0
        .size:           56
        .value_kind:     by_value
    .group_segment_fixed_size: 0
    .kernarg_segment_align: 8
    .kernarg_segment_size: 56
    .language:       OpenCL C
    .language_version:
      - 2
      - 0
    .max_flat_workgroup_size: 256
    .name:           _ZN7rocprim17ROCPRIM_400000_NS6detail17trampoline_kernelINS0_14default_configENS1_32segmented_reduce_config_selectorIdEEZNS1_21segmented_reduce_implIS3_PKdPdPKldN6hipcub16HIPCUB_304000_NS6detail27convert_result_type_wrapperIS8_S9_N2at6native12_GLOBAL__N_19CustomMinEEEEE10hipError_tPvRmT0_T1_jT2_SQ_T4_T3_P12ihipStream_tbEUlT_E_NS1_11comp_targetILNS1_3genE9ELNS1_11target_archE1100ELNS1_3gpuE3ELNS1_3repE0EEENS1_30default_config_static_selectorELNS0_4arch9wavefront6targetE0EEEvSP_
    .private_segment_fixed_size: 0
    .sgpr_count:     0
    .sgpr_spill_count: 0
    .symbol:         _ZN7rocprim17ROCPRIM_400000_NS6detail17trampoline_kernelINS0_14default_configENS1_32segmented_reduce_config_selectorIdEEZNS1_21segmented_reduce_implIS3_PKdPdPKldN6hipcub16HIPCUB_304000_NS6detail27convert_result_type_wrapperIS8_S9_N2at6native12_GLOBAL__N_19CustomMinEEEEE10hipError_tPvRmT0_T1_jT2_SQ_T4_T3_P12ihipStream_tbEUlT_E_NS1_11comp_targetILNS1_3genE9ELNS1_11target_archE1100ELNS1_3gpuE3ELNS1_3repE0EEENS1_30default_config_static_selectorELNS0_4arch9wavefront6targetE0EEEvSP_.kd
    .uniform_work_group_size: 1
    .uses_dynamic_stack: false
    .vgpr_count:     0
    .vgpr_spill_count: 0
    .wavefront_size: 32
  - .args:
      - .offset:         0
        .size:           56
        .value_kind:     by_value
    .group_segment_fixed_size: 0
    .kernarg_segment_align: 8
    .kernarg_segment_size: 56
    .language:       OpenCL C
    .language_version:
      - 2
      - 0
    .max_flat_workgroup_size: 256
    .name:           _ZN7rocprim17ROCPRIM_400000_NS6detail17trampoline_kernelINS0_14default_configENS1_32segmented_reduce_config_selectorIdEEZNS1_21segmented_reduce_implIS3_PKdPdPKldN6hipcub16HIPCUB_304000_NS6detail27convert_result_type_wrapperIS8_S9_N2at6native12_GLOBAL__N_19CustomMinEEEEE10hipError_tPvRmT0_T1_jT2_SQ_T4_T3_P12ihipStream_tbEUlT_E_NS1_11comp_targetILNS1_3genE8ELNS1_11target_archE1030ELNS1_3gpuE2ELNS1_3repE0EEENS1_30default_config_static_selectorELNS0_4arch9wavefront6targetE0EEEvSP_
    .private_segment_fixed_size: 0
    .sgpr_count:     0
    .sgpr_spill_count: 0
    .symbol:         _ZN7rocprim17ROCPRIM_400000_NS6detail17trampoline_kernelINS0_14default_configENS1_32segmented_reduce_config_selectorIdEEZNS1_21segmented_reduce_implIS3_PKdPdPKldN6hipcub16HIPCUB_304000_NS6detail27convert_result_type_wrapperIS8_S9_N2at6native12_GLOBAL__N_19CustomMinEEEEE10hipError_tPvRmT0_T1_jT2_SQ_T4_T3_P12ihipStream_tbEUlT_E_NS1_11comp_targetILNS1_3genE8ELNS1_11target_archE1030ELNS1_3gpuE2ELNS1_3repE0EEENS1_30default_config_static_selectorELNS0_4arch9wavefront6targetE0EEEvSP_.kd
    .uniform_work_group_size: 1
    .uses_dynamic_stack: false
    .vgpr_count:     0
    .vgpr_spill_count: 0
    .wavefront_size: 32
  - .args:
      - .offset:         0
        .size:           56
        .value_kind:     by_value
    .group_segment_fixed_size: 64
    .kernarg_segment_align: 8
    .kernarg_segment_size: 56
    .language:       OpenCL C
    .language_version:
      - 2
      - 0
    .max_flat_workgroup_size: 256
    .name:           _ZN7rocprim17ROCPRIM_400000_NS6detail17trampoline_kernelINS0_14default_configENS1_32segmented_reduce_config_selectorIdEEZNS1_21segmented_reduce_implIS3_PKdPdPKldN6hipcub16HIPCUB_304000_NS6detail27convert_result_type_wrapperIS8_S9_N2at6native12_GLOBAL__N_110CustomProdEEEEE10hipError_tPvRmT0_T1_jT2_SQ_T4_T3_P12ihipStream_tbEUlT_E_NS1_11comp_targetILNS1_3genE0ELNS1_11target_archE4294967295ELNS1_3gpuE0ELNS1_3repE0EEENS1_30default_config_static_selectorELNS0_4arch9wavefront6targetE0EEEvSP_
    .private_segment_fixed_size: 0
    .sgpr_count:     27
    .sgpr_spill_count: 0
    .symbol:         _ZN7rocprim17ROCPRIM_400000_NS6detail17trampoline_kernelINS0_14default_configENS1_32segmented_reduce_config_selectorIdEEZNS1_21segmented_reduce_implIS3_PKdPdPKldN6hipcub16HIPCUB_304000_NS6detail27convert_result_type_wrapperIS8_S9_N2at6native12_GLOBAL__N_110CustomProdEEEEE10hipError_tPvRmT0_T1_jT2_SQ_T4_T3_P12ihipStream_tbEUlT_E_NS1_11comp_targetILNS1_3genE0ELNS1_11target_archE4294967295ELNS1_3gpuE0ELNS1_3repE0EEENS1_30default_config_static_selectorELNS0_4arch9wavefront6targetE0EEEvSP_.kd
    .uniform_work_group_size: 1
    .uses_dynamic_stack: false
    .vgpr_count:     22
    .vgpr_spill_count: 0
    .wavefront_size: 32
  - .args:
      - .offset:         0
        .size:           56
        .value_kind:     by_value
    .group_segment_fixed_size: 0
    .kernarg_segment_align: 8
    .kernarg_segment_size: 56
    .language:       OpenCL C
    .language_version:
      - 2
      - 0
    .max_flat_workgroup_size: 256
    .name:           _ZN7rocprim17ROCPRIM_400000_NS6detail17trampoline_kernelINS0_14default_configENS1_32segmented_reduce_config_selectorIdEEZNS1_21segmented_reduce_implIS3_PKdPdPKldN6hipcub16HIPCUB_304000_NS6detail27convert_result_type_wrapperIS8_S9_N2at6native12_GLOBAL__N_110CustomProdEEEEE10hipError_tPvRmT0_T1_jT2_SQ_T4_T3_P12ihipStream_tbEUlT_E_NS1_11comp_targetILNS1_3genE5ELNS1_11target_archE942ELNS1_3gpuE9ELNS1_3repE0EEENS1_30default_config_static_selectorELNS0_4arch9wavefront6targetE0EEEvSP_
    .private_segment_fixed_size: 0
    .sgpr_count:     0
    .sgpr_spill_count: 0
    .symbol:         _ZN7rocprim17ROCPRIM_400000_NS6detail17trampoline_kernelINS0_14default_configENS1_32segmented_reduce_config_selectorIdEEZNS1_21segmented_reduce_implIS3_PKdPdPKldN6hipcub16HIPCUB_304000_NS6detail27convert_result_type_wrapperIS8_S9_N2at6native12_GLOBAL__N_110CustomProdEEEEE10hipError_tPvRmT0_T1_jT2_SQ_T4_T3_P12ihipStream_tbEUlT_E_NS1_11comp_targetILNS1_3genE5ELNS1_11target_archE942ELNS1_3gpuE9ELNS1_3repE0EEENS1_30default_config_static_selectorELNS0_4arch9wavefront6targetE0EEEvSP_.kd
    .uniform_work_group_size: 1
    .uses_dynamic_stack: false
    .vgpr_count:     0
    .vgpr_spill_count: 0
    .wavefront_size: 32
  - .args:
      - .offset:         0
        .size:           56
        .value_kind:     by_value
    .group_segment_fixed_size: 0
    .kernarg_segment_align: 8
    .kernarg_segment_size: 56
    .language:       OpenCL C
    .language_version:
      - 2
      - 0
    .max_flat_workgroup_size: 256
    .name:           _ZN7rocprim17ROCPRIM_400000_NS6detail17trampoline_kernelINS0_14default_configENS1_32segmented_reduce_config_selectorIdEEZNS1_21segmented_reduce_implIS3_PKdPdPKldN6hipcub16HIPCUB_304000_NS6detail27convert_result_type_wrapperIS8_S9_N2at6native12_GLOBAL__N_110CustomProdEEEEE10hipError_tPvRmT0_T1_jT2_SQ_T4_T3_P12ihipStream_tbEUlT_E_NS1_11comp_targetILNS1_3genE10ELNS1_11target_archE1201ELNS1_3gpuE5ELNS1_3repE0EEENS1_30default_config_static_selectorELNS0_4arch9wavefront6targetE0EEEvSP_
    .private_segment_fixed_size: 0
    .sgpr_count:     0
    .sgpr_spill_count: 0
    .symbol:         _ZN7rocprim17ROCPRIM_400000_NS6detail17trampoline_kernelINS0_14default_configENS1_32segmented_reduce_config_selectorIdEEZNS1_21segmented_reduce_implIS3_PKdPdPKldN6hipcub16HIPCUB_304000_NS6detail27convert_result_type_wrapperIS8_S9_N2at6native12_GLOBAL__N_110CustomProdEEEEE10hipError_tPvRmT0_T1_jT2_SQ_T4_T3_P12ihipStream_tbEUlT_E_NS1_11comp_targetILNS1_3genE10ELNS1_11target_archE1201ELNS1_3gpuE5ELNS1_3repE0EEENS1_30default_config_static_selectorELNS0_4arch9wavefront6targetE0EEEvSP_.kd
    .uniform_work_group_size: 1
    .uses_dynamic_stack: false
    .vgpr_count:     0
    .vgpr_spill_count: 0
    .wavefront_size: 32
  - .args:
      - .offset:         0
        .size:           56
        .value_kind:     by_value
    .group_segment_fixed_size: 0
    .kernarg_segment_align: 8
    .kernarg_segment_size: 56
    .language:       OpenCL C
    .language_version:
      - 2
      - 0
    .max_flat_workgroup_size: 256
    .name:           _ZN7rocprim17ROCPRIM_400000_NS6detail17trampoline_kernelINS0_14default_configENS1_32segmented_reduce_config_selectorIdEEZNS1_21segmented_reduce_implIS3_PKdPdPKldN6hipcub16HIPCUB_304000_NS6detail27convert_result_type_wrapperIS8_S9_N2at6native12_GLOBAL__N_110CustomProdEEEEE10hipError_tPvRmT0_T1_jT2_SQ_T4_T3_P12ihipStream_tbEUlT_E_NS1_11comp_targetILNS1_3genE4ELNS1_11target_archE910ELNS1_3gpuE8ELNS1_3repE0EEENS1_30default_config_static_selectorELNS0_4arch9wavefront6targetE0EEEvSP_
    .private_segment_fixed_size: 0
    .sgpr_count:     0
    .sgpr_spill_count: 0
    .symbol:         _ZN7rocprim17ROCPRIM_400000_NS6detail17trampoline_kernelINS0_14default_configENS1_32segmented_reduce_config_selectorIdEEZNS1_21segmented_reduce_implIS3_PKdPdPKldN6hipcub16HIPCUB_304000_NS6detail27convert_result_type_wrapperIS8_S9_N2at6native12_GLOBAL__N_110CustomProdEEEEE10hipError_tPvRmT0_T1_jT2_SQ_T4_T3_P12ihipStream_tbEUlT_E_NS1_11comp_targetILNS1_3genE4ELNS1_11target_archE910ELNS1_3gpuE8ELNS1_3repE0EEENS1_30default_config_static_selectorELNS0_4arch9wavefront6targetE0EEEvSP_.kd
    .uniform_work_group_size: 1
    .uses_dynamic_stack: false
    .vgpr_count:     0
    .vgpr_spill_count: 0
    .wavefront_size: 32
  - .args:
      - .offset:         0
        .size:           56
        .value_kind:     by_value
    .group_segment_fixed_size: 0
    .kernarg_segment_align: 8
    .kernarg_segment_size: 56
    .language:       OpenCL C
    .language_version:
      - 2
      - 0
    .max_flat_workgroup_size: 256
    .name:           _ZN7rocprim17ROCPRIM_400000_NS6detail17trampoline_kernelINS0_14default_configENS1_32segmented_reduce_config_selectorIdEEZNS1_21segmented_reduce_implIS3_PKdPdPKldN6hipcub16HIPCUB_304000_NS6detail27convert_result_type_wrapperIS8_S9_N2at6native12_GLOBAL__N_110CustomProdEEEEE10hipError_tPvRmT0_T1_jT2_SQ_T4_T3_P12ihipStream_tbEUlT_E_NS1_11comp_targetILNS1_3genE3ELNS1_11target_archE908ELNS1_3gpuE7ELNS1_3repE0EEENS1_30default_config_static_selectorELNS0_4arch9wavefront6targetE0EEEvSP_
    .private_segment_fixed_size: 0
    .sgpr_count:     0
    .sgpr_spill_count: 0
    .symbol:         _ZN7rocprim17ROCPRIM_400000_NS6detail17trampoline_kernelINS0_14default_configENS1_32segmented_reduce_config_selectorIdEEZNS1_21segmented_reduce_implIS3_PKdPdPKldN6hipcub16HIPCUB_304000_NS6detail27convert_result_type_wrapperIS8_S9_N2at6native12_GLOBAL__N_110CustomProdEEEEE10hipError_tPvRmT0_T1_jT2_SQ_T4_T3_P12ihipStream_tbEUlT_E_NS1_11comp_targetILNS1_3genE3ELNS1_11target_archE908ELNS1_3gpuE7ELNS1_3repE0EEENS1_30default_config_static_selectorELNS0_4arch9wavefront6targetE0EEEvSP_.kd
    .uniform_work_group_size: 1
    .uses_dynamic_stack: false
    .vgpr_count:     0
    .vgpr_spill_count: 0
    .wavefront_size: 32
  - .args:
      - .offset:         0
        .size:           56
        .value_kind:     by_value
    .group_segment_fixed_size: 0
    .kernarg_segment_align: 8
    .kernarg_segment_size: 56
    .language:       OpenCL C
    .language_version:
      - 2
      - 0
    .max_flat_workgroup_size: 256
    .name:           _ZN7rocprim17ROCPRIM_400000_NS6detail17trampoline_kernelINS0_14default_configENS1_32segmented_reduce_config_selectorIdEEZNS1_21segmented_reduce_implIS3_PKdPdPKldN6hipcub16HIPCUB_304000_NS6detail27convert_result_type_wrapperIS8_S9_N2at6native12_GLOBAL__N_110CustomProdEEEEE10hipError_tPvRmT0_T1_jT2_SQ_T4_T3_P12ihipStream_tbEUlT_E_NS1_11comp_targetILNS1_3genE2ELNS1_11target_archE906ELNS1_3gpuE6ELNS1_3repE0EEENS1_30default_config_static_selectorELNS0_4arch9wavefront6targetE0EEEvSP_
    .private_segment_fixed_size: 0
    .sgpr_count:     0
    .sgpr_spill_count: 0
    .symbol:         _ZN7rocprim17ROCPRIM_400000_NS6detail17trampoline_kernelINS0_14default_configENS1_32segmented_reduce_config_selectorIdEEZNS1_21segmented_reduce_implIS3_PKdPdPKldN6hipcub16HIPCUB_304000_NS6detail27convert_result_type_wrapperIS8_S9_N2at6native12_GLOBAL__N_110CustomProdEEEEE10hipError_tPvRmT0_T1_jT2_SQ_T4_T3_P12ihipStream_tbEUlT_E_NS1_11comp_targetILNS1_3genE2ELNS1_11target_archE906ELNS1_3gpuE6ELNS1_3repE0EEENS1_30default_config_static_selectorELNS0_4arch9wavefront6targetE0EEEvSP_.kd
    .uniform_work_group_size: 1
    .uses_dynamic_stack: false
    .vgpr_count:     0
    .vgpr_spill_count: 0
    .wavefront_size: 32
  - .args:
      - .offset:         0
        .size:           56
        .value_kind:     by_value
    .group_segment_fixed_size: 0
    .kernarg_segment_align: 8
    .kernarg_segment_size: 56
    .language:       OpenCL C
    .language_version:
      - 2
      - 0
    .max_flat_workgroup_size: 256
    .name:           _ZN7rocprim17ROCPRIM_400000_NS6detail17trampoline_kernelINS0_14default_configENS1_32segmented_reduce_config_selectorIdEEZNS1_21segmented_reduce_implIS3_PKdPdPKldN6hipcub16HIPCUB_304000_NS6detail27convert_result_type_wrapperIS8_S9_N2at6native12_GLOBAL__N_110CustomProdEEEEE10hipError_tPvRmT0_T1_jT2_SQ_T4_T3_P12ihipStream_tbEUlT_E_NS1_11comp_targetILNS1_3genE9ELNS1_11target_archE1100ELNS1_3gpuE3ELNS1_3repE0EEENS1_30default_config_static_selectorELNS0_4arch9wavefront6targetE0EEEvSP_
    .private_segment_fixed_size: 0
    .sgpr_count:     0
    .sgpr_spill_count: 0
    .symbol:         _ZN7rocprim17ROCPRIM_400000_NS6detail17trampoline_kernelINS0_14default_configENS1_32segmented_reduce_config_selectorIdEEZNS1_21segmented_reduce_implIS3_PKdPdPKldN6hipcub16HIPCUB_304000_NS6detail27convert_result_type_wrapperIS8_S9_N2at6native12_GLOBAL__N_110CustomProdEEEEE10hipError_tPvRmT0_T1_jT2_SQ_T4_T3_P12ihipStream_tbEUlT_E_NS1_11comp_targetILNS1_3genE9ELNS1_11target_archE1100ELNS1_3gpuE3ELNS1_3repE0EEENS1_30default_config_static_selectorELNS0_4arch9wavefront6targetE0EEEvSP_.kd
    .uniform_work_group_size: 1
    .uses_dynamic_stack: false
    .vgpr_count:     0
    .vgpr_spill_count: 0
    .wavefront_size: 32
  - .args:
      - .offset:         0
        .size:           56
        .value_kind:     by_value
    .group_segment_fixed_size: 0
    .kernarg_segment_align: 8
    .kernarg_segment_size: 56
    .language:       OpenCL C
    .language_version:
      - 2
      - 0
    .max_flat_workgroup_size: 256
    .name:           _ZN7rocprim17ROCPRIM_400000_NS6detail17trampoline_kernelINS0_14default_configENS1_32segmented_reduce_config_selectorIdEEZNS1_21segmented_reduce_implIS3_PKdPdPKldN6hipcub16HIPCUB_304000_NS6detail27convert_result_type_wrapperIS8_S9_N2at6native12_GLOBAL__N_110CustomProdEEEEE10hipError_tPvRmT0_T1_jT2_SQ_T4_T3_P12ihipStream_tbEUlT_E_NS1_11comp_targetILNS1_3genE8ELNS1_11target_archE1030ELNS1_3gpuE2ELNS1_3repE0EEENS1_30default_config_static_selectorELNS0_4arch9wavefront6targetE0EEEvSP_
    .private_segment_fixed_size: 0
    .sgpr_count:     0
    .sgpr_spill_count: 0
    .symbol:         _ZN7rocprim17ROCPRIM_400000_NS6detail17trampoline_kernelINS0_14default_configENS1_32segmented_reduce_config_selectorIdEEZNS1_21segmented_reduce_implIS3_PKdPdPKldN6hipcub16HIPCUB_304000_NS6detail27convert_result_type_wrapperIS8_S9_N2at6native12_GLOBAL__N_110CustomProdEEEEE10hipError_tPvRmT0_T1_jT2_SQ_T4_T3_P12ihipStream_tbEUlT_E_NS1_11comp_targetILNS1_3genE8ELNS1_11target_archE1030ELNS1_3gpuE2ELNS1_3repE0EEENS1_30default_config_static_selectorELNS0_4arch9wavefront6targetE0EEEvSP_.kd
    .uniform_work_group_size: 1
    .uses_dynamic_stack: false
    .vgpr_count:     0
    .vgpr_spill_count: 0
    .wavefront_size: 32
  - .args:
      - .offset:         0
        .size:           4
        .value_kind:     by_value
      - .address_space:  global
        .offset:         8
        .size:           8
        .value_kind:     global_buffer
      - .address_space:  global
        .offset:         16
        .size:           8
        .value_kind:     global_buffer
      - .address_space:  global
        .offset:         24
        .size:           8
        .value_kind:     global_buffer
      - .address_space:  global
        .offset:         32
        .size:           8
        .value_kind:     global_buffer
      - .offset:         40
        .size:           8
        .value_kind:     by_value
      - .offset:         48
        .size:           8
        .value_kind:     by_value
      - .offset:         56
        .size:           1
        .value_kind:     by_value
      - .offset:         60
        .size:           4
        .value_kind:     by_value
      - .offset:         64
        .size:           8
        .value_kind:     by_value
      - .offset:         72
        .size:           8
        .value_kind:     by_value
      - .offset:         80
        .size:           8
        .value_kind:     by_value
      - .offset:         88
        .size:           8
        .value_kind:     by_value
      - .offset:         96
        .size:           8
        .value_kind:     by_value
      - .offset:         104
        .size:           8
        .value_kind:     by_value
      - .offset:         112
        .size:           8
        .value_kind:     by_value
      - .offset:         120
        .size:           4
        .value_kind:     hidden_block_count_x
      - .offset:         124
        .size:           4
        .value_kind:     hidden_block_count_y
      - .offset:         128
        .size:           4
        .value_kind:     hidden_block_count_z
      - .offset:         132
        .size:           2
        .value_kind:     hidden_group_size_x
      - .offset:         134
        .size:           2
        .value_kind:     hidden_group_size_y
      - .offset:         136
        .size:           2
        .value_kind:     hidden_group_size_z
      - .offset:         138
        .size:           2
        .value_kind:     hidden_remainder_x
      - .offset:         140
        .size:           2
        .value_kind:     hidden_remainder_y
      - .offset:         142
        .size:           2
        .value_kind:     hidden_remainder_z
      - .offset:         160
        .size:           8
        .value_kind:     hidden_global_offset_x
      - .offset:         168
        .size:           8
        .value_kind:     hidden_global_offset_y
      - .offset:         176
        .size:           8
        .value_kind:     hidden_global_offset_z
      - .offset:         184
        .size:           2
        .value_kind:     hidden_grid_dims
    .group_segment_fixed_size: 0
    .kernarg_segment_align: 8
    .kernarg_segment_size: 376
    .language:       OpenCL C
    .language_version:
      - 2
      - 0
    .max_flat_workgroup_size: 1024
    .name:           _ZN2at6native12_GLOBAL__N_129segment_reduce_forward_kernelIflEEvNS0_13ReductionTypeEPT_PKS4_PKT0_SA_llbS4_lllllll
    .private_segment_fixed_size: 0
    .sgpr_count:     46
    .sgpr_spill_count: 0
    .symbol:         _ZN2at6native12_GLOBAL__N_129segment_reduce_forward_kernelIflEEvNS0_13ReductionTypeEPT_PKS4_PKT0_SA_llbS4_lllllll.kd
    .uniform_work_group_size: 1
    .uses_dynamic_stack: false
    .vgpr_count:     20
    .vgpr_spill_count: 0
    .wavefront_size: 32
  - .args:
      - .offset:         0
        .size:           48
        .value_kind:     by_value
    .group_segment_fixed_size: 32
    .kernarg_segment_align: 8
    .kernarg_segment_size: 48
    .language:       OpenCL C
    .language_version:
      - 2
      - 0
    .max_flat_workgroup_size: 256
    .name:           _ZN7rocprim17ROCPRIM_400000_NS6detail17trampoline_kernelINS0_14default_configENS1_32segmented_reduce_config_selectorIfEEZNS1_21segmented_reduce_implIS3_PKfPfPKlfN6hipcub16HIPCUB_304000_NS6detail27convert_result_type_wrapperIS8_S9_N2at6native12_GLOBAL__N_19CustomMaxEEEEE10hipError_tPvRmT0_T1_jT2_SQ_T4_T3_P12ihipStream_tbEUlT_E_NS1_11comp_targetILNS1_3genE0ELNS1_11target_archE4294967295ELNS1_3gpuE0ELNS1_3repE0EEENS1_30default_config_static_selectorELNS0_4arch9wavefront6targetE0EEEvSP_
    .private_segment_fixed_size: 0
    .sgpr_count:     22
    .sgpr_spill_count: 0
    .symbol:         _ZN7rocprim17ROCPRIM_400000_NS6detail17trampoline_kernelINS0_14default_configENS1_32segmented_reduce_config_selectorIfEEZNS1_21segmented_reduce_implIS3_PKfPfPKlfN6hipcub16HIPCUB_304000_NS6detail27convert_result_type_wrapperIS8_S9_N2at6native12_GLOBAL__N_19CustomMaxEEEEE10hipError_tPvRmT0_T1_jT2_SQ_T4_T3_P12ihipStream_tbEUlT_E_NS1_11comp_targetILNS1_3genE0ELNS1_11target_archE4294967295ELNS1_3gpuE0ELNS1_3repE0EEENS1_30default_config_static_selectorELNS0_4arch9wavefront6targetE0EEEvSP_.kd
    .uniform_work_group_size: 1
    .uses_dynamic_stack: false
    .vgpr_count:     33
    .vgpr_spill_count: 0
    .wavefront_size: 32
  - .args:
      - .offset:         0
        .size:           48
        .value_kind:     by_value
    .group_segment_fixed_size: 0
    .kernarg_segment_align: 8
    .kernarg_segment_size: 48
    .language:       OpenCL C
    .language_version:
      - 2
      - 0
    .max_flat_workgroup_size: 256
    .name:           _ZN7rocprim17ROCPRIM_400000_NS6detail17trampoline_kernelINS0_14default_configENS1_32segmented_reduce_config_selectorIfEEZNS1_21segmented_reduce_implIS3_PKfPfPKlfN6hipcub16HIPCUB_304000_NS6detail27convert_result_type_wrapperIS8_S9_N2at6native12_GLOBAL__N_19CustomMaxEEEEE10hipError_tPvRmT0_T1_jT2_SQ_T4_T3_P12ihipStream_tbEUlT_E_NS1_11comp_targetILNS1_3genE5ELNS1_11target_archE942ELNS1_3gpuE9ELNS1_3repE0EEENS1_30default_config_static_selectorELNS0_4arch9wavefront6targetE0EEEvSP_
    .private_segment_fixed_size: 0
    .sgpr_count:     0
    .sgpr_spill_count: 0
    .symbol:         _ZN7rocprim17ROCPRIM_400000_NS6detail17trampoline_kernelINS0_14default_configENS1_32segmented_reduce_config_selectorIfEEZNS1_21segmented_reduce_implIS3_PKfPfPKlfN6hipcub16HIPCUB_304000_NS6detail27convert_result_type_wrapperIS8_S9_N2at6native12_GLOBAL__N_19CustomMaxEEEEE10hipError_tPvRmT0_T1_jT2_SQ_T4_T3_P12ihipStream_tbEUlT_E_NS1_11comp_targetILNS1_3genE5ELNS1_11target_archE942ELNS1_3gpuE9ELNS1_3repE0EEENS1_30default_config_static_selectorELNS0_4arch9wavefront6targetE0EEEvSP_.kd
    .uniform_work_group_size: 1
    .uses_dynamic_stack: false
    .vgpr_count:     0
    .vgpr_spill_count: 0
    .wavefront_size: 32
  - .args:
      - .offset:         0
        .size:           48
        .value_kind:     by_value
    .group_segment_fixed_size: 0
    .kernarg_segment_align: 8
    .kernarg_segment_size: 48
    .language:       OpenCL C
    .language_version:
      - 2
      - 0
    .max_flat_workgroup_size: 256
    .name:           _ZN7rocprim17ROCPRIM_400000_NS6detail17trampoline_kernelINS0_14default_configENS1_32segmented_reduce_config_selectorIfEEZNS1_21segmented_reduce_implIS3_PKfPfPKlfN6hipcub16HIPCUB_304000_NS6detail27convert_result_type_wrapperIS8_S9_N2at6native12_GLOBAL__N_19CustomMaxEEEEE10hipError_tPvRmT0_T1_jT2_SQ_T4_T3_P12ihipStream_tbEUlT_E_NS1_11comp_targetILNS1_3genE10ELNS1_11target_archE1201ELNS1_3gpuE5ELNS1_3repE0EEENS1_30default_config_static_selectorELNS0_4arch9wavefront6targetE0EEEvSP_
    .private_segment_fixed_size: 0
    .sgpr_count:     0
    .sgpr_spill_count: 0
    .symbol:         _ZN7rocprim17ROCPRIM_400000_NS6detail17trampoline_kernelINS0_14default_configENS1_32segmented_reduce_config_selectorIfEEZNS1_21segmented_reduce_implIS3_PKfPfPKlfN6hipcub16HIPCUB_304000_NS6detail27convert_result_type_wrapperIS8_S9_N2at6native12_GLOBAL__N_19CustomMaxEEEEE10hipError_tPvRmT0_T1_jT2_SQ_T4_T3_P12ihipStream_tbEUlT_E_NS1_11comp_targetILNS1_3genE10ELNS1_11target_archE1201ELNS1_3gpuE5ELNS1_3repE0EEENS1_30default_config_static_selectorELNS0_4arch9wavefront6targetE0EEEvSP_.kd
    .uniform_work_group_size: 1
    .uses_dynamic_stack: false
    .vgpr_count:     0
    .vgpr_spill_count: 0
    .wavefront_size: 32
  - .args:
      - .offset:         0
        .size:           48
        .value_kind:     by_value
    .group_segment_fixed_size: 0
    .kernarg_segment_align: 8
    .kernarg_segment_size: 48
    .language:       OpenCL C
    .language_version:
      - 2
      - 0
    .max_flat_workgroup_size: 256
    .name:           _ZN7rocprim17ROCPRIM_400000_NS6detail17trampoline_kernelINS0_14default_configENS1_32segmented_reduce_config_selectorIfEEZNS1_21segmented_reduce_implIS3_PKfPfPKlfN6hipcub16HIPCUB_304000_NS6detail27convert_result_type_wrapperIS8_S9_N2at6native12_GLOBAL__N_19CustomMaxEEEEE10hipError_tPvRmT0_T1_jT2_SQ_T4_T3_P12ihipStream_tbEUlT_E_NS1_11comp_targetILNS1_3genE4ELNS1_11target_archE910ELNS1_3gpuE8ELNS1_3repE0EEENS1_30default_config_static_selectorELNS0_4arch9wavefront6targetE0EEEvSP_
    .private_segment_fixed_size: 0
    .sgpr_count:     0
    .sgpr_spill_count: 0
    .symbol:         _ZN7rocprim17ROCPRIM_400000_NS6detail17trampoline_kernelINS0_14default_configENS1_32segmented_reduce_config_selectorIfEEZNS1_21segmented_reduce_implIS3_PKfPfPKlfN6hipcub16HIPCUB_304000_NS6detail27convert_result_type_wrapperIS8_S9_N2at6native12_GLOBAL__N_19CustomMaxEEEEE10hipError_tPvRmT0_T1_jT2_SQ_T4_T3_P12ihipStream_tbEUlT_E_NS1_11comp_targetILNS1_3genE4ELNS1_11target_archE910ELNS1_3gpuE8ELNS1_3repE0EEENS1_30default_config_static_selectorELNS0_4arch9wavefront6targetE0EEEvSP_.kd
    .uniform_work_group_size: 1
    .uses_dynamic_stack: false
    .vgpr_count:     0
    .vgpr_spill_count: 0
    .wavefront_size: 32
  - .args:
      - .offset:         0
        .size:           48
        .value_kind:     by_value
    .group_segment_fixed_size: 0
    .kernarg_segment_align: 8
    .kernarg_segment_size: 48
    .language:       OpenCL C
    .language_version:
      - 2
      - 0
    .max_flat_workgroup_size: 256
    .name:           _ZN7rocprim17ROCPRIM_400000_NS6detail17trampoline_kernelINS0_14default_configENS1_32segmented_reduce_config_selectorIfEEZNS1_21segmented_reduce_implIS3_PKfPfPKlfN6hipcub16HIPCUB_304000_NS6detail27convert_result_type_wrapperIS8_S9_N2at6native12_GLOBAL__N_19CustomMaxEEEEE10hipError_tPvRmT0_T1_jT2_SQ_T4_T3_P12ihipStream_tbEUlT_E_NS1_11comp_targetILNS1_3genE3ELNS1_11target_archE908ELNS1_3gpuE7ELNS1_3repE0EEENS1_30default_config_static_selectorELNS0_4arch9wavefront6targetE0EEEvSP_
    .private_segment_fixed_size: 0
    .sgpr_count:     0
    .sgpr_spill_count: 0
    .symbol:         _ZN7rocprim17ROCPRIM_400000_NS6detail17trampoline_kernelINS0_14default_configENS1_32segmented_reduce_config_selectorIfEEZNS1_21segmented_reduce_implIS3_PKfPfPKlfN6hipcub16HIPCUB_304000_NS6detail27convert_result_type_wrapperIS8_S9_N2at6native12_GLOBAL__N_19CustomMaxEEEEE10hipError_tPvRmT0_T1_jT2_SQ_T4_T3_P12ihipStream_tbEUlT_E_NS1_11comp_targetILNS1_3genE3ELNS1_11target_archE908ELNS1_3gpuE7ELNS1_3repE0EEENS1_30default_config_static_selectorELNS0_4arch9wavefront6targetE0EEEvSP_.kd
    .uniform_work_group_size: 1
    .uses_dynamic_stack: false
    .vgpr_count:     0
    .vgpr_spill_count: 0
    .wavefront_size: 32
  - .args:
      - .offset:         0
        .size:           48
        .value_kind:     by_value
    .group_segment_fixed_size: 0
    .kernarg_segment_align: 8
    .kernarg_segment_size: 48
    .language:       OpenCL C
    .language_version:
      - 2
      - 0
    .max_flat_workgroup_size: 256
    .name:           _ZN7rocprim17ROCPRIM_400000_NS6detail17trampoline_kernelINS0_14default_configENS1_32segmented_reduce_config_selectorIfEEZNS1_21segmented_reduce_implIS3_PKfPfPKlfN6hipcub16HIPCUB_304000_NS6detail27convert_result_type_wrapperIS8_S9_N2at6native12_GLOBAL__N_19CustomMaxEEEEE10hipError_tPvRmT0_T1_jT2_SQ_T4_T3_P12ihipStream_tbEUlT_E_NS1_11comp_targetILNS1_3genE2ELNS1_11target_archE906ELNS1_3gpuE6ELNS1_3repE0EEENS1_30default_config_static_selectorELNS0_4arch9wavefront6targetE0EEEvSP_
    .private_segment_fixed_size: 0
    .sgpr_count:     0
    .sgpr_spill_count: 0
    .symbol:         _ZN7rocprim17ROCPRIM_400000_NS6detail17trampoline_kernelINS0_14default_configENS1_32segmented_reduce_config_selectorIfEEZNS1_21segmented_reduce_implIS3_PKfPfPKlfN6hipcub16HIPCUB_304000_NS6detail27convert_result_type_wrapperIS8_S9_N2at6native12_GLOBAL__N_19CustomMaxEEEEE10hipError_tPvRmT0_T1_jT2_SQ_T4_T3_P12ihipStream_tbEUlT_E_NS1_11comp_targetILNS1_3genE2ELNS1_11target_archE906ELNS1_3gpuE6ELNS1_3repE0EEENS1_30default_config_static_selectorELNS0_4arch9wavefront6targetE0EEEvSP_.kd
    .uniform_work_group_size: 1
    .uses_dynamic_stack: false
    .vgpr_count:     0
    .vgpr_spill_count: 0
    .wavefront_size: 32
  - .args:
      - .offset:         0
        .size:           48
        .value_kind:     by_value
    .group_segment_fixed_size: 0
    .kernarg_segment_align: 8
    .kernarg_segment_size: 48
    .language:       OpenCL C
    .language_version:
      - 2
      - 0
    .max_flat_workgroup_size: 256
    .name:           _ZN7rocprim17ROCPRIM_400000_NS6detail17trampoline_kernelINS0_14default_configENS1_32segmented_reduce_config_selectorIfEEZNS1_21segmented_reduce_implIS3_PKfPfPKlfN6hipcub16HIPCUB_304000_NS6detail27convert_result_type_wrapperIS8_S9_N2at6native12_GLOBAL__N_19CustomMaxEEEEE10hipError_tPvRmT0_T1_jT2_SQ_T4_T3_P12ihipStream_tbEUlT_E_NS1_11comp_targetILNS1_3genE9ELNS1_11target_archE1100ELNS1_3gpuE3ELNS1_3repE0EEENS1_30default_config_static_selectorELNS0_4arch9wavefront6targetE0EEEvSP_
    .private_segment_fixed_size: 0
    .sgpr_count:     0
    .sgpr_spill_count: 0
    .symbol:         _ZN7rocprim17ROCPRIM_400000_NS6detail17trampoline_kernelINS0_14default_configENS1_32segmented_reduce_config_selectorIfEEZNS1_21segmented_reduce_implIS3_PKfPfPKlfN6hipcub16HIPCUB_304000_NS6detail27convert_result_type_wrapperIS8_S9_N2at6native12_GLOBAL__N_19CustomMaxEEEEE10hipError_tPvRmT0_T1_jT2_SQ_T4_T3_P12ihipStream_tbEUlT_E_NS1_11comp_targetILNS1_3genE9ELNS1_11target_archE1100ELNS1_3gpuE3ELNS1_3repE0EEENS1_30default_config_static_selectorELNS0_4arch9wavefront6targetE0EEEvSP_.kd
    .uniform_work_group_size: 1
    .uses_dynamic_stack: false
    .vgpr_count:     0
    .vgpr_spill_count: 0
    .wavefront_size: 32
  - .args:
      - .offset:         0
        .size:           48
        .value_kind:     by_value
    .group_segment_fixed_size: 0
    .kernarg_segment_align: 8
    .kernarg_segment_size: 48
    .language:       OpenCL C
    .language_version:
      - 2
      - 0
    .max_flat_workgroup_size: 256
    .name:           _ZN7rocprim17ROCPRIM_400000_NS6detail17trampoline_kernelINS0_14default_configENS1_32segmented_reduce_config_selectorIfEEZNS1_21segmented_reduce_implIS3_PKfPfPKlfN6hipcub16HIPCUB_304000_NS6detail27convert_result_type_wrapperIS8_S9_N2at6native12_GLOBAL__N_19CustomMaxEEEEE10hipError_tPvRmT0_T1_jT2_SQ_T4_T3_P12ihipStream_tbEUlT_E_NS1_11comp_targetILNS1_3genE8ELNS1_11target_archE1030ELNS1_3gpuE2ELNS1_3repE0EEENS1_30default_config_static_selectorELNS0_4arch9wavefront6targetE0EEEvSP_
    .private_segment_fixed_size: 0
    .sgpr_count:     0
    .sgpr_spill_count: 0
    .symbol:         _ZN7rocprim17ROCPRIM_400000_NS6detail17trampoline_kernelINS0_14default_configENS1_32segmented_reduce_config_selectorIfEEZNS1_21segmented_reduce_implIS3_PKfPfPKlfN6hipcub16HIPCUB_304000_NS6detail27convert_result_type_wrapperIS8_S9_N2at6native12_GLOBAL__N_19CustomMaxEEEEE10hipError_tPvRmT0_T1_jT2_SQ_T4_T3_P12ihipStream_tbEUlT_E_NS1_11comp_targetILNS1_3genE8ELNS1_11target_archE1030ELNS1_3gpuE2ELNS1_3repE0EEENS1_30default_config_static_selectorELNS0_4arch9wavefront6targetE0EEEvSP_.kd
    .uniform_work_group_size: 1
    .uses_dynamic_stack: false
    .vgpr_count:     0
    .vgpr_spill_count: 0
    .wavefront_size: 32
  - .args:
      - .offset:         0
        .size:           48
        .value_kind:     by_value
    .group_segment_fixed_size: 32
    .kernarg_segment_align: 8
    .kernarg_segment_size: 48
    .language:       OpenCL C
    .language_version:
      - 2
      - 0
    .max_flat_workgroup_size: 256
    .name:           _ZN7rocprim17ROCPRIM_400000_NS6detail17trampoline_kernelINS0_14default_configENS1_32segmented_reduce_config_selectorIfEEZNS1_21segmented_reduce_implIS3_PKfPfPKlfN6hipcub16HIPCUB_304000_NS6detail27convert_result_type_wrapperIS8_S9_N2at6native12_GLOBAL__N_19CustomSumEEEEE10hipError_tPvRmT0_T1_jT2_SQ_T4_T3_P12ihipStream_tbEUlT_E_NS1_11comp_targetILNS1_3genE0ELNS1_11target_archE4294967295ELNS1_3gpuE0ELNS1_3repE0EEENS1_30default_config_static_selectorELNS0_4arch9wavefront6targetE0EEEvSP_
    .private_segment_fixed_size: 0
    .sgpr_count:     34
    .sgpr_spill_count: 0
    .symbol:         _ZN7rocprim17ROCPRIM_400000_NS6detail17trampoline_kernelINS0_14default_configENS1_32segmented_reduce_config_selectorIfEEZNS1_21segmented_reduce_implIS3_PKfPfPKlfN6hipcub16HIPCUB_304000_NS6detail27convert_result_type_wrapperIS8_S9_N2at6native12_GLOBAL__N_19CustomSumEEEEE10hipError_tPvRmT0_T1_jT2_SQ_T4_T3_P12ihipStream_tbEUlT_E_NS1_11comp_targetILNS1_3genE0ELNS1_11target_archE4294967295ELNS1_3gpuE0ELNS1_3repE0EEENS1_30default_config_static_selectorELNS0_4arch9wavefront6targetE0EEEvSP_.kd
    .uniform_work_group_size: 1
    .uses_dynamic_stack: false
    .vgpr_count:     21
    .vgpr_spill_count: 0
    .wavefront_size: 32
  - .args:
      - .offset:         0
        .size:           48
        .value_kind:     by_value
    .group_segment_fixed_size: 0
    .kernarg_segment_align: 8
    .kernarg_segment_size: 48
    .language:       OpenCL C
    .language_version:
      - 2
      - 0
    .max_flat_workgroup_size: 256
    .name:           _ZN7rocprim17ROCPRIM_400000_NS6detail17trampoline_kernelINS0_14default_configENS1_32segmented_reduce_config_selectorIfEEZNS1_21segmented_reduce_implIS3_PKfPfPKlfN6hipcub16HIPCUB_304000_NS6detail27convert_result_type_wrapperIS8_S9_N2at6native12_GLOBAL__N_19CustomSumEEEEE10hipError_tPvRmT0_T1_jT2_SQ_T4_T3_P12ihipStream_tbEUlT_E_NS1_11comp_targetILNS1_3genE5ELNS1_11target_archE942ELNS1_3gpuE9ELNS1_3repE0EEENS1_30default_config_static_selectorELNS0_4arch9wavefront6targetE0EEEvSP_
    .private_segment_fixed_size: 0
    .sgpr_count:     0
    .sgpr_spill_count: 0
    .symbol:         _ZN7rocprim17ROCPRIM_400000_NS6detail17trampoline_kernelINS0_14default_configENS1_32segmented_reduce_config_selectorIfEEZNS1_21segmented_reduce_implIS3_PKfPfPKlfN6hipcub16HIPCUB_304000_NS6detail27convert_result_type_wrapperIS8_S9_N2at6native12_GLOBAL__N_19CustomSumEEEEE10hipError_tPvRmT0_T1_jT2_SQ_T4_T3_P12ihipStream_tbEUlT_E_NS1_11comp_targetILNS1_3genE5ELNS1_11target_archE942ELNS1_3gpuE9ELNS1_3repE0EEENS1_30default_config_static_selectorELNS0_4arch9wavefront6targetE0EEEvSP_.kd
    .uniform_work_group_size: 1
    .uses_dynamic_stack: false
    .vgpr_count:     0
    .vgpr_spill_count: 0
    .wavefront_size: 32
  - .args:
      - .offset:         0
        .size:           48
        .value_kind:     by_value
    .group_segment_fixed_size: 0
    .kernarg_segment_align: 8
    .kernarg_segment_size: 48
    .language:       OpenCL C
    .language_version:
      - 2
      - 0
    .max_flat_workgroup_size: 256
    .name:           _ZN7rocprim17ROCPRIM_400000_NS6detail17trampoline_kernelINS0_14default_configENS1_32segmented_reduce_config_selectorIfEEZNS1_21segmented_reduce_implIS3_PKfPfPKlfN6hipcub16HIPCUB_304000_NS6detail27convert_result_type_wrapperIS8_S9_N2at6native12_GLOBAL__N_19CustomSumEEEEE10hipError_tPvRmT0_T1_jT2_SQ_T4_T3_P12ihipStream_tbEUlT_E_NS1_11comp_targetILNS1_3genE10ELNS1_11target_archE1201ELNS1_3gpuE5ELNS1_3repE0EEENS1_30default_config_static_selectorELNS0_4arch9wavefront6targetE0EEEvSP_
    .private_segment_fixed_size: 0
    .sgpr_count:     0
    .sgpr_spill_count: 0
    .symbol:         _ZN7rocprim17ROCPRIM_400000_NS6detail17trampoline_kernelINS0_14default_configENS1_32segmented_reduce_config_selectorIfEEZNS1_21segmented_reduce_implIS3_PKfPfPKlfN6hipcub16HIPCUB_304000_NS6detail27convert_result_type_wrapperIS8_S9_N2at6native12_GLOBAL__N_19CustomSumEEEEE10hipError_tPvRmT0_T1_jT2_SQ_T4_T3_P12ihipStream_tbEUlT_E_NS1_11comp_targetILNS1_3genE10ELNS1_11target_archE1201ELNS1_3gpuE5ELNS1_3repE0EEENS1_30default_config_static_selectorELNS0_4arch9wavefront6targetE0EEEvSP_.kd
    .uniform_work_group_size: 1
    .uses_dynamic_stack: false
    .vgpr_count:     0
    .vgpr_spill_count: 0
    .wavefront_size: 32
  - .args:
      - .offset:         0
        .size:           48
        .value_kind:     by_value
    .group_segment_fixed_size: 0
    .kernarg_segment_align: 8
    .kernarg_segment_size: 48
    .language:       OpenCL C
    .language_version:
      - 2
      - 0
    .max_flat_workgroup_size: 256
    .name:           _ZN7rocprim17ROCPRIM_400000_NS6detail17trampoline_kernelINS0_14default_configENS1_32segmented_reduce_config_selectorIfEEZNS1_21segmented_reduce_implIS3_PKfPfPKlfN6hipcub16HIPCUB_304000_NS6detail27convert_result_type_wrapperIS8_S9_N2at6native12_GLOBAL__N_19CustomSumEEEEE10hipError_tPvRmT0_T1_jT2_SQ_T4_T3_P12ihipStream_tbEUlT_E_NS1_11comp_targetILNS1_3genE4ELNS1_11target_archE910ELNS1_3gpuE8ELNS1_3repE0EEENS1_30default_config_static_selectorELNS0_4arch9wavefront6targetE0EEEvSP_
    .private_segment_fixed_size: 0
    .sgpr_count:     0
    .sgpr_spill_count: 0
    .symbol:         _ZN7rocprim17ROCPRIM_400000_NS6detail17trampoline_kernelINS0_14default_configENS1_32segmented_reduce_config_selectorIfEEZNS1_21segmented_reduce_implIS3_PKfPfPKlfN6hipcub16HIPCUB_304000_NS6detail27convert_result_type_wrapperIS8_S9_N2at6native12_GLOBAL__N_19CustomSumEEEEE10hipError_tPvRmT0_T1_jT2_SQ_T4_T3_P12ihipStream_tbEUlT_E_NS1_11comp_targetILNS1_3genE4ELNS1_11target_archE910ELNS1_3gpuE8ELNS1_3repE0EEENS1_30default_config_static_selectorELNS0_4arch9wavefront6targetE0EEEvSP_.kd
    .uniform_work_group_size: 1
    .uses_dynamic_stack: false
    .vgpr_count:     0
    .vgpr_spill_count: 0
    .wavefront_size: 32
  - .args:
      - .offset:         0
        .size:           48
        .value_kind:     by_value
    .group_segment_fixed_size: 0
    .kernarg_segment_align: 8
    .kernarg_segment_size: 48
    .language:       OpenCL C
    .language_version:
      - 2
      - 0
    .max_flat_workgroup_size: 256
    .name:           _ZN7rocprim17ROCPRIM_400000_NS6detail17trampoline_kernelINS0_14default_configENS1_32segmented_reduce_config_selectorIfEEZNS1_21segmented_reduce_implIS3_PKfPfPKlfN6hipcub16HIPCUB_304000_NS6detail27convert_result_type_wrapperIS8_S9_N2at6native12_GLOBAL__N_19CustomSumEEEEE10hipError_tPvRmT0_T1_jT2_SQ_T4_T3_P12ihipStream_tbEUlT_E_NS1_11comp_targetILNS1_3genE3ELNS1_11target_archE908ELNS1_3gpuE7ELNS1_3repE0EEENS1_30default_config_static_selectorELNS0_4arch9wavefront6targetE0EEEvSP_
    .private_segment_fixed_size: 0
    .sgpr_count:     0
    .sgpr_spill_count: 0
    .symbol:         _ZN7rocprim17ROCPRIM_400000_NS6detail17trampoline_kernelINS0_14default_configENS1_32segmented_reduce_config_selectorIfEEZNS1_21segmented_reduce_implIS3_PKfPfPKlfN6hipcub16HIPCUB_304000_NS6detail27convert_result_type_wrapperIS8_S9_N2at6native12_GLOBAL__N_19CustomSumEEEEE10hipError_tPvRmT0_T1_jT2_SQ_T4_T3_P12ihipStream_tbEUlT_E_NS1_11comp_targetILNS1_3genE3ELNS1_11target_archE908ELNS1_3gpuE7ELNS1_3repE0EEENS1_30default_config_static_selectorELNS0_4arch9wavefront6targetE0EEEvSP_.kd
    .uniform_work_group_size: 1
    .uses_dynamic_stack: false
    .vgpr_count:     0
    .vgpr_spill_count: 0
    .wavefront_size: 32
  - .args:
      - .offset:         0
        .size:           48
        .value_kind:     by_value
    .group_segment_fixed_size: 0
    .kernarg_segment_align: 8
    .kernarg_segment_size: 48
    .language:       OpenCL C
    .language_version:
      - 2
      - 0
    .max_flat_workgroup_size: 256
    .name:           _ZN7rocprim17ROCPRIM_400000_NS6detail17trampoline_kernelINS0_14default_configENS1_32segmented_reduce_config_selectorIfEEZNS1_21segmented_reduce_implIS3_PKfPfPKlfN6hipcub16HIPCUB_304000_NS6detail27convert_result_type_wrapperIS8_S9_N2at6native12_GLOBAL__N_19CustomSumEEEEE10hipError_tPvRmT0_T1_jT2_SQ_T4_T3_P12ihipStream_tbEUlT_E_NS1_11comp_targetILNS1_3genE2ELNS1_11target_archE906ELNS1_3gpuE6ELNS1_3repE0EEENS1_30default_config_static_selectorELNS0_4arch9wavefront6targetE0EEEvSP_
    .private_segment_fixed_size: 0
    .sgpr_count:     0
    .sgpr_spill_count: 0
    .symbol:         _ZN7rocprim17ROCPRIM_400000_NS6detail17trampoline_kernelINS0_14default_configENS1_32segmented_reduce_config_selectorIfEEZNS1_21segmented_reduce_implIS3_PKfPfPKlfN6hipcub16HIPCUB_304000_NS6detail27convert_result_type_wrapperIS8_S9_N2at6native12_GLOBAL__N_19CustomSumEEEEE10hipError_tPvRmT0_T1_jT2_SQ_T4_T3_P12ihipStream_tbEUlT_E_NS1_11comp_targetILNS1_3genE2ELNS1_11target_archE906ELNS1_3gpuE6ELNS1_3repE0EEENS1_30default_config_static_selectorELNS0_4arch9wavefront6targetE0EEEvSP_.kd
    .uniform_work_group_size: 1
    .uses_dynamic_stack: false
    .vgpr_count:     0
    .vgpr_spill_count: 0
    .wavefront_size: 32
  - .args:
      - .offset:         0
        .size:           48
        .value_kind:     by_value
    .group_segment_fixed_size: 0
    .kernarg_segment_align: 8
    .kernarg_segment_size: 48
    .language:       OpenCL C
    .language_version:
      - 2
      - 0
    .max_flat_workgroup_size: 256
    .name:           _ZN7rocprim17ROCPRIM_400000_NS6detail17trampoline_kernelINS0_14default_configENS1_32segmented_reduce_config_selectorIfEEZNS1_21segmented_reduce_implIS3_PKfPfPKlfN6hipcub16HIPCUB_304000_NS6detail27convert_result_type_wrapperIS8_S9_N2at6native12_GLOBAL__N_19CustomSumEEEEE10hipError_tPvRmT0_T1_jT2_SQ_T4_T3_P12ihipStream_tbEUlT_E_NS1_11comp_targetILNS1_3genE9ELNS1_11target_archE1100ELNS1_3gpuE3ELNS1_3repE0EEENS1_30default_config_static_selectorELNS0_4arch9wavefront6targetE0EEEvSP_
    .private_segment_fixed_size: 0
    .sgpr_count:     0
    .sgpr_spill_count: 0
    .symbol:         _ZN7rocprim17ROCPRIM_400000_NS6detail17trampoline_kernelINS0_14default_configENS1_32segmented_reduce_config_selectorIfEEZNS1_21segmented_reduce_implIS3_PKfPfPKlfN6hipcub16HIPCUB_304000_NS6detail27convert_result_type_wrapperIS8_S9_N2at6native12_GLOBAL__N_19CustomSumEEEEE10hipError_tPvRmT0_T1_jT2_SQ_T4_T3_P12ihipStream_tbEUlT_E_NS1_11comp_targetILNS1_3genE9ELNS1_11target_archE1100ELNS1_3gpuE3ELNS1_3repE0EEENS1_30default_config_static_selectorELNS0_4arch9wavefront6targetE0EEEvSP_.kd
    .uniform_work_group_size: 1
    .uses_dynamic_stack: false
    .vgpr_count:     0
    .vgpr_spill_count: 0
    .wavefront_size: 32
  - .args:
      - .offset:         0
        .size:           48
        .value_kind:     by_value
    .group_segment_fixed_size: 0
    .kernarg_segment_align: 8
    .kernarg_segment_size: 48
    .language:       OpenCL C
    .language_version:
      - 2
      - 0
    .max_flat_workgroup_size: 256
    .name:           _ZN7rocprim17ROCPRIM_400000_NS6detail17trampoline_kernelINS0_14default_configENS1_32segmented_reduce_config_selectorIfEEZNS1_21segmented_reduce_implIS3_PKfPfPKlfN6hipcub16HIPCUB_304000_NS6detail27convert_result_type_wrapperIS8_S9_N2at6native12_GLOBAL__N_19CustomSumEEEEE10hipError_tPvRmT0_T1_jT2_SQ_T4_T3_P12ihipStream_tbEUlT_E_NS1_11comp_targetILNS1_3genE8ELNS1_11target_archE1030ELNS1_3gpuE2ELNS1_3repE0EEENS1_30default_config_static_selectorELNS0_4arch9wavefront6targetE0EEEvSP_
    .private_segment_fixed_size: 0
    .sgpr_count:     0
    .sgpr_spill_count: 0
    .symbol:         _ZN7rocprim17ROCPRIM_400000_NS6detail17trampoline_kernelINS0_14default_configENS1_32segmented_reduce_config_selectorIfEEZNS1_21segmented_reduce_implIS3_PKfPfPKlfN6hipcub16HIPCUB_304000_NS6detail27convert_result_type_wrapperIS8_S9_N2at6native12_GLOBAL__N_19CustomSumEEEEE10hipError_tPvRmT0_T1_jT2_SQ_T4_T3_P12ihipStream_tbEUlT_E_NS1_11comp_targetILNS1_3genE8ELNS1_11target_archE1030ELNS1_3gpuE2ELNS1_3repE0EEENS1_30default_config_static_selectorELNS0_4arch9wavefront6targetE0EEEvSP_.kd
    .uniform_work_group_size: 1
    .uses_dynamic_stack: false
    .vgpr_count:     0
    .vgpr_spill_count: 0
    .wavefront_size: 32
  - .args:
      - .address_space:  global
        .offset:         0
        .size:           8
        .value_kind:     global_buffer
      - .address_space:  global
        .offset:         8
        .size:           8
        .value_kind:     global_buffer
      - .offset:         16
        .size:           8
        .value_kind:     by_value
      - .offset:         24
        .size:           1
        .value_kind:     by_value
      - .offset:         28
        .size:           4
        .value_kind:     by_value
      - .offset:         32
        .size:           4
        .value_kind:     hidden_block_count_x
      - .offset:         36
        .size:           4
        .value_kind:     hidden_block_count_y
      - .offset:         40
        .size:           4
        .value_kind:     hidden_block_count_z
      - .offset:         44
        .size:           2
        .value_kind:     hidden_group_size_x
      - .offset:         46
        .size:           2
        .value_kind:     hidden_group_size_y
      - .offset:         48
        .size:           2
        .value_kind:     hidden_group_size_z
      - .offset:         50
        .size:           2
        .value_kind:     hidden_remainder_x
      - .offset:         52
        .size:           2
        .value_kind:     hidden_remainder_y
      - .offset:         54
        .size:           2
        .value_kind:     hidden_remainder_z
      - .offset:         72
        .size:           8
        .value_kind:     hidden_global_offset_x
      - .offset:         80
        .size:           8
        .value_kind:     hidden_global_offset_y
      - .offset:         88
        .size:           8
        .value_kind:     hidden_global_offset_z
      - .offset:         96
        .size:           2
        .value_kind:     hidden_grid_dims
    .group_segment_fixed_size: 0
    .kernarg_segment_align: 8
    .kernarg_segment_size: 288
    .language:       OpenCL C
    .language_version:
      - 2
      - 0
    .max_flat_workgroup_size: 1024
    .name:           _ZN2at6native12_GLOBAL__N_119post_sum_div_kernelIflEEvPT_PKT0_lbS3_
    .private_segment_fixed_size: 0
    .sgpr_count:     21
    .sgpr_spill_count: 0
    .symbol:         _ZN2at6native12_GLOBAL__N_119post_sum_div_kernelIflEEvPT_PKT0_lbS3_.kd
    .uniform_work_group_size: 1
    .uses_dynamic_stack: false
    .vgpr_count:     13
    .vgpr_spill_count: 0
    .wavefront_size: 32
  - .args:
      - .offset:         0
        .size:           48
        .value_kind:     by_value
    .group_segment_fixed_size: 32
    .kernarg_segment_align: 8
    .kernarg_segment_size: 48
    .language:       OpenCL C
    .language_version:
      - 2
      - 0
    .max_flat_workgroup_size: 256
    .name:           _ZN7rocprim17ROCPRIM_400000_NS6detail17trampoline_kernelINS0_14default_configENS1_32segmented_reduce_config_selectorIfEEZNS1_21segmented_reduce_implIS3_PKfPfPKlfN6hipcub16HIPCUB_304000_NS6detail27convert_result_type_wrapperIS8_S9_N2at6native12_GLOBAL__N_19CustomMinEEEEE10hipError_tPvRmT0_T1_jT2_SQ_T4_T3_P12ihipStream_tbEUlT_E_NS1_11comp_targetILNS1_3genE0ELNS1_11target_archE4294967295ELNS1_3gpuE0ELNS1_3repE0EEENS1_30default_config_static_selectorELNS0_4arch9wavefront6targetE0EEEvSP_
    .private_segment_fixed_size: 0
    .sgpr_count:     22
    .sgpr_spill_count: 0
    .symbol:         _ZN7rocprim17ROCPRIM_400000_NS6detail17trampoline_kernelINS0_14default_configENS1_32segmented_reduce_config_selectorIfEEZNS1_21segmented_reduce_implIS3_PKfPfPKlfN6hipcub16HIPCUB_304000_NS6detail27convert_result_type_wrapperIS8_S9_N2at6native12_GLOBAL__N_19CustomMinEEEEE10hipError_tPvRmT0_T1_jT2_SQ_T4_T3_P12ihipStream_tbEUlT_E_NS1_11comp_targetILNS1_3genE0ELNS1_11target_archE4294967295ELNS1_3gpuE0ELNS1_3repE0EEENS1_30default_config_static_selectorELNS0_4arch9wavefront6targetE0EEEvSP_.kd
    .uniform_work_group_size: 1
    .uses_dynamic_stack: false
    .vgpr_count:     33
    .vgpr_spill_count: 0
    .wavefront_size: 32
  - .args:
      - .offset:         0
        .size:           48
        .value_kind:     by_value
    .group_segment_fixed_size: 0
    .kernarg_segment_align: 8
    .kernarg_segment_size: 48
    .language:       OpenCL C
    .language_version:
      - 2
      - 0
    .max_flat_workgroup_size: 256
    .name:           _ZN7rocprim17ROCPRIM_400000_NS6detail17trampoline_kernelINS0_14default_configENS1_32segmented_reduce_config_selectorIfEEZNS1_21segmented_reduce_implIS3_PKfPfPKlfN6hipcub16HIPCUB_304000_NS6detail27convert_result_type_wrapperIS8_S9_N2at6native12_GLOBAL__N_19CustomMinEEEEE10hipError_tPvRmT0_T1_jT2_SQ_T4_T3_P12ihipStream_tbEUlT_E_NS1_11comp_targetILNS1_3genE5ELNS1_11target_archE942ELNS1_3gpuE9ELNS1_3repE0EEENS1_30default_config_static_selectorELNS0_4arch9wavefront6targetE0EEEvSP_
    .private_segment_fixed_size: 0
    .sgpr_count:     0
    .sgpr_spill_count: 0
    .symbol:         _ZN7rocprim17ROCPRIM_400000_NS6detail17trampoline_kernelINS0_14default_configENS1_32segmented_reduce_config_selectorIfEEZNS1_21segmented_reduce_implIS3_PKfPfPKlfN6hipcub16HIPCUB_304000_NS6detail27convert_result_type_wrapperIS8_S9_N2at6native12_GLOBAL__N_19CustomMinEEEEE10hipError_tPvRmT0_T1_jT2_SQ_T4_T3_P12ihipStream_tbEUlT_E_NS1_11comp_targetILNS1_3genE5ELNS1_11target_archE942ELNS1_3gpuE9ELNS1_3repE0EEENS1_30default_config_static_selectorELNS0_4arch9wavefront6targetE0EEEvSP_.kd
    .uniform_work_group_size: 1
    .uses_dynamic_stack: false
    .vgpr_count:     0
    .vgpr_spill_count: 0
    .wavefront_size: 32
  - .args:
      - .offset:         0
        .size:           48
        .value_kind:     by_value
    .group_segment_fixed_size: 0
    .kernarg_segment_align: 8
    .kernarg_segment_size: 48
    .language:       OpenCL C
    .language_version:
      - 2
      - 0
    .max_flat_workgroup_size: 256
    .name:           _ZN7rocprim17ROCPRIM_400000_NS6detail17trampoline_kernelINS0_14default_configENS1_32segmented_reduce_config_selectorIfEEZNS1_21segmented_reduce_implIS3_PKfPfPKlfN6hipcub16HIPCUB_304000_NS6detail27convert_result_type_wrapperIS8_S9_N2at6native12_GLOBAL__N_19CustomMinEEEEE10hipError_tPvRmT0_T1_jT2_SQ_T4_T3_P12ihipStream_tbEUlT_E_NS1_11comp_targetILNS1_3genE10ELNS1_11target_archE1201ELNS1_3gpuE5ELNS1_3repE0EEENS1_30default_config_static_selectorELNS0_4arch9wavefront6targetE0EEEvSP_
    .private_segment_fixed_size: 0
    .sgpr_count:     0
    .sgpr_spill_count: 0
    .symbol:         _ZN7rocprim17ROCPRIM_400000_NS6detail17trampoline_kernelINS0_14default_configENS1_32segmented_reduce_config_selectorIfEEZNS1_21segmented_reduce_implIS3_PKfPfPKlfN6hipcub16HIPCUB_304000_NS6detail27convert_result_type_wrapperIS8_S9_N2at6native12_GLOBAL__N_19CustomMinEEEEE10hipError_tPvRmT0_T1_jT2_SQ_T4_T3_P12ihipStream_tbEUlT_E_NS1_11comp_targetILNS1_3genE10ELNS1_11target_archE1201ELNS1_3gpuE5ELNS1_3repE0EEENS1_30default_config_static_selectorELNS0_4arch9wavefront6targetE0EEEvSP_.kd
    .uniform_work_group_size: 1
    .uses_dynamic_stack: false
    .vgpr_count:     0
    .vgpr_spill_count: 0
    .wavefront_size: 32
  - .args:
      - .offset:         0
        .size:           48
        .value_kind:     by_value
    .group_segment_fixed_size: 0
    .kernarg_segment_align: 8
    .kernarg_segment_size: 48
    .language:       OpenCL C
    .language_version:
      - 2
      - 0
    .max_flat_workgroup_size: 256
    .name:           _ZN7rocprim17ROCPRIM_400000_NS6detail17trampoline_kernelINS0_14default_configENS1_32segmented_reduce_config_selectorIfEEZNS1_21segmented_reduce_implIS3_PKfPfPKlfN6hipcub16HIPCUB_304000_NS6detail27convert_result_type_wrapperIS8_S9_N2at6native12_GLOBAL__N_19CustomMinEEEEE10hipError_tPvRmT0_T1_jT2_SQ_T4_T3_P12ihipStream_tbEUlT_E_NS1_11comp_targetILNS1_3genE4ELNS1_11target_archE910ELNS1_3gpuE8ELNS1_3repE0EEENS1_30default_config_static_selectorELNS0_4arch9wavefront6targetE0EEEvSP_
    .private_segment_fixed_size: 0
    .sgpr_count:     0
    .sgpr_spill_count: 0
    .symbol:         _ZN7rocprim17ROCPRIM_400000_NS6detail17trampoline_kernelINS0_14default_configENS1_32segmented_reduce_config_selectorIfEEZNS1_21segmented_reduce_implIS3_PKfPfPKlfN6hipcub16HIPCUB_304000_NS6detail27convert_result_type_wrapperIS8_S9_N2at6native12_GLOBAL__N_19CustomMinEEEEE10hipError_tPvRmT0_T1_jT2_SQ_T4_T3_P12ihipStream_tbEUlT_E_NS1_11comp_targetILNS1_3genE4ELNS1_11target_archE910ELNS1_3gpuE8ELNS1_3repE0EEENS1_30default_config_static_selectorELNS0_4arch9wavefront6targetE0EEEvSP_.kd
    .uniform_work_group_size: 1
    .uses_dynamic_stack: false
    .vgpr_count:     0
    .vgpr_spill_count: 0
    .wavefront_size: 32
  - .args:
      - .offset:         0
        .size:           48
        .value_kind:     by_value
    .group_segment_fixed_size: 0
    .kernarg_segment_align: 8
    .kernarg_segment_size: 48
    .language:       OpenCL C
    .language_version:
      - 2
      - 0
    .max_flat_workgroup_size: 256
    .name:           _ZN7rocprim17ROCPRIM_400000_NS6detail17trampoline_kernelINS0_14default_configENS1_32segmented_reduce_config_selectorIfEEZNS1_21segmented_reduce_implIS3_PKfPfPKlfN6hipcub16HIPCUB_304000_NS6detail27convert_result_type_wrapperIS8_S9_N2at6native12_GLOBAL__N_19CustomMinEEEEE10hipError_tPvRmT0_T1_jT2_SQ_T4_T3_P12ihipStream_tbEUlT_E_NS1_11comp_targetILNS1_3genE3ELNS1_11target_archE908ELNS1_3gpuE7ELNS1_3repE0EEENS1_30default_config_static_selectorELNS0_4arch9wavefront6targetE0EEEvSP_
    .private_segment_fixed_size: 0
    .sgpr_count:     0
    .sgpr_spill_count: 0
    .symbol:         _ZN7rocprim17ROCPRIM_400000_NS6detail17trampoline_kernelINS0_14default_configENS1_32segmented_reduce_config_selectorIfEEZNS1_21segmented_reduce_implIS3_PKfPfPKlfN6hipcub16HIPCUB_304000_NS6detail27convert_result_type_wrapperIS8_S9_N2at6native12_GLOBAL__N_19CustomMinEEEEE10hipError_tPvRmT0_T1_jT2_SQ_T4_T3_P12ihipStream_tbEUlT_E_NS1_11comp_targetILNS1_3genE3ELNS1_11target_archE908ELNS1_3gpuE7ELNS1_3repE0EEENS1_30default_config_static_selectorELNS0_4arch9wavefront6targetE0EEEvSP_.kd
    .uniform_work_group_size: 1
    .uses_dynamic_stack: false
    .vgpr_count:     0
    .vgpr_spill_count: 0
    .wavefront_size: 32
  - .args:
      - .offset:         0
        .size:           48
        .value_kind:     by_value
    .group_segment_fixed_size: 0
    .kernarg_segment_align: 8
    .kernarg_segment_size: 48
    .language:       OpenCL C
    .language_version:
      - 2
      - 0
    .max_flat_workgroup_size: 256
    .name:           _ZN7rocprim17ROCPRIM_400000_NS6detail17trampoline_kernelINS0_14default_configENS1_32segmented_reduce_config_selectorIfEEZNS1_21segmented_reduce_implIS3_PKfPfPKlfN6hipcub16HIPCUB_304000_NS6detail27convert_result_type_wrapperIS8_S9_N2at6native12_GLOBAL__N_19CustomMinEEEEE10hipError_tPvRmT0_T1_jT2_SQ_T4_T3_P12ihipStream_tbEUlT_E_NS1_11comp_targetILNS1_3genE2ELNS1_11target_archE906ELNS1_3gpuE6ELNS1_3repE0EEENS1_30default_config_static_selectorELNS0_4arch9wavefront6targetE0EEEvSP_
    .private_segment_fixed_size: 0
    .sgpr_count:     0
    .sgpr_spill_count: 0
    .symbol:         _ZN7rocprim17ROCPRIM_400000_NS6detail17trampoline_kernelINS0_14default_configENS1_32segmented_reduce_config_selectorIfEEZNS1_21segmented_reduce_implIS3_PKfPfPKlfN6hipcub16HIPCUB_304000_NS6detail27convert_result_type_wrapperIS8_S9_N2at6native12_GLOBAL__N_19CustomMinEEEEE10hipError_tPvRmT0_T1_jT2_SQ_T4_T3_P12ihipStream_tbEUlT_E_NS1_11comp_targetILNS1_3genE2ELNS1_11target_archE906ELNS1_3gpuE6ELNS1_3repE0EEENS1_30default_config_static_selectorELNS0_4arch9wavefront6targetE0EEEvSP_.kd
    .uniform_work_group_size: 1
    .uses_dynamic_stack: false
    .vgpr_count:     0
    .vgpr_spill_count: 0
    .wavefront_size: 32
  - .args:
      - .offset:         0
        .size:           48
        .value_kind:     by_value
    .group_segment_fixed_size: 0
    .kernarg_segment_align: 8
    .kernarg_segment_size: 48
    .language:       OpenCL C
    .language_version:
      - 2
      - 0
    .max_flat_workgroup_size: 256
    .name:           _ZN7rocprim17ROCPRIM_400000_NS6detail17trampoline_kernelINS0_14default_configENS1_32segmented_reduce_config_selectorIfEEZNS1_21segmented_reduce_implIS3_PKfPfPKlfN6hipcub16HIPCUB_304000_NS6detail27convert_result_type_wrapperIS8_S9_N2at6native12_GLOBAL__N_19CustomMinEEEEE10hipError_tPvRmT0_T1_jT2_SQ_T4_T3_P12ihipStream_tbEUlT_E_NS1_11comp_targetILNS1_3genE9ELNS1_11target_archE1100ELNS1_3gpuE3ELNS1_3repE0EEENS1_30default_config_static_selectorELNS0_4arch9wavefront6targetE0EEEvSP_
    .private_segment_fixed_size: 0
    .sgpr_count:     0
    .sgpr_spill_count: 0
    .symbol:         _ZN7rocprim17ROCPRIM_400000_NS6detail17trampoline_kernelINS0_14default_configENS1_32segmented_reduce_config_selectorIfEEZNS1_21segmented_reduce_implIS3_PKfPfPKlfN6hipcub16HIPCUB_304000_NS6detail27convert_result_type_wrapperIS8_S9_N2at6native12_GLOBAL__N_19CustomMinEEEEE10hipError_tPvRmT0_T1_jT2_SQ_T4_T3_P12ihipStream_tbEUlT_E_NS1_11comp_targetILNS1_3genE9ELNS1_11target_archE1100ELNS1_3gpuE3ELNS1_3repE0EEENS1_30default_config_static_selectorELNS0_4arch9wavefront6targetE0EEEvSP_.kd
    .uniform_work_group_size: 1
    .uses_dynamic_stack: false
    .vgpr_count:     0
    .vgpr_spill_count: 0
    .wavefront_size: 32
  - .args:
      - .offset:         0
        .size:           48
        .value_kind:     by_value
    .group_segment_fixed_size: 0
    .kernarg_segment_align: 8
    .kernarg_segment_size: 48
    .language:       OpenCL C
    .language_version:
      - 2
      - 0
    .max_flat_workgroup_size: 256
    .name:           _ZN7rocprim17ROCPRIM_400000_NS6detail17trampoline_kernelINS0_14default_configENS1_32segmented_reduce_config_selectorIfEEZNS1_21segmented_reduce_implIS3_PKfPfPKlfN6hipcub16HIPCUB_304000_NS6detail27convert_result_type_wrapperIS8_S9_N2at6native12_GLOBAL__N_19CustomMinEEEEE10hipError_tPvRmT0_T1_jT2_SQ_T4_T3_P12ihipStream_tbEUlT_E_NS1_11comp_targetILNS1_3genE8ELNS1_11target_archE1030ELNS1_3gpuE2ELNS1_3repE0EEENS1_30default_config_static_selectorELNS0_4arch9wavefront6targetE0EEEvSP_
    .private_segment_fixed_size: 0
    .sgpr_count:     0
    .sgpr_spill_count: 0
    .symbol:         _ZN7rocprim17ROCPRIM_400000_NS6detail17trampoline_kernelINS0_14default_configENS1_32segmented_reduce_config_selectorIfEEZNS1_21segmented_reduce_implIS3_PKfPfPKlfN6hipcub16HIPCUB_304000_NS6detail27convert_result_type_wrapperIS8_S9_N2at6native12_GLOBAL__N_19CustomMinEEEEE10hipError_tPvRmT0_T1_jT2_SQ_T4_T3_P12ihipStream_tbEUlT_E_NS1_11comp_targetILNS1_3genE8ELNS1_11target_archE1030ELNS1_3gpuE2ELNS1_3repE0EEENS1_30default_config_static_selectorELNS0_4arch9wavefront6targetE0EEEvSP_.kd
    .uniform_work_group_size: 1
    .uses_dynamic_stack: false
    .vgpr_count:     0
    .vgpr_spill_count: 0
    .wavefront_size: 32
  - .args:
      - .offset:         0
        .size:           48
        .value_kind:     by_value
    .group_segment_fixed_size: 32
    .kernarg_segment_align: 8
    .kernarg_segment_size: 48
    .language:       OpenCL C
    .language_version:
      - 2
      - 0
    .max_flat_workgroup_size: 256
    .name:           _ZN7rocprim17ROCPRIM_400000_NS6detail17trampoline_kernelINS0_14default_configENS1_32segmented_reduce_config_selectorIfEEZNS1_21segmented_reduce_implIS3_PKfPfPKlfN6hipcub16HIPCUB_304000_NS6detail27convert_result_type_wrapperIS8_S9_N2at6native12_GLOBAL__N_110CustomProdEEEEE10hipError_tPvRmT0_T1_jT2_SQ_T4_T3_P12ihipStream_tbEUlT_E_NS1_11comp_targetILNS1_3genE0ELNS1_11target_archE4294967295ELNS1_3gpuE0ELNS1_3repE0EEENS1_30default_config_static_selectorELNS0_4arch9wavefront6targetE0EEEvSP_
    .private_segment_fixed_size: 0
    .sgpr_count:     34
    .sgpr_spill_count: 0
    .symbol:         _ZN7rocprim17ROCPRIM_400000_NS6detail17trampoline_kernelINS0_14default_configENS1_32segmented_reduce_config_selectorIfEEZNS1_21segmented_reduce_implIS3_PKfPfPKlfN6hipcub16HIPCUB_304000_NS6detail27convert_result_type_wrapperIS8_S9_N2at6native12_GLOBAL__N_110CustomProdEEEEE10hipError_tPvRmT0_T1_jT2_SQ_T4_T3_P12ihipStream_tbEUlT_E_NS1_11comp_targetILNS1_3genE0ELNS1_11target_archE4294967295ELNS1_3gpuE0ELNS1_3repE0EEENS1_30default_config_static_selectorELNS0_4arch9wavefront6targetE0EEEvSP_.kd
    .uniform_work_group_size: 1
    .uses_dynamic_stack: false
    .vgpr_count:     21
    .vgpr_spill_count: 0
    .wavefront_size: 32
  - .args:
      - .offset:         0
        .size:           48
        .value_kind:     by_value
    .group_segment_fixed_size: 0
    .kernarg_segment_align: 8
    .kernarg_segment_size: 48
    .language:       OpenCL C
    .language_version:
      - 2
      - 0
    .max_flat_workgroup_size: 256
    .name:           _ZN7rocprim17ROCPRIM_400000_NS6detail17trampoline_kernelINS0_14default_configENS1_32segmented_reduce_config_selectorIfEEZNS1_21segmented_reduce_implIS3_PKfPfPKlfN6hipcub16HIPCUB_304000_NS6detail27convert_result_type_wrapperIS8_S9_N2at6native12_GLOBAL__N_110CustomProdEEEEE10hipError_tPvRmT0_T1_jT2_SQ_T4_T3_P12ihipStream_tbEUlT_E_NS1_11comp_targetILNS1_3genE5ELNS1_11target_archE942ELNS1_3gpuE9ELNS1_3repE0EEENS1_30default_config_static_selectorELNS0_4arch9wavefront6targetE0EEEvSP_
    .private_segment_fixed_size: 0
    .sgpr_count:     0
    .sgpr_spill_count: 0
    .symbol:         _ZN7rocprim17ROCPRIM_400000_NS6detail17trampoline_kernelINS0_14default_configENS1_32segmented_reduce_config_selectorIfEEZNS1_21segmented_reduce_implIS3_PKfPfPKlfN6hipcub16HIPCUB_304000_NS6detail27convert_result_type_wrapperIS8_S9_N2at6native12_GLOBAL__N_110CustomProdEEEEE10hipError_tPvRmT0_T1_jT2_SQ_T4_T3_P12ihipStream_tbEUlT_E_NS1_11comp_targetILNS1_3genE5ELNS1_11target_archE942ELNS1_3gpuE9ELNS1_3repE0EEENS1_30default_config_static_selectorELNS0_4arch9wavefront6targetE0EEEvSP_.kd
    .uniform_work_group_size: 1
    .uses_dynamic_stack: false
    .vgpr_count:     0
    .vgpr_spill_count: 0
    .wavefront_size: 32
  - .args:
      - .offset:         0
        .size:           48
        .value_kind:     by_value
    .group_segment_fixed_size: 0
    .kernarg_segment_align: 8
    .kernarg_segment_size: 48
    .language:       OpenCL C
    .language_version:
      - 2
      - 0
    .max_flat_workgroup_size: 256
    .name:           _ZN7rocprim17ROCPRIM_400000_NS6detail17trampoline_kernelINS0_14default_configENS1_32segmented_reduce_config_selectorIfEEZNS1_21segmented_reduce_implIS3_PKfPfPKlfN6hipcub16HIPCUB_304000_NS6detail27convert_result_type_wrapperIS8_S9_N2at6native12_GLOBAL__N_110CustomProdEEEEE10hipError_tPvRmT0_T1_jT2_SQ_T4_T3_P12ihipStream_tbEUlT_E_NS1_11comp_targetILNS1_3genE10ELNS1_11target_archE1201ELNS1_3gpuE5ELNS1_3repE0EEENS1_30default_config_static_selectorELNS0_4arch9wavefront6targetE0EEEvSP_
    .private_segment_fixed_size: 0
    .sgpr_count:     0
    .sgpr_spill_count: 0
    .symbol:         _ZN7rocprim17ROCPRIM_400000_NS6detail17trampoline_kernelINS0_14default_configENS1_32segmented_reduce_config_selectorIfEEZNS1_21segmented_reduce_implIS3_PKfPfPKlfN6hipcub16HIPCUB_304000_NS6detail27convert_result_type_wrapperIS8_S9_N2at6native12_GLOBAL__N_110CustomProdEEEEE10hipError_tPvRmT0_T1_jT2_SQ_T4_T3_P12ihipStream_tbEUlT_E_NS1_11comp_targetILNS1_3genE10ELNS1_11target_archE1201ELNS1_3gpuE5ELNS1_3repE0EEENS1_30default_config_static_selectorELNS0_4arch9wavefront6targetE0EEEvSP_.kd
    .uniform_work_group_size: 1
    .uses_dynamic_stack: false
    .vgpr_count:     0
    .vgpr_spill_count: 0
    .wavefront_size: 32
  - .args:
      - .offset:         0
        .size:           48
        .value_kind:     by_value
    .group_segment_fixed_size: 0
    .kernarg_segment_align: 8
    .kernarg_segment_size: 48
    .language:       OpenCL C
    .language_version:
      - 2
      - 0
    .max_flat_workgroup_size: 256
    .name:           _ZN7rocprim17ROCPRIM_400000_NS6detail17trampoline_kernelINS0_14default_configENS1_32segmented_reduce_config_selectorIfEEZNS1_21segmented_reduce_implIS3_PKfPfPKlfN6hipcub16HIPCUB_304000_NS6detail27convert_result_type_wrapperIS8_S9_N2at6native12_GLOBAL__N_110CustomProdEEEEE10hipError_tPvRmT0_T1_jT2_SQ_T4_T3_P12ihipStream_tbEUlT_E_NS1_11comp_targetILNS1_3genE4ELNS1_11target_archE910ELNS1_3gpuE8ELNS1_3repE0EEENS1_30default_config_static_selectorELNS0_4arch9wavefront6targetE0EEEvSP_
    .private_segment_fixed_size: 0
    .sgpr_count:     0
    .sgpr_spill_count: 0
    .symbol:         _ZN7rocprim17ROCPRIM_400000_NS6detail17trampoline_kernelINS0_14default_configENS1_32segmented_reduce_config_selectorIfEEZNS1_21segmented_reduce_implIS3_PKfPfPKlfN6hipcub16HIPCUB_304000_NS6detail27convert_result_type_wrapperIS8_S9_N2at6native12_GLOBAL__N_110CustomProdEEEEE10hipError_tPvRmT0_T1_jT2_SQ_T4_T3_P12ihipStream_tbEUlT_E_NS1_11comp_targetILNS1_3genE4ELNS1_11target_archE910ELNS1_3gpuE8ELNS1_3repE0EEENS1_30default_config_static_selectorELNS0_4arch9wavefront6targetE0EEEvSP_.kd
    .uniform_work_group_size: 1
    .uses_dynamic_stack: false
    .vgpr_count:     0
    .vgpr_spill_count: 0
    .wavefront_size: 32
  - .args:
      - .offset:         0
        .size:           48
        .value_kind:     by_value
    .group_segment_fixed_size: 0
    .kernarg_segment_align: 8
    .kernarg_segment_size: 48
    .language:       OpenCL C
    .language_version:
      - 2
      - 0
    .max_flat_workgroup_size: 256
    .name:           _ZN7rocprim17ROCPRIM_400000_NS6detail17trampoline_kernelINS0_14default_configENS1_32segmented_reduce_config_selectorIfEEZNS1_21segmented_reduce_implIS3_PKfPfPKlfN6hipcub16HIPCUB_304000_NS6detail27convert_result_type_wrapperIS8_S9_N2at6native12_GLOBAL__N_110CustomProdEEEEE10hipError_tPvRmT0_T1_jT2_SQ_T4_T3_P12ihipStream_tbEUlT_E_NS1_11comp_targetILNS1_3genE3ELNS1_11target_archE908ELNS1_3gpuE7ELNS1_3repE0EEENS1_30default_config_static_selectorELNS0_4arch9wavefront6targetE0EEEvSP_
    .private_segment_fixed_size: 0
    .sgpr_count:     0
    .sgpr_spill_count: 0
    .symbol:         _ZN7rocprim17ROCPRIM_400000_NS6detail17trampoline_kernelINS0_14default_configENS1_32segmented_reduce_config_selectorIfEEZNS1_21segmented_reduce_implIS3_PKfPfPKlfN6hipcub16HIPCUB_304000_NS6detail27convert_result_type_wrapperIS8_S9_N2at6native12_GLOBAL__N_110CustomProdEEEEE10hipError_tPvRmT0_T1_jT2_SQ_T4_T3_P12ihipStream_tbEUlT_E_NS1_11comp_targetILNS1_3genE3ELNS1_11target_archE908ELNS1_3gpuE7ELNS1_3repE0EEENS1_30default_config_static_selectorELNS0_4arch9wavefront6targetE0EEEvSP_.kd
    .uniform_work_group_size: 1
    .uses_dynamic_stack: false
    .vgpr_count:     0
    .vgpr_spill_count: 0
    .wavefront_size: 32
  - .args:
      - .offset:         0
        .size:           48
        .value_kind:     by_value
    .group_segment_fixed_size: 0
    .kernarg_segment_align: 8
    .kernarg_segment_size: 48
    .language:       OpenCL C
    .language_version:
      - 2
      - 0
    .max_flat_workgroup_size: 256
    .name:           _ZN7rocprim17ROCPRIM_400000_NS6detail17trampoline_kernelINS0_14default_configENS1_32segmented_reduce_config_selectorIfEEZNS1_21segmented_reduce_implIS3_PKfPfPKlfN6hipcub16HIPCUB_304000_NS6detail27convert_result_type_wrapperIS8_S9_N2at6native12_GLOBAL__N_110CustomProdEEEEE10hipError_tPvRmT0_T1_jT2_SQ_T4_T3_P12ihipStream_tbEUlT_E_NS1_11comp_targetILNS1_3genE2ELNS1_11target_archE906ELNS1_3gpuE6ELNS1_3repE0EEENS1_30default_config_static_selectorELNS0_4arch9wavefront6targetE0EEEvSP_
    .private_segment_fixed_size: 0
    .sgpr_count:     0
    .sgpr_spill_count: 0
    .symbol:         _ZN7rocprim17ROCPRIM_400000_NS6detail17trampoline_kernelINS0_14default_configENS1_32segmented_reduce_config_selectorIfEEZNS1_21segmented_reduce_implIS3_PKfPfPKlfN6hipcub16HIPCUB_304000_NS6detail27convert_result_type_wrapperIS8_S9_N2at6native12_GLOBAL__N_110CustomProdEEEEE10hipError_tPvRmT0_T1_jT2_SQ_T4_T3_P12ihipStream_tbEUlT_E_NS1_11comp_targetILNS1_3genE2ELNS1_11target_archE906ELNS1_3gpuE6ELNS1_3repE0EEENS1_30default_config_static_selectorELNS0_4arch9wavefront6targetE0EEEvSP_.kd
    .uniform_work_group_size: 1
    .uses_dynamic_stack: false
    .vgpr_count:     0
    .vgpr_spill_count: 0
    .wavefront_size: 32
  - .args:
      - .offset:         0
        .size:           48
        .value_kind:     by_value
    .group_segment_fixed_size: 0
    .kernarg_segment_align: 8
    .kernarg_segment_size: 48
    .language:       OpenCL C
    .language_version:
      - 2
      - 0
    .max_flat_workgroup_size: 256
    .name:           _ZN7rocprim17ROCPRIM_400000_NS6detail17trampoline_kernelINS0_14default_configENS1_32segmented_reduce_config_selectorIfEEZNS1_21segmented_reduce_implIS3_PKfPfPKlfN6hipcub16HIPCUB_304000_NS6detail27convert_result_type_wrapperIS8_S9_N2at6native12_GLOBAL__N_110CustomProdEEEEE10hipError_tPvRmT0_T1_jT2_SQ_T4_T3_P12ihipStream_tbEUlT_E_NS1_11comp_targetILNS1_3genE9ELNS1_11target_archE1100ELNS1_3gpuE3ELNS1_3repE0EEENS1_30default_config_static_selectorELNS0_4arch9wavefront6targetE0EEEvSP_
    .private_segment_fixed_size: 0
    .sgpr_count:     0
    .sgpr_spill_count: 0
    .symbol:         _ZN7rocprim17ROCPRIM_400000_NS6detail17trampoline_kernelINS0_14default_configENS1_32segmented_reduce_config_selectorIfEEZNS1_21segmented_reduce_implIS3_PKfPfPKlfN6hipcub16HIPCUB_304000_NS6detail27convert_result_type_wrapperIS8_S9_N2at6native12_GLOBAL__N_110CustomProdEEEEE10hipError_tPvRmT0_T1_jT2_SQ_T4_T3_P12ihipStream_tbEUlT_E_NS1_11comp_targetILNS1_3genE9ELNS1_11target_archE1100ELNS1_3gpuE3ELNS1_3repE0EEENS1_30default_config_static_selectorELNS0_4arch9wavefront6targetE0EEEvSP_.kd
    .uniform_work_group_size: 1
    .uses_dynamic_stack: false
    .vgpr_count:     0
    .vgpr_spill_count: 0
    .wavefront_size: 32
  - .args:
      - .offset:         0
        .size:           48
        .value_kind:     by_value
    .group_segment_fixed_size: 0
    .kernarg_segment_align: 8
    .kernarg_segment_size: 48
    .language:       OpenCL C
    .language_version:
      - 2
      - 0
    .max_flat_workgroup_size: 256
    .name:           _ZN7rocprim17ROCPRIM_400000_NS6detail17trampoline_kernelINS0_14default_configENS1_32segmented_reduce_config_selectorIfEEZNS1_21segmented_reduce_implIS3_PKfPfPKlfN6hipcub16HIPCUB_304000_NS6detail27convert_result_type_wrapperIS8_S9_N2at6native12_GLOBAL__N_110CustomProdEEEEE10hipError_tPvRmT0_T1_jT2_SQ_T4_T3_P12ihipStream_tbEUlT_E_NS1_11comp_targetILNS1_3genE8ELNS1_11target_archE1030ELNS1_3gpuE2ELNS1_3repE0EEENS1_30default_config_static_selectorELNS0_4arch9wavefront6targetE0EEEvSP_
    .private_segment_fixed_size: 0
    .sgpr_count:     0
    .sgpr_spill_count: 0
    .symbol:         _ZN7rocprim17ROCPRIM_400000_NS6detail17trampoline_kernelINS0_14default_configENS1_32segmented_reduce_config_selectorIfEEZNS1_21segmented_reduce_implIS3_PKfPfPKlfN6hipcub16HIPCUB_304000_NS6detail27convert_result_type_wrapperIS8_S9_N2at6native12_GLOBAL__N_110CustomProdEEEEE10hipError_tPvRmT0_T1_jT2_SQ_T4_T3_P12ihipStream_tbEUlT_E_NS1_11comp_targetILNS1_3genE8ELNS1_11target_archE1030ELNS1_3gpuE2ELNS1_3repE0EEENS1_30default_config_static_selectorELNS0_4arch9wavefront6targetE0EEEvSP_.kd
    .uniform_work_group_size: 1
    .uses_dynamic_stack: false
    .vgpr_count:     0
    .vgpr_spill_count: 0
    .wavefront_size: 32
  - .args:
      - .offset:         0
        .size:           4
        .value_kind:     by_value
      - .address_space:  global
        .offset:         8
        .size:           8
        .value_kind:     global_buffer
      - .address_space:  global
        .offset:         16
        .size:           8
        .value_kind:     global_buffer
      - .address_space:  global
        .offset:         24
        .size:           8
        .value_kind:     global_buffer
      - .address_space:  global
        .offset:         32
        .size:           8
        .value_kind:     global_buffer
      - .offset:         40
        .size:           8
        .value_kind:     by_value
      - .offset:         48
        .size:           8
        .value_kind:     by_value
      - .offset:         56
        .size:           1
        .value_kind:     by_value
      - .offset:         58
        .size:           2
        .value_kind:     by_value
      - .offset:         64
        .size:           8
        .value_kind:     by_value
      - .offset:         72
        .size:           8
        .value_kind:     by_value
      - .offset:         80
        .size:           8
        .value_kind:     by_value
      - .offset:         88
        .size:           8
        .value_kind:     by_value
      - .offset:         96
        .size:           8
        .value_kind:     by_value
      - .offset:         104
        .size:           8
        .value_kind:     by_value
      - .offset:         112
        .size:           8
        .value_kind:     by_value
      - .offset:         120
        .size:           4
        .value_kind:     hidden_block_count_x
      - .offset:         124
        .size:           4
        .value_kind:     hidden_block_count_y
      - .offset:         128
        .size:           4
        .value_kind:     hidden_block_count_z
      - .offset:         132
        .size:           2
        .value_kind:     hidden_group_size_x
      - .offset:         134
        .size:           2
        .value_kind:     hidden_group_size_y
      - .offset:         136
        .size:           2
        .value_kind:     hidden_group_size_z
      - .offset:         138
        .size:           2
        .value_kind:     hidden_remainder_x
      - .offset:         140
        .size:           2
        .value_kind:     hidden_remainder_y
      - .offset:         142
        .size:           2
        .value_kind:     hidden_remainder_z
      - .offset:         160
        .size:           8
        .value_kind:     hidden_global_offset_x
      - .offset:         168
        .size:           8
        .value_kind:     hidden_global_offset_y
      - .offset:         176
        .size:           8
        .value_kind:     hidden_global_offset_z
      - .offset:         184
        .size:           2
        .value_kind:     hidden_grid_dims
    .group_segment_fixed_size: 0
    .kernarg_segment_align: 8
    .kernarg_segment_size: 376
    .language:       OpenCL C
    .language_version:
      - 2
      - 0
    .max_flat_workgroup_size: 1024
    .name:           _ZN2at6native12_GLOBAL__N_129segment_reduce_forward_kernelIN3c104HalfElEEvNS0_13ReductionTypeEPT_PKS6_PKT0_SC_llbS6_lllllll
    .private_segment_fixed_size: 0
    .sgpr_count:     46
    .sgpr_spill_count: 0
    .symbol:         _ZN2at6native12_GLOBAL__N_129segment_reduce_forward_kernelIN3c104HalfElEEvNS0_13ReductionTypeEPT_PKS6_PKT0_SC_llbS6_lllllll.kd
    .uniform_work_group_size: 1
    .uses_dynamic_stack: false
    .vgpr_count:     20
    .vgpr_spill_count: 0
    .wavefront_size: 32
  - .args:
      - .offset:         0
        .size:           48
        .value_kind:     by_value
    .group_segment_fixed_size: 16
    .kernarg_segment_align: 8
    .kernarg_segment_size: 48
    .language:       OpenCL C
    .language_version:
      - 2
      - 0
    .max_flat_workgroup_size: 256
    .name:           _ZN7rocprim17ROCPRIM_400000_NS6detail17trampoline_kernelINS0_14default_configENS1_32segmented_reduce_config_selectorIN3c104HalfEEEZNS1_21segmented_reduce_implIS3_PKS6_PS6_PKlS6_N6hipcub16HIPCUB_304000_NS6detail27convert_result_type_wrapperISA_SB_N2at6native12_GLOBAL__N_19CustomMaxEEEEE10hipError_tPvRmT0_T1_jT2_SS_T4_T3_P12ihipStream_tbEUlT_E_NS1_11comp_targetILNS1_3genE0ELNS1_11target_archE4294967295ELNS1_3gpuE0ELNS1_3repE0EEENS1_30default_config_static_selectorELNS0_4arch9wavefront6targetE0EEEvSR_
    .private_segment_fixed_size: 0
    .sgpr_count:     34
    .sgpr_spill_count: 0
    .symbol:         _ZN7rocprim17ROCPRIM_400000_NS6detail17trampoline_kernelINS0_14default_configENS1_32segmented_reduce_config_selectorIN3c104HalfEEEZNS1_21segmented_reduce_implIS3_PKS6_PS6_PKlS6_N6hipcub16HIPCUB_304000_NS6detail27convert_result_type_wrapperISA_SB_N2at6native12_GLOBAL__N_19CustomMaxEEEEE10hipError_tPvRmT0_T1_jT2_SS_T4_T3_P12ihipStream_tbEUlT_E_NS1_11comp_targetILNS1_3genE0ELNS1_11target_archE4294967295ELNS1_3gpuE0ELNS1_3repE0EEENS1_30default_config_static_selectorELNS0_4arch9wavefront6targetE0EEEvSR_.kd
    .uniform_work_group_size: 1
    .uses_dynamic_stack: false
    .vgpr_count:     23
    .vgpr_spill_count: 0
    .wavefront_size: 32
  - .args:
      - .offset:         0
        .size:           48
        .value_kind:     by_value
    .group_segment_fixed_size: 0
    .kernarg_segment_align: 8
    .kernarg_segment_size: 48
    .language:       OpenCL C
    .language_version:
      - 2
      - 0
    .max_flat_workgroup_size: 256
    .name:           _ZN7rocprim17ROCPRIM_400000_NS6detail17trampoline_kernelINS0_14default_configENS1_32segmented_reduce_config_selectorIN3c104HalfEEEZNS1_21segmented_reduce_implIS3_PKS6_PS6_PKlS6_N6hipcub16HIPCUB_304000_NS6detail27convert_result_type_wrapperISA_SB_N2at6native12_GLOBAL__N_19CustomMaxEEEEE10hipError_tPvRmT0_T1_jT2_SS_T4_T3_P12ihipStream_tbEUlT_E_NS1_11comp_targetILNS1_3genE5ELNS1_11target_archE942ELNS1_3gpuE9ELNS1_3repE0EEENS1_30default_config_static_selectorELNS0_4arch9wavefront6targetE0EEEvSR_
    .private_segment_fixed_size: 0
    .sgpr_count:     0
    .sgpr_spill_count: 0
    .symbol:         _ZN7rocprim17ROCPRIM_400000_NS6detail17trampoline_kernelINS0_14default_configENS1_32segmented_reduce_config_selectorIN3c104HalfEEEZNS1_21segmented_reduce_implIS3_PKS6_PS6_PKlS6_N6hipcub16HIPCUB_304000_NS6detail27convert_result_type_wrapperISA_SB_N2at6native12_GLOBAL__N_19CustomMaxEEEEE10hipError_tPvRmT0_T1_jT2_SS_T4_T3_P12ihipStream_tbEUlT_E_NS1_11comp_targetILNS1_3genE5ELNS1_11target_archE942ELNS1_3gpuE9ELNS1_3repE0EEENS1_30default_config_static_selectorELNS0_4arch9wavefront6targetE0EEEvSR_.kd
    .uniform_work_group_size: 1
    .uses_dynamic_stack: false
    .vgpr_count:     0
    .vgpr_spill_count: 0
    .wavefront_size: 32
  - .args:
      - .offset:         0
        .size:           48
        .value_kind:     by_value
    .group_segment_fixed_size: 0
    .kernarg_segment_align: 8
    .kernarg_segment_size: 48
    .language:       OpenCL C
    .language_version:
      - 2
      - 0
    .max_flat_workgroup_size: 256
    .name:           _ZN7rocprim17ROCPRIM_400000_NS6detail17trampoline_kernelINS0_14default_configENS1_32segmented_reduce_config_selectorIN3c104HalfEEEZNS1_21segmented_reduce_implIS3_PKS6_PS6_PKlS6_N6hipcub16HIPCUB_304000_NS6detail27convert_result_type_wrapperISA_SB_N2at6native12_GLOBAL__N_19CustomMaxEEEEE10hipError_tPvRmT0_T1_jT2_SS_T4_T3_P12ihipStream_tbEUlT_E_NS1_11comp_targetILNS1_3genE10ELNS1_11target_archE1201ELNS1_3gpuE5ELNS1_3repE0EEENS1_30default_config_static_selectorELNS0_4arch9wavefront6targetE0EEEvSR_
    .private_segment_fixed_size: 0
    .sgpr_count:     0
    .sgpr_spill_count: 0
    .symbol:         _ZN7rocprim17ROCPRIM_400000_NS6detail17trampoline_kernelINS0_14default_configENS1_32segmented_reduce_config_selectorIN3c104HalfEEEZNS1_21segmented_reduce_implIS3_PKS6_PS6_PKlS6_N6hipcub16HIPCUB_304000_NS6detail27convert_result_type_wrapperISA_SB_N2at6native12_GLOBAL__N_19CustomMaxEEEEE10hipError_tPvRmT0_T1_jT2_SS_T4_T3_P12ihipStream_tbEUlT_E_NS1_11comp_targetILNS1_3genE10ELNS1_11target_archE1201ELNS1_3gpuE5ELNS1_3repE0EEENS1_30default_config_static_selectorELNS0_4arch9wavefront6targetE0EEEvSR_.kd
    .uniform_work_group_size: 1
    .uses_dynamic_stack: false
    .vgpr_count:     0
    .vgpr_spill_count: 0
    .wavefront_size: 32
  - .args:
      - .offset:         0
        .size:           48
        .value_kind:     by_value
    .group_segment_fixed_size: 0
    .kernarg_segment_align: 8
    .kernarg_segment_size: 48
    .language:       OpenCL C
    .language_version:
      - 2
      - 0
    .max_flat_workgroup_size: 256
    .name:           _ZN7rocprim17ROCPRIM_400000_NS6detail17trampoline_kernelINS0_14default_configENS1_32segmented_reduce_config_selectorIN3c104HalfEEEZNS1_21segmented_reduce_implIS3_PKS6_PS6_PKlS6_N6hipcub16HIPCUB_304000_NS6detail27convert_result_type_wrapperISA_SB_N2at6native12_GLOBAL__N_19CustomMaxEEEEE10hipError_tPvRmT0_T1_jT2_SS_T4_T3_P12ihipStream_tbEUlT_E_NS1_11comp_targetILNS1_3genE4ELNS1_11target_archE910ELNS1_3gpuE8ELNS1_3repE0EEENS1_30default_config_static_selectorELNS0_4arch9wavefront6targetE0EEEvSR_
    .private_segment_fixed_size: 0
    .sgpr_count:     0
    .sgpr_spill_count: 0
    .symbol:         _ZN7rocprim17ROCPRIM_400000_NS6detail17trampoline_kernelINS0_14default_configENS1_32segmented_reduce_config_selectorIN3c104HalfEEEZNS1_21segmented_reduce_implIS3_PKS6_PS6_PKlS6_N6hipcub16HIPCUB_304000_NS6detail27convert_result_type_wrapperISA_SB_N2at6native12_GLOBAL__N_19CustomMaxEEEEE10hipError_tPvRmT0_T1_jT2_SS_T4_T3_P12ihipStream_tbEUlT_E_NS1_11comp_targetILNS1_3genE4ELNS1_11target_archE910ELNS1_3gpuE8ELNS1_3repE0EEENS1_30default_config_static_selectorELNS0_4arch9wavefront6targetE0EEEvSR_.kd
    .uniform_work_group_size: 1
    .uses_dynamic_stack: false
    .vgpr_count:     0
    .vgpr_spill_count: 0
    .wavefront_size: 32
  - .args:
      - .offset:         0
        .size:           48
        .value_kind:     by_value
    .group_segment_fixed_size: 0
    .kernarg_segment_align: 8
    .kernarg_segment_size: 48
    .language:       OpenCL C
    .language_version:
      - 2
      - 0
    .max_flat_workgroup_size: 256
    .name:           _ZN7rocprim17ROCPRIM_400000_NS6detail17trampoline_kernelINS0_14default_configENS1_32segmented_reduce_config_selectorIN3c104HalfEEEZNS1_21segmented_reduce_implIS3_PKS6_PS6_PKlS6_N6hipcub16HIPCUB_304000_NS6detail27convert_result_type_wrapperISA_SB_N2at6native12_GLOBAL__N_19CustomMaxEEEEE10hipError_tPvRmT0_T1_jT2_SS_T4_T3_P12ihipStream_tbEUlT_E_NS1_11comp_targetILNS1_3genE3ELNS1_11target_archE908ELNS1_3gpuE7ELNS1_3repE0EEENS1_30default_config_static_selectorELNS0_4arch9wavefront6targetE0EEEvSR_
    .private_segment_fixed_size: 0
    .sgpr_count:     0
    .sgpr_spill_count: 0
    .symbol:         _ZN7rocprim17ROCPRIM_400000_NS6detail17trampoline_kernelINS0_14default_configENS1_32segmented_reduce_config_selectorIN3c104HalfEEEZNS1_21segmented_reduce_implIS3_PKS6_PS6_PKlS6_N6hipcub16HIPCUB_304000_NS6detail27convert_result_type_wrapperISA_SB_N2at6native12_GLOBAL__N_19CustomMaxEEEEE10hipError_tPvRmT0_T1_jT2_SS_T4_T3_P12ihipStream_tbEUlT_E_NS1_11comp_targetILNS1_3genE3ELNS1_11target_archE908ELNS1_3gpuE7ELNS1_3repE0EEENS1_30default_config_static_selectorELNS0_4arch9wavefront6targetE0EEEvSR_.kd
    .uniform_work_group_size: 1
    .uses_dynamic_stack: false
    .vgpr_count:     0
    .vgpr_spill_count: 0
    .wavefront_size: 32
  - .args:
      - .offset:         0
        .size:           48
        .value_kind:     by_value
    .group_segment_fixed_size: 0
    .kernarg_segment_align: 8
    .kernarg_segment_size: 48
    .language:       OpenCL C
    .language_version:
      - 2
      - 0
    .max_flat_workgroup_size: 256
    .name:           _ZN7rocprim17ROCPRIM_400000_NS6detail17trampoline_kernelINS0_14default_configENS1_32segmented_reduce_config_selectorIN3c104HalfEEEZNS1_21segmented_reduce_implIS3_PKS6_PS6_PKlS6_N6hipcub16HIPCUB_304000_NS6detail27convert_result_type_wrapperISA_SB_N2at6native12_GLOBAL__N_19CustomMaxEEEEE10hipError_tPvRmT0_T1_jT2_SS_T4_T3_P12ihipStream_tbEUlT_E_NS1_11comp_targetILNS1_3genE2ELNS1_11target_archE906ELNS1_3gpuE6ELNS1_3repE0EEENS1_30default_config_static_selectorELNS0_4arch9wavefront6targetE0EEEvSR_
    .private_segment_fixed_size: 0
    .sgpr_count:     0
    .sgpr_spill_count: 0
    .symbol:         _ZN7rocprim17ROCPRIM_400000_NS6detail17trampoline_kernelINS0_14default_configENS1_32segmented_reduce_config_selectorIN3c104HalfEEEZNS1_21segmented_reduce_implIS3_PKS6_PS6_PKlS6_N6hipcub16HIPCUB_304000_NS6detail27convert_result_type_wrapperISA_SB_N2at6native12_GLOBAL__N_19CustomMaxEEEEE10hipError_tPvRmT0_T1_jT2_SS_T4_T3_P12ihipStream_tbEUlT_E_NS1_11comp_targetILNS1_3genE2ELNS1_11target_archE906ELNS1_3gpuE6ELNS1_3repE0EEENS1_30default_config_static_selectorELNS0_4arch9wavefront6targetE0EEEvSR_.kd
    .uniform_work_group_size: 1
    .uses_dynamic_stack: false
    .vgpr_count:     0
    .vgpr_spill_count: 0
    .wavefront_size: 32
  - .args:
      - .offset:         0
        .size:           48
        .value_kind:     by_value
    .group_segment_fixed_size: 0
    .kernarg_segment_align: 8
    .kernarg_segment_size: 48
    .language:       OpenCL C
    .language_version:
      - 2
      - 0
    .max_flat_workgroup_size: 256
    .name:           _ZN7rocprim17ROCPRIM_400000_NS6detail17trampoline_kernelINS0_14default_configENS1_32segmented_reduce_config_selectorIN3c104HalfEEEZNS1_21segmented_reduce_implIS3_PKS6_PS6_PKlS6_N6hipcub16HIPCUB_304000_NS6detail27convert_result_type_wrapperISA_SB_N2at6native12_GLOBAL__N_19CustomMaxEEEEE10hipError_tPvRmT0_T1_jT2_SS_T4_T3_P12ihipStream_tbEUlT_E_NS1_11comp_targetILNS1_3genE9ELNS1_11target_archE1100ELNS1_3gpuE3ELNS1_3repE0EEENS1_30default_config_static_selectorELNS0_4arch9wavefront6targetE0EEEvSR_
    .private_segment_fixed_size: 0
    .sgpr_count:     0
    .sgpr_spill_count: 0
    .symbol:         _ZN7rocprim17ROCPRIM_400000_NS6detail17trampoline_kernelINS0_14default_configENS1_32segmented_reduce_config_selectorIN3c104HalfEEEZNS1_21segmented_reduce_implIS3_PKS6_PS6_PKlS6_N6hipcub16HIPCUB_304000_NS6detail27convert_result_type_wrapperISA_SB_N2at6native12_GLOBAL__N_19CustomMaxEEEEE10hipError_tPvRmT0_T1_jT2_SS_T4_T3_P12ihipStream_tbEUlT_E_NS1_11comp_targetILNS1_3genE9ELNS1_11target_archE1100ELNS1_3gpuE3ELNS1_3repE0EEENS1_30default_config_static_selectorELNS0_4arch9wavefront6targetE0EEEvSR_.kd
    .uniform_work_group_size: 1
    .uses_dynamic_stack: false
    .vgpr_count:     0
    .vgpr_spill_count: 0
    .wavefront_size: 32
  - .args:
      - .offset:         0
        .size:           48
        .value_kind:     by_value
    .group_segment_fixed_size: 0
    .kernarg_segment_align: 8
    .kernarg_segment_size: 48
    .language:       OpenCL C
    .language_version:
      - 2
      - 0
    .max_flat_workgroup_size: 256
    .name:           _ZN7rocprim17ROCPRIM_400000_NS6detail17trampoline_kernelINS0_14default_configENS1_32segmented_reduce_config_selectorIN3c104HalfEEEZNS1_21segmented_reduce_implIS3_PKS6_PS6_PKlS6_N6hipcub16HIPCUB_304000_NS6detail27convert_result_type_wrapperISA_SB_N2at6native12_GLOBAL__N_19CustomMaxEEEEE10hipError_tPvRmT0_T1_jT2_SS_T4_T3_P12ihipStream_tbEUlT_E_NS1_11comp_targetILNS1_3genE8ELNS1_11target_archE1030ELNS1_3gpuE2ELNS1_3repE0EEENS1_30default_config_static_selectorELNS0_4arch9wavefront6targetE0EEEvSR_
    .private_segment_fixed_size: 0
    .sgpr_count:     0
    .sgpr_spill_count: 0
    .symbol:         _ZN7rocprim17ROCPRIM_400000_NS6detail17trampoline_kernelINS0_14default_configENS1_32segmented_reduce_config_selectorIN3c104HalfEEEZNS1_21segmented_reduce_implIS3_PKS6_PS6_PKlS6_N6hipcub16HIPCUB_304000_NS6detail27convert_result_type_wrapperISA_SB_N2at6native12_GLOBAL__N_19CustomMaxEEEEE10hipError_tPvRmT0_T1_jT2_SS_T4_T3_P12ihipStream_tbEUlT_E_NS1_11comp_targetILNS1_3genE8ELNS1_11target_archE1030ELNS1_3gpuE2ELNS1_3repE0EEENS1_30default_config_static_selectorELNS0_4arch9wavefront6targetE0EEEvSR_.kd
    .uniform_work_group_size: 1
    .uses_dynamic_stack: false
    .vgpr_count:     0
    .vgpr_spill_count: 0
    .wavefront_size: 32
  - .args:
      - .offset:         0
        .size:           48
        .value_kind:     by_value
    .group_segment_fixed_size: 16
    .kernarg_segment_align: 8
    .kernarg_segment_size: 48
    .language:       OpenCL C
    .language_version:
      - 2
      - 0
    .max_flat_workgroup_size: 256
    .name:           _ZN7rocprim17ROCPRIM_400000_NS6detail17trampoline_kernelINS0_14default_configENS1_32segmented_reduce_config_selectorIN3c104HalfEEEZNS1_21segmented_reduce_implIS3_PKS6_PS6_PKlS6_N6hipcub16HIPCUB_304000_NS6detail27convert_result_type_wrapperISA_SB_N2at6native12_GLOBAL__N_19CustomSumEEEEE10hipError_tPvRmT0_T1_jT2_SS_T4_T3_P12ihipStream_tbEUlT_E_NS1_11comp_targetILNS1_3genE0ELNS1_11target_archE4294967295ELNS1_3gpuE0ELNS1_3repE0EEENS1_30default_config_static_selectorELNS0_4arch9wavefront6targetE0EEEvSR_
    .private_segment_fixed_size: 0
    .sgpr_count:     30
    .sgpr_spill_count: 0
    .symbol:         _ZN7rocprim17ROCPRIM_400000_NS6detail17trampoline_kernelINS0_14default_configENS1_32segmented_reduce_config_selectorIN3c104HalfEEEZNS1_21segmented_reduce_implIS3_PKS6_PS6_PKlS6_N6hipcub16HIPCUB_304000_NS6detail27convert_result_type_wrapperISA_SB_N2at6native12_GLOBAL__N_19CustomSumEEEEE10hipError_tPvRmT0_T1_jT2_SS_T4_T3_P12ihipStream_tbEUlT_E_NS1_11comp_targetILNS1_3genE0ELNS1_11target_archE4294967295ELNS1_3gpuE0ELNS1_3repE0EEENS1_30default_config_static_selectorELNS0_4arch9wavefront6targetE0EEEvSR_.kd
    .uniform_work_group_size: 1
    .uses_dynamic_stack: false
    .vgpr_count:     21
    .vgpr_spill_count: 0
    .wavefront_size: 32
  - .args:
      - .offset:         0
        .size:           48
        .value_kind:     by_value
    .group_segment_fixed_size: 0
    .kernarg_segment_align: 8
    .kernarg_segment_size: 48
    .language:       OpenCL C
    .language_version:
      - 2
      - 0
    .max_flat_workgroup_size: 256
    .name:           _ZN7rocprim17ROCPRIM_400000_NS6detail17trampoline_kernelINS0_14default_configENS1_32segmented_reduce_config_selectorIN3c104HalfEEEZNS1_21segmented_reduce_implIS3_PKS6_PS6_PKlS6_N6hipcub16HIPCUB_304000_NS6detail27convert_result_type_wrapperISA_SB_N2at6native12_GLOBAL__N_19CustomSumEEEEE10hipError_tPvRmT0_T1_jT2_SS_T4_T3_P12ihipStream_tbEUlT_E_NS1_11comp_targetILNS1_3genE5ELNS1_11target_archE942ELNS1_3gpuE9ELNS1_3repE0EEENS1_30default_config_static_selectorELNS0_4arch9wavefront6targetE0EEEvSR_
    .private_segment_fixed_size: 0
    .sgpr_count:     0
    .sgpr_spill_count: 0
    .symbol:         _ZN7rocprim17ROCPRIM_400000_NS6detail17trampoline_kernelINS0_14default_configENS1_32segmented_reduce_config_selectorIN3c104HalfEEEZNS1_21segmented_reduce_implIS3_PKS6_PS6_PKlS6_N6hipcub16HIPCUB_304000_NS6detail27convert_result_type_wrapperISA_SB_N2at6native12_GLOBAL__N_19CustomSumEEEEE10hipError_tPvRmT0_T1_jT2_SS_T4_T3_P12ihipStream_tbEUlT_E_NS1_11comp_targetILNS1_3genE5ELNS1_11target_archE942ELNS1_3gpuE9ELNS1_3repE0EEENS1_30default_config_static_selectorELNS0_4arch9wavefront6targetE0EEEvSR_.kd
    .uniform_work_group_size: 1
    .uses_dynamic_stack: false
    .vgpr_count:     0
    .vgpr_spill_count: 0
    .wavefront_size: 32
  - .args:
      - .offset:         0
        .size:           48
        .value_kind:     by_value
    .group_segment_fixed_size: 0
    .kernarg_segment_align: 8
    .kernarg_segment_size: 48
    .language:       OpenCL C
    .language_version:
      - 2
      - 0
    .max_flat_workgroup_size: 256
    .name:           _ZN7rocprim17ROCPRIM_400000_NS6detail17trampoline_kernelINS0_14default_configENS1_32segmented_reduce_config_selectorIN3c104HalfEEEZNS1_21segmented_reduce_implIS3_PKS6_PS6_PKlS6_N6hipcub16HIPCUB_304000_NS6detail27convert_result_type_wrapperISA_SB_N2at6native12_GLOBAL__N_19CustomSumEEEEE10hipError_tPvRmT0_T1_jT2_SS_T4_T3_P12ihipStream_tbEUlT_E_NS1_11comp_targetILNS1_3genE10ELNS1_11target_archE1201ELNS1_3gpuE5ELNS1_3repE0EEENS1_30default_config_static_selectorELNS0_4arch9wavefront6targetE0EEEvSR_
    .private_segment_fixed_size: 0
    .sgpr_count:     0
    .sgpr_spill_count: 0
    .symbol:         _ZN7rocprim17ROCPRIM_400000_NS6detail17trampoline_kernelINS0_14default_configENS1_32segmented_reduce_config_selectorIN3c104HalfEEEZNS1_21segmented_reduce_implIS3_PKS6_PS6_PKlS6_N6hipcub16HIPCUB_304000_NS6detail27convert_result_type_wrapperISA_SB_N2at6native12_GLOBAL__N_19CustomSumEEEEE10hipError_tPvRmT0_T1_jT2_SS_T4_T3_P12ihipStream_tbEUlT_E_NS1_11comp_targetILNS1_3genE10ELNS1_11target_archE1201ELNS1_3gpuE5ELNS1_3repE0EEENS1_30default_config_static_selectorELNS0_4arch9wavefront6targetE0EEEvSR_.kd
    .uniform_work_group_size: 1
    .uses_dynamic_stack: false
    .vgpr_count:     0
    .vgpr_spill_count: 0
    .wavefront_size: 32
  - .args:
      - .offset:         0
        .size:           48
        .value_kind:     by_value
    .group_segment_fixed_size: 0
    .kernarg_segment_align: 8
    .kernarg_segment_size: 48
    .language:       OpenCL C
    .language_version:
      - 2
      - 0
    .max_flat_workgroup_size: 256
    .name:           _ZN7rocprim17ROCPRIM_400000_NS6detail17trampoline_kernelINS0_14default_configENS1_32segmented_reduce_config_selectorIN3c104HalfEEEZNS1_21segmented_reduce_implIS3_PKS6_PS6_PKlS6_N6hipcub16HIPCUB_304000_NS6detail27convert_result_type_wrapperISA_SB_N2at6native12_GLOBAL__N_19CustomSumEEEEE10hipError_tPvRmT0_T1_jT2_SS_T4_T3_P12ihipStream_tbEUlT_E_NS1_11comp_targetILNS1_3genE4ELNS1_11target_archE910ELNS1_3gpuE8ELNS1_3repE0EEENS1_30default_config_static_selectorELNS0_4arch9wavefront6targetE0EEEvSR_
    .private_segment_fixed_size: 0
    .sgpr_count:     0
    .sgpr_spill_count: 0
    .symbol:         _ZN7rocprim17ROCPRIM_400000_NS6detail17trampoline_kernelINS0_14default_configENS1_32segmented_reduce_config_selectorIN3c104HalfEEEZNS1_21segmented_reduce_implIS3_PKS6_PS6_PKlS6_N6hipcub16HIPCUB_304000_NS6detail27convert_result_type_wrapperISA_SB_N2at6native12_GLOBAL__N_19CustomSumEEEEE10hipError_tPvRmT0_T1_jT2_SS_T4_T3_P12ihipStream_tbEUlT_E_NS1_11comp_targetILNS1_3genE4ELNS1_11target_archE910ELNS1_3gpuE8ELNS1_3repE0EEENS1_30default_config_static_selectorELNS0_4arch9wavefront6targetE0EEEvSR_.kd
    .uniform_work_group_size: 1
    .uses_dynamic_stack: false
    .vgpr_count:     0
    .vgpr_spill_count: 0
    .wavefront_size: 32
  - .args:
      - .offset:         0
        .size:           48
        .value_kind:     by_value
    .group_segment_fixed_size: 0
    .kernarg_segment_align: 8
    .kernarg_segment_size: 48
    .language:       OpenCL C
    .language_version:
      - 2
      - 0
    .max_flat_workgroup_size: 256
    .name:           _ZN7rocprim17ROCPRIM_400000_NS6detail17trampoline_kernelINS0_14default_configENS1_32segmented_reduce_config_selectorIN3c104HalfEEEZNS1_21segmented_reduce_implIS3_PKS6_PS6_PKlS6_N6hipcub16HIPCUB_304000_NS6detail27convert_result_type_wrapperISA_SB_N2at6native12_GLOBAL__N_19CustomSumEEEEE10hipError_tPvRmT0_T1_jT2_SS_T4_T3_P12ihipStream_tbEUlT_E_NS1_11comp_targetILNS1_3genE3ELNS1_11target_archE908ELNS1_3gpuE7ELNS1_3repE0EEENS1_30default_config_static_selectorELNS0_4arch9wavefront6targetE0EEEvSR_
    .private_segment_fixed_size: 0
    .sgpr_count:     0
    .sgpr_spill_count: 0
    .symbol:         _ZN7rocprim17ROCPRIM_400000_NS6detail17trampoline_kernelINS0_14default_configENS1_32segmented_reduce_config_selectorIN3c104HalfEEEZNS1_21segmented_reduce_implIS3_PKS6_PS6_PKlS6_N6hipcub16HIPCUB_304000_NS6detail27convert_result_type_wrapperISA_SB_N2at6native12_GLOBAL__N_19CustomSumEEEEE10hipError_tPvRmT0_T1_jT2_SS_T4_T3_P12ihipStream_tbEUlT_E_NS1_11comp_targetILNS1_3genE3ELNS1_11target_archE908ELNS1_3gpuE7ELNS1_3repE0EEENS1_30default_config_static_selectorELNS0_4arch9wavefront6targetE0EEEvSR_.kd
    .uniform_work_group_size: 1
    .uses_dynamic_stack: false
    .vgpr_count:     0
    .vgpr_spill_count: 0
    .wavefront_size: 32
  - .args:
      - .offset:         0
        .size:           48
        .value_kind:     by_value
    .group_segment_fixed_size: 0
    .kernarg_segment_align: 8
    .kernarg_segment_size: 48
    .language:       OpenCL C
    .language_version:
      - 2
      - 0
    .max_flat_workgroup_size: 256
    .name:           _ZN7rocprim17ROCPRIM_400000_NS6detail17trampoline_kernelINS0_14default_configENS1_32segmented_reduce_config_selectorIN3c104HalfEEEZNS1_21segmented_reduce_implIS3_PKS6_PS6_PKlS6_N6hipcub16HIPCUB_304000_NS6detail27convert_result_type_wrapperISA_SB_N2at6native12_GLOBAL__N_19CustomSumEEEEE10hipError_tPvRmT0_T1_jT2_SS_T4_T3_P12ihipStream_tbEUlT_E_NS1_11comp_targetILNS1_3genE2ELNS1_11target_archE906ELNS1_3gpuE6ELNS1_3repE0EEENS1_30default_config_static_selectorELNS0_4arch9wavefront6targetE0EEEvSR_
    .private_segment_fixed_size: 0
    .sgpr_count:     0
    .sgpr_spill_count: 0
    .symbol:         _ZN7rocprim17ROCPRIM_400000_NS6detail17trampoline_kernelINS0_14default_configENS1_32segmented_reduce_config_selectorIN3c104HalfEEEZNS1_21segmented_reduce_implIS3_PKS6_PS6_PKlS6_N6hipcub16HIPCUB_304000_NS6detail27convert_result_type_wrapperISA_SB_N2at6native12_GLOBAL__N_19CustomSumEEEEE10hipError_tPvRmT0_T1_jT2_SS_T4_T3_P12ihipStream_tbEUlT_E_NS1_11comp_targetILNS1_3genE2ELNS1_11target_archE906ELNS1_3gpuE6ELNS1_3repE0EEENS1_30default_config_static_selectorELNS0_4arch9wavefront6targetE0EEEvSR_.kd
    .uniform_work_group_size: 1
    .uses_dynamic_stack: false
    .vgpr_count:     0
    .vgpr_spill_count: 0
    .wavefront_size: 32
  - .args:
      - .offset:         0
        .size:           48
        .value_kind:     by_value
    .group_segment_fixed_size: 0
    .kernarg_segment_align: 8
    .kernarg_segment_size: 48
    .language:       OpenCL C
    .language_version:
      - 2
      - 0
    .max_flat_workgroup_size: 256
    .name:           _ZN7rocprim17ROCPRIM_400000_NS6detail17trampoline_kernelINS0_14default_configENS1_32segmented_reduce_config_selectorIN3c104HalfEEEZNS1_21segmented_reduce_implIS3_PKS6_PS6_PKlS6_N6hipcub16HIPCUB_304000_NS6detail27convert_result_type_wrapperISA_SB_N2at6native12_GLOBAL__N_19CustomSumEEEEE10hipError_tPvRmT0_T1_jT2_SS_T4_T3_P12ihipStream_tbEUlT_E_NS1_11comp_targetILNS1_3genE9ELNS1_11target_archE1100ELNS1_3gpuE3ELNS1_3repE0EEENS1_30default_config_static_selectorELNS0_4arch9wavefront6targetE0EEEvSR_
    .private_segment_fixed_size: 0
    .sgpr_count:     0
    .sgpr_spill_count: 0
    .symbol:         _ZN7rocprim17ROCPRIM_400000_NS6detail17trampoline_kernelINS0_14default_configENS1_32segmented_reduce_config_selectorIN3c104HalfEEEZNS1_21segmented_reduce_implIS3_PKS6_PS6_PKlS6_N6hipcub16HIPCUB_304000_NS6detail27convert_result_type_wrapperISA_SB_N2at6native12_GLOBAL__N_19CustomSumEEEEE10hipError_tPvRmT0_T1_jT2_SS_T4_T3_P12ihipStream_tbEUlT_E_NS1_11comp_targetILNS1_3genE9ELNS1_11target_archE1100ELNS1_3gpuE3ELNS1_3repE0EEENS1_30default_config_static_selectorELNS0_4arch9wavefront6targetE0EEEvSR_.kd
    .uniform_work_group_size: 1
    .uses_dynamic_stack: false
    .vgpr_count:     0
    .vgpr_spill_count: 0
    .wavefront_size: 32
  - .args:
      - .offset:         0
        .size:           48
        .value_kind:     by_value
    .group_segment_fixed_size: 0
    .kernarg_segment_align: 8
    .kernarg_segment_size: 48
    .language:       OpenCL C
    .language_version:
      - 2
      - 0
    .max_flat_workgroup_size: 256
    .name:           _ZN7rocprim17ROCPRIM_400000_NS6detail17trampoline_kernelINS0_14default_configENS1_32segmented_reduce_config_selectorIN3c104HalfEEEZNS1_21segmented_reduce_implIS3_PKS6_PS6_PKlS6_N6hipcub16HIPCUB_304000_NS6detail27convert_result_type_wrapperISA_SB_N2at6native12_GLOBAL__N_19CustomSumEEEEE10hipError_tPvRmT0_T1_jT2_SS_T4_T3_P12ihipStream_tbEUlT_E_NS1_11comp_targetILNS1_3genE8ELNS1_11target_archE1030ELNS1_3gpuE2ELNS1_3repE0EEENS1_30default_config_static_selectorELNS0_4arch9wavefront6targetE0EEEvSR_
    .private_segment_fixed_size: 0
    .sgpr_count:     0
    .sgpr_spill_count: 0
    .symbol:         _ZN7rocprim17ROCPRIM_400000_NS6detail17trampoline_kernelINS0_14default_configENS1_32segmented_reduce_config_selectorIN3c104HalfEEEZNS1_21segmented_reduce_implIS3_PKS6_PS6_PKlS6_N6hipcub16HIPCUB_304000_NS6detail27convert_result_type_wrapperISA_SB_N2at6native12_GLOBAL__N_19CustomSumEEEEE10hipError_tPvRmT0_T1_jT2_SS_T4_T3_P12ihipStream_tbEUlT_E_NS1_11comp_targetILNS1_3genE8ELNS1_11target_archE1030ELNS1_3gpuE2ELNS1_3repE0EEENS1_30default_config_static_selectorELNS0_4arch9wavefront6targetE0EEEvSR_.kd
    .uniform_work_group_size: 1
    .uses_dynamic_stack: false
    .vgpr_count:     0
    .vgpr_spill_count: 0
    .wavefront_size: 32
  - .args:
      - .address_space:  global
        .offset:         0
        .size:           8
        .value_kind:     global_buffer
      - .address_space:  global
        .offset:         8
        .size:           8
        .value_kind:     global_buffer
      - .offset:         16
        .size:           8
        .value_kind:     by_value
      - .offset:         24
        .size:           1
        .value_kind:     by_value
      - .offset:         26
        .size:           2
        .value_kind:     by_value
      - .offset:         32
        .size:           4
        .value_kind:     hidden_block_count_x
      - .offset:         36
        .size:           4
        .value_kind:     hidden_block_count_y
      - .offset:         40
        .size:           4
        .value_kind:     hidden_block_count_z
      - .offset:         44
        .size:           2
        .value_kind:     hidden_group_size_x
      - .offset:         46
        .size:           2
        .value_kind:     hidden_group_size_y
      - .offset:         48
        .size:           2
        .value_kind:     hidden_group_size_z
      - .offset:         50
        .size:           2
        .value_kind:     hidden_remainder_x
      - .offset:         52
        .size:           2
        .value_kind:     hidden_remainder_y
      - .offset:         54
        .size:           2
        .value_kind:     hidden_remainder_z
      - .offset:         72
        .size:           8
        .value_kind:     hidden_global_offset_x
      - .offset:         80
        .size:           8
        .value_kind:     hidden_global_offset_y
      - .offset:         88
        .size:           8
        .value_kind:     hidden_global_offset_z
      - .offset:         96
        .size:           2
        .value_kind:     hidden_grid_dims
    .group_segment_fixed_size: 0
    .kernarg_segment_align: 8
    .kernarg_segment_size: 288
    .language:       OpenCL C
    .language_version:
      - 2
      - 0
    .max_flat_workgroup_size: 1024
    .name:           _ZN2at6native12_GLOBAL__N_119post_sum_div_kernelIN3c104HalfElEEvPT_PKT0_lbS5_
    .private_segment_fixed_size: 0
    .sgpr_count:     21
    .sgpr_spill_count: 0
    .symbol:         _ZN2at6native12_GLOBAL__N_119post_sum_div_kernelIN3c104HalfElEEvPT_PKT0_lbS5_.kd
    .uniform_work_group_size: 1
    .uses_dynamic_stack: false
    .vgpr_count:     12
    .vgpr_spill_count: 0
    .wavefront_size: 32
  - .args:
      - .offset:         0
        .size:           48
        .value_kind:     by_value
    .group_segment_fixed_size: 16
    .kernarg_segment_align: 8
    .kernarg_segment_size: 48
    .language:       OpenCL C
    .language_version:
      - 2
      - 0
    .max_flat_workgroup_size: 256
    .name:           _ZN7rocprim17ROCPRIM_400000_NS6detail17trampoline_kernelINS0_14default_configENS1_32segmented_reduce_config_selectorIN3c104HalfEEEZNS1_21segmented_reduce_implIS3_PKS6_PS6_PKlS6_N6hipcub16HIPCUB_304000_NS6detail27convert_result_type_wrapperISA_SB_N2at6native12_GLOBAL__N_19CustomMinEEEEE10hipError_tPvRmT0_T1_jT2_SS_T4_T3_P12ihipStream_tbEUlT_E_NS1_11comp_targetILNS1_3genE0ELNS1_11target_archE4294967295ELNS1_3gpuE0ELNS1_3repE0EEENS1_30default_config_static_selectorELNS0_4arch9wavefront6targetE0EEEvSR_
    .private_segment_fixed_size: 0
    .sgpr_count:     34
    .sgpr_spill_count: 0
    .symbol:         _ZN7rocprim17ROCPRIM_400000_NS6detail17trampoline_kernelINS0_14default_configENS1_32segmented_reduce_config_selectorIN3c104HalfEEEZNS1_21segmented_reduce_implIS3_PKS6_PS6_PKlS6_N6hipcub16HIPCUB_304000_NS6detail27convert_result_type_wrapperISA_SB_N2at6native12_GLOBAL__N_19CustomMinEEEEE10hipError_tPvRmT0_T1_jT2_SS_T4_T3_P12ihipStream_tbEUlT_E_NS1_11comp_targetILNS1_3genE0ELNS1_11target_archE4294967295ELNS1_3gpuE0ELNS1_3repE0EEENS1_30default_config_static_selectorELNS0_4arch9wavefront6targetE0EEEvSR_.kd
    .uniform_work_group_size: 1
    .uses_dynamic_stack: false
    .vgpr_count:     23
    .vgpr_spill_count: 0
    .wavefront_size: 32
  - .args:
      - .offset:         0
        .size:           48
        .value_kind:     by_value
    .group_segment_fixed_size: 0
    .kernarg_segment_align: 8
    .kernarg_segment_size: 48
    .language:       OpenCL C
    .language_version:
      - 2
      - 0
    .max_flat_workgroup_size: 256
    .name:           _ZN7rocprim17ROCPRIM_400000_NS6detail17trampoline_kernelINS0_14default_configENS1_32segmented_reduce_config_selectorIN3c104HalfEEEZNS1_21segmented_reduce_implIS3_PKS6_PS6_PKlS6_N6hipcub16HIPCUB_304000_NS6detail27convert_result_type_wrapperISA_SB_N2at6native12_GLOBAL__N_19CustomMinEEEEE10hipError_tPvRmT0_T1_jT2_SS_T4_T3_P12ihipStream_tbEUlT_E_NS1_11comp_targetILNS1_3genE5ELNS1_11target_archE942ELNS1_3gpuE9ELNS1_3repE0EEENS1_30default_config_static_selectorELNS0_4arch9wavefront6targetE0EEEvSR_
    .private_segment_fixed_size: 0
    .sgpr_count:     0
    .sgpr_spill_count: 0
    .symbol:         _ZN7rocprim17ROCPRIM_400000_NS6detail17trampoline_kernelINS0_14default_configENS1_32segmented_reduce_config_selectorIN3c104HalfEEEZNS1_21segmented_reduce_implIS3_PKS6_PS6_PKlS6_N6hipcub16HIPCUB_304000_NS6detail27convert_result_type_wrapperISA_SB_N2at6native12_GLOBAL__N_19CustomMinEEEEE10hipError_tPvRmT0_T1_jT2_SS_T4_T3_P12ihipStream_tbEUlT_E_NS1_11comp_targetILNS1_3genE5ELNS1_11target_archE942ELNS1_3gpuE9ELNS1_3repE0EEENS1_30default_config_static_selectorELNS0_4arch9wavefront6targetE0EEEvSR_.kd
    .uniform_work_group_size: 1
    .uses_dynamic_stack: false
    .vgpr_count:     0
    .vgpr_spill_count: 0
    .wavefront_size: 32
  - .args:
      - .offset:         0
        .size:           48
        .value_kind:     by_value
    .group_segment_fixed_size: 0
    .kernarg_segment_align: 8
    .kernarg_segment_size: 48
    .language:       OpenCL C
    .language_version:
      - 2
      - 0
    .max_flat_workgroup_size: 256
    .name:           _ZN7rocprim17ROCPRIM_400000_NS6detail17trampoline_kernelINS0_14default_configENS1_32segmented_reduce_config_selectorIN3c104HalfEEEZNS1_21segmented_reduce_implIS3_PKS6_PS6_PKlS6_N6hipcub16HIPCUB_304000_NS6detail27convert_result_type_wrapperISA_SB_N2at6native12_GLOBAL__N_19CustomMinEEEEE10hipError_tPvRmT0_T1_jT2_SS_T4_T3_P12ihipStream_tbEUlT_E_NS1_11comp_targetILNS1_3genE10ELNS1_11target_archE1201ELNS1_3gpuE5ELNS1_3repE0EEENS1_30default_config_static_selectorELNS0_4arch9wavefront6targetE0EEEvSR_
    .private_segment_fixed_size: 0
    .sgpr_count:     0
    .sgpr_spill_count: 0
    .symbol:         _ZN7rocprim17ROCPRIM_400000_NS6detail17trampoline_kernelINS0_14default_configENS1_32segmented_reduce_config_selectorIN3c104HalfEEEZNS1_21segmented_reduce_implIS3_PKS6_PS6_PKlS6_N6hipcub16HIPCUB_304000_NS6detail27convert_result_type_wrapperISA_SB_N2at6native12_GLOBAL__N_19CustomMinEEEEE10hipError_tPvRmT0_T1_jT2_SS_T4_T3_P12ihipStream_tbEUlT_E_NS1_11comp_targetILNS1_3genE10ELNS1_11target_archE1201ELNS1_3gpuE5ELNS1_3repE0EEENS1_30default_config_static_selectorELNS0_4arch9wavefront6targetE0EEEvSR_.kd
    .uniform_work_group_size: 1
    .uses_dynamic_stack: false
    .vgpr_count:     0
    .vgpr_spill_count: 0
    .wavefront_size: 32
  - .args:
      - .offset:         0
        .size:           48
        .value_kind:     by_value
    .group_segment_fixed_size: 0
    .kernarg_segment_align: 8
    .kernarg_segment_size: 48
    .language:       OpenCL C
    .language_version:
      - 2
      - 0
    .max_flat_workgroup_size: 256
    .name:           _ZN7rocprim17ROCPRIM_400000_NS6detail17trampoline_kernelINS0_14default_configENS1_32segmented_reduce_config_selectorIN3c104HalfEEEZNS1_21segmented_reduce_implIS3_PKS6_PS6_PKlS6_N6hipcub16HIPCUB_304000_NS6detail27convert_result_type_wrapperISA_SB_N2at6native12_GLOBAL__N_19CustomMinEEEEE10hipError_tPvRmT0_T1_jT2_SS_T4_T3_P12ihipStream_tbEUlT_E_NS1_11comp_targetILNS1_3genE4ELNS1_11target_archE910ELNS1_3gpuE8ELNS1_3repE0EEENS1_30default_config_static_selectorELNS0_4arch9wavefront6targetE0EEEvSR_
    .private_segment_fixed_size: 0
    .sgpr_count:     0
    .sgpr_spill_count: 0
    .symbol:         _ZN7rocprim17ROCPRIM_400000_NS6detail17trampoline_kernelINS0_14default_configENS1_32segmented_reduce_config_selectorIN3c104HalfEEEZNS1_21segmented_reduce_implIS3_PKS6_PS6_PKlS6_N6hipcub16HIPCUB_304000_NS6detail27convert_result_type_wrapperISA_SB_N2at6native12_GLOBAL__N_19CustomMinEEEEE10hipError_tPvRmT0_T1_jT2_SS_T4_T3_P12ihipStream_tbEUlT_E_NS1_11comp_targetILNS1_3genE4ELNS1_11target_archE910ELNS1_3gpuE8ELNS1_3repE0EEENS1_30default_config_static_selectorELNS0_4arch9wavefront6targetE0EEEvSR_.kd
    .uniform_work_group_size: 1
    .uses_dynamic_stack: false
    .vgpr_count:     0
    .vgpr_spill_count: 0
    .wavefront_size: 32
  - .args:
      - .offset:         0
        .size:           48
        .value_kind:     by_value
    .group_segment_fixed_size: 0
    .kernarg_segment_align: 8
    .kernarg_segment_size: 48
    .language:       OpenCL C
    .language_version:
      - 2
      - 0
    .max_flat_workgroup_size: 256
    .name:           _ZN7rocprim17ROCPRIM_400000_NS6detail17trampoline_kernelINS0_14default_configENS1_32segmented_reduce_config_selectorIN3c104HalfEEEZNS1_21segmented_reduce_implIS3_PKS6_PS6_PKlS6_N6hipcub16HIPCUB_304000_NS6detail27convert_result_type_wrapperISA_SB_N2at6native12_GLOBAL__N_19CustomMinEEEEE10hipError_tPvRmT0_T1_jT2_SS_T4_T3_P12ihipStream_tbEUlT_E_NS1_11comp_targetILNS1_3genE3ELNS1_11target_archE908ELNS1_3gpuE7ELNS1_3repE0EEENS1_30default_config_static_selectorELNS0_4arch9wavefront6targetE0EEEvSR_
    .private_segment_fixed_size: 0
    .sgpr_count:     0
    .sgpr_spill_count: 0
    .symbol:         _ZN7rocprim17ROCPRIM_400000_NS6detail17trampoline_kernelINS0_14default_configENS1_32segmented_reduce_config_selectorIN3c104HalfEEEZNS1_21segmented_reduce_implIS3_PKS6_PS6_PKlS6_N6hipcub16HIPCUB_304000_NS6detail27convert_result_type_wrapperISA_SB_N2at6native12_GLOBAL__N_19CustomMinEEEEE10hipError_tPvRmT0_T1_jT2_SS_T4_T3_P12ihipStream_tbEUlT_E_NS1_11comp_targetILNS1_3genE3ELNS1_11target_archE908ELNS1_3gpuE7ELNS1_3repE0EEENS1_30default_config_static_selectorELNS0_4arch9wavefront6targetE0EEEvSR_.kd
    .uniform_work_group_size: 1
    .uses_dynamic_stack: false
    .vgpr_count:     0
    .vgpr_spill_count: 0
    .wavefront_size: 32
  - .args:
      - .offset:         0
        .size:           48
        .value_kind:     by_value
    .group_segment_fixed_size: 0
    .kernarg_segment_align: 8
    .kernarg_segment_size: 48
    .language:       OpenCL C
    .language_version:
      - 2
      - 0
    .max_flat_workgroup_size: 256
    .name:           _ZN7rocprim17ROCPRIM_400000_NS6detail17trampoline_kernelINS0_14default_configENS1_32segmented_reduce_config_selectorIN3c104HalfEEEZNS1_21segmented_reduce_implIS3_PKS6_PS6_PKlS6_N6hipcub16HIPCUB_304000_NS6detail27convert_result_type_wrapperISA_SB_N2at6native12_GLOBAL__N_19CustomMinEEEEE10hipError_tPvRmT0_T1_jT2_SS_T4_T3_P12ihipStream_tbEUlT_E_NS1_11comp_targetILNS1_3genE2ELNS1_11target_archE906ELNS1_3gpuE6ELNS1_3repE0EEENS1_30default_config_static_selectorELNS0_4arch9wavefront6targetE0EEEvSR_
    .private_segment_fixed_size: 0
    .sgpr_count:     0
    .sgpr_spill_count: 0
    .symbol:         _ZN7rocprim17ROCPRIM_400000_NS6detail17trampoline_kernelINS0_14default_configENS1_32segmented_reduce_config_selectorIN3c104HalfEEEZNS1_21segmented_reduce_implIS3_PKS6_PS6_PKlS6_N6hipcub16HIPCUB_304000_NS6detail27convert_result_type_wrapperISA_SB_N2at6native12_GLOBAL__N_19CustomMinEEEEE10hipError_tPvRmT0_T1_jT2_SS_T4_T3_P12ihipStream_tbEUlT_E_NS1_11comp_targetILNS1_3genE2ELNS1_11target_archE906ELNS1_3gpuE6ELNS1_3repE0EEENS1_30default_config_static_selectorELNS0_4arch9wavefront6targetE0EEEvSR_.kd
    .uniform_work_group_size: 1
    .uses_dynamic_stack: false
    .vgpr_count:     0
    .vgpr_spill_count: 0
    .wavefront_size: 32
  - .args:
      - .offset:         0
        .size:           48
        .value_kind:     by_value
    .group_segment_fixed_size: 0
    .kernarg_segment_align: 8
    .kernarg_segment_size: 48
    .language:       OpenCL C
    .language_version:
      - 2
      - 0
    .max_flat_workgroup_size: 256
    .name:           _ZN7rocprim17ROCPRIM_400000_NS6detail17trampoline_kernelINS0_14default_configENS1_32segmented_reduce_config_selectorIN3c104HalfEEEZNS1_21segmented_reduce_implIS3_PKS6_PS6_PKlS6_N6hipcub16HIPCUB_304000_NS6detail27convert_result_type_wrapperISA_SB_N2at6native12_GLOBAL__N_19CustomMinEEEEE10hipError_tPvRmT0_T1_jT2_SS_T4_T3_P12ihipStream_tbEUlT_E_NS1_11comp_targetILNS1_3genE9ELNS1_11target_archE1100ELNS1_3gpuE3ELNS1_3repE0EEENS1_30default_config_static_selectorELNS0_4arch9wavefront6targetE0EEEvSR_
    .private_segment_fixed_size: 0
    .sgpr_count:     0
    .sgpr_spill_count: 0
    .symbol:         _ZN7rocprim17ROCPRIM_400000_NS6detail17trampoline_kernelINS0_14default_configENS1_32segmented_reduce_config_selectorIN3c104HalfEEEZNS1_21segmented_reduce_implIS3_PKS6_PS6_PKlS6_N6hipcub16HIPCUB_304000_NS6detail27convert_result_type_wrapperISA_SB_N2at6native12_GLOBAL__N_19CustomMinEEEEE10hipError_tPvRmT0_T1_jT2_SS_T4_T3_P12ihipStream_tbEUlT_E_NS1_11comp_targetILNS1_3genE9ELNS1_11target_archE1100ELNS1_3gpuE3ELNS1_3repE0EEENS1_30default_config_static_selectorELNS0_4arch9wavefront6targetE0EEEvSR_.kd
    .uniform_work_group_size: 1
    .uses_dynamic_stack: false
    .vgpr_count:     0
    .vgpr_spill_count: 0
    .wavefront_size: 32
  - .args:
      - .offset:         0
        .size:           48
        .value_kind:     by_value
    .group_segment_fixed_size: 0
    .kernarg_segment_align: 8
    .kernarg_segment_size: 48
    .language:       OpenCL C
    .language_version:
      - 2
      - 0
    .max_flat_workgroup_size: 256
    .name:           _ZN7rocprim17ROCPRIM_400000_NS6detail17trampoline_kernelINS0_14default_configENS1_32segmented_reduce_config_selectorIN3c104HalfEEEZNS1_21segmented_reduce_implIS3_PKS6_PS6_PKlS6_N6hipcub16HIPCUB_304000_NS6detail27convert_result_type_wrapperISA_SB_N2at6native12_GLOBAL__N_19CustomMinEEEEE10hipError_tPvRmT0_T1_jT2_SS_T4_T3_P12ihipStream_tbEUlT_E_NS1_11comp_targetILNS1_3genE8ELNS1_11target_archE1030ELNS1_3gpuE2ELNS1_3repE0EEENS1_30default_config_static_selectorELNS0_4arch9wavefront6targetE0EEEvSR_
    .private_segment_fixed_size: 0
    .sgpr_count:     0
    .sgpr_spill_count: 0
    .symbol:         _ZN7rocprim17ROCPRIM_400000_NS6detail17trampoline_kernelINS0_14default_configENS1_32segmented_reduce_config_selectorIN3c104HalfEEEZNS1_21segmented_reduce_implIS3_PKS6_PS6_PKlS6_N6hipcub16HIPCUB_304000_NS6detail27convert_result_type_wrapperISA_SB_N2at6native12_GLOBAL__N_19CustomMinEEEEE10hipError_tPvRmT0_T1_jT2_SS_T4_T3_P12ihipStream_tbEUlT_E_NS1_11comp_targetILNS1_3genE8ELNS1_11target_archE1030ELNS1_3gpuE2ELNS1_3repE0EEENS1_30default_config_static_selectorELNS0_4arch9wavefront6targetE0EEEvSR_.kd
    .uniform_work_group_size: 1
    .uses_dynamic_stack: false
    .vgpr_count:     0
    .vgpr_spill_count: 0
    .wavefront_size: 32
  - .args:
      - .offset:         0
        .size:           48
        .value_kind:     by_value
    .group_segment_fixed_size: 16
    .kernarg_segment_align: 8
    .kernarg_segment_size: 48
    .language:       OpenCL C
    .language_version:
      - 2
      - 0
    .max_flat_workgroup_size: 256
    .name:           _ZN7rocprim17ROCPRIM_400000_NS6detail17trampoline_kernelINS0_14default_configENS1_32segmented_reduce_config_selectorIN3c104HalfEEEZNS1_21segmented_reduce_implIS3_PKS6_PS6_PKlS6_N6hipcub16HIPCUB_304000_NS6detail27convert_result_type_wrapperISA_SB_N2at6native12_GLOBAL__N_110CustomProdEEEEE10hipError_tPvRmT0_T1_jT2_SS_T4_T3_P12ihipStream_tbEUlT_E_NS1_11comp_targetILNS1_3genE0ELNS1_11target_archE4294967295ELNS1_3gpuE0ELNS1_3repE0EEENS1_30default_config_static_selectorELNS0_4arch9wavefront6targetE0EEEvSR_
    .private_segment_fixed_size: 0
    .sgpr_count:     30
    .sgpr_spill_count: 0
    .symbol:         _ZN7rocprim17ROCPRIM_400000_NS6detail17trampoline_kernelINS0_14default_configENS1_32segmented_reduce_config_selectorIN3c104HalfEEEZNS1_21segmented_reduce_implIS3_PKS6_PS6_PKlS6_N6hipcub16HIPCUB_304000_NS6detail27convert_result_type_wrapperISA_SB_N2at6native12_GLOBAL__N_110CustomProdEEEEE10hipError_tPvRmT0_T1_jT2_SS_T4_T3_P12ihipStream_tbEUlT_E_NS1_11comp_targetILNS1_3genE0ELNS1_11target_archE4294967295ELNS1_3gpuE0ELNS1_3repE0EEENS1_30default_config_static_selectorELNS0_4arch9wavefront6targetE0EEEvSR_.kd
    .uniform_work_group_size: 1
    .uses_dynamic_stack: false
    .vgpr_count:     21
    .vgpr_spill_count: 0
    .wavefront_size: 32
  - .args:
      - .offset:         0
        .size:           48
        .value_kind:     by_value
    .group_segment_fixed_size: 0
    .kernarg_segment_align: 8
    .kernarg_segment_size: 48
    .language:       OpenCL C
    .language_version:
      - 2
      - 0
    .max_flat_workgroup_size: 256
    .name:           _ZN7rocprim17ROCPRIM_400000_NS6detail17trampoline_kernelINS0_14default_configENS1_32segmented_reduce_config_selectorIN3c104HalfEEEZNS1_21segmented_reduce_implIS3_PKS6_PS6_PKlS6_N6hipcub16HIPCUB_304000_NS6detail27convert_result_type_wrapperISA_SB_N2at6native12_GLOBAL__N_110CustomProdEEEEE10hipError_tPvRmT0_T1_jT2_SS_T4_T3_P12ihipStream_tbEUlT_E_NS1_11comp_targetILNS1_3genE5ELNS1_11target_archE942ELNS1_3gpuE9ELNS1_3repE0EEENS1_30default_config_static_selectorELNS0_4arch9wavefront6targetE0EEEvSR_
    .private_segment_fixed_size: 0
    .sgpr_count:     0
    .sgpr_spill_count: 0
    .symbol:         _ZN7rocprim17ROCPRIM_400000_NS6detail17trampoline_kernelINS0_14default_configENS1_32segmented_reduce_config_selectorIN3c104HalfEEEZNS1_21segmented_reduce_implIS3_PKS6_PS6_PKlS6_N6hipcub16HIPCUB_304000_NS6detail27convert_result_type_wrapperISA_SB_N2at6native12_GLOBAL__N_110CustomProdEEEEE10hipError_tPvRmT0_T1_jT2_SS_T4_T3_P12ihipStream_tbEUlT_E_NS1_11comp_targetILNS1_3genE5ELNS1_11target_archE942ELNS1_3gpuE9ELNS1_3repE0EEENS1_30default_config_static_selectorELNS0_4arch9wavefront6targetE0EEEvSR_.kd
    .uniform_work_group_size: 1
    .uses_dynamic_stack: false
    .vgpr_count:     0
    .vgpr_spill_count: 0
    .wavefront_size: 32
  - .args:
      - .offset:         0
        .size:           48
        .value_kind:     by_value
    .group_segment_fixed_size: 0
    .kernarg_segment_align: 8
    .kernarg_segment_size: 48
    .language:       OpenCL C
    .language_version:
      - 2
      - 0
    .max_flat_workgroup_size: 256
    .name:           _ZN7rocprim17ROCPRIM_400000_NS6detail17trampoline_kernelINS0_14default_configENS1_32segmented_reduce_config_selectorIN3c104HalfEEEZNS1_21segmented_reduce_implIS3_PKS6_PS6_PKlS6_N6hipcub16HIPCUB_304000_NS6detail27convert_result_type_wrapperISA_SB_N2at6native12_GLOBAL__N_110CustomProdEEEEE10hipError_tPvRmT0_T1_jT2_SS_T4_T3_P12ihipStream_tbEUlT_E_NS1_11comp_targetILNS1_3genE10ELNS1_11target_archE1201ELNS1_3gpuE5ELNS1_3repE0EEENS1_30default_config_static_selectorELNS0_4arch9wavefront6targetE0EEEvSR_
    .private_segment_fixed_size: 0
    .sgpr_count:     0
    .sgpr_spill_count: 0
    .symbol:         _ZN7rocprim17ROCPRIM_400000_NS6detail17trampoline_kernelINS0_14default_configENS1_32segmented_reduce_config_selectorIN3c104HalfEEEZNS1_21segmented_reduce_implIS3_PKS6_PS6_PKlS6_N6hipcub16HIPCUB_304000_NS6detail27convert_result_type_wrapperISA_SB_N2at6native12_GLOBAL__N_110CustomProdEEEEE10hipError_tPvRmT0_T1_jT2_SS_T4_T3_P12ihipStream_tbEUlT_E_NS1_11comp_targetILNS1_3genE10ELNS1_11target_archE1201ELNS1_3gpuE5ELNS1_3repE0EEENS1_30default_config_static_selectorELNS0_4arch9wavefront6targetE0EEEvSR_.kd
    .uniform_work_group_size: 1
    .uses_dynamic_stack: false
    .vgpr_count:     0
    .vgpr_spill_count: 0
    .wavefront_size: 32
  - .args:
      - .offset:         0
        .size:           48
        .value_kind:     by_value
    .group_segment_fixed_size: 0
    .kernarg_segment_align: 8
    .kernarg_segment_size: 48
    .language:       OpenCL C
    .language_version:
      - 2
      - 0
    .max_flat_workgroup_size: 256
    .name:           _ZN7rocprim17ROCPRIM_400000_NS6detail17trampoline_kernelINS0_14default_configENS1_32segmented_reduce_config_selectorIN3c104HalfEEEZNS1_21segmented_reduce_implIS3_PKS6_PS6_PKlS6_N6hipcub16HIPCUB_304000_NS6detail27convert_result_type_wrapperISA_SB_N2at6native12_GLOBAL__N_110CustomProdEEEEE10hipError_tPvRmT0_T1_jT2_SS_T4_T3_P12ihipStream_tbEUlT_E_NS1_11comp_targetILNS1_3genE4ELNS1_11target_archE910ELNS1_3gpuE8ELNS1_3repE0EEENS1_30default_config_static_selectorELNS0_4arch9wavefront6targetE0EEEvSR_
    .private_segment_fixed_size: 0
    .sgpr_count:     0
    .sgpr_spill_count: 0
    .symbol:         _ZN7rocprim17ROCPRIM_400000_NS6detail17trampoline_kernelINS0_14default_configENS1_32segmented_reduce_config_selectorIN3c104HalfEEEZNS1_21segmented_reduce_implIS3_PKS6_PS6_PKlS6_N6hipcub16HIPCUB_304000_NS6detail27convert_result_type_wrapperISA_SB_N2at6native12_GLOBAL__N_110CustomProdEEEEE10hipError_tPvRmT0_T1_jT2_SS_T4_T3_P12ihipStream_tbEUlT_E_NS1_11comp_targetILNS1_3genE4ELNS1_11target_archE910ELNS1_3gpuE8ELNS1_3repE0EEENS1_30default_config_static_selectorELNS0_4arch9wavefront6targetE0EEEvSR_.kd
    .uniform_work_group_size: 1
    .uses_dynamic_stack: false
    .vgpr_count:     0
    .vgpr_spill_count: 0
    .wavefront_size: 32
  - .args:
      - .offset:         0
        .size:           48
        .value_kind:     by_value
    .group_segment_fixed_size: 0
    .kernarg_segment_align: 8
    .kernarg_segment_size: 48
    .language:       OpenCL C
    .language_version:
      - 2
      - 0
    .max_flat_workgroup_size: 256
    .name:           _ZN7rocprim17ROCPRIM_400000_NS6detail17trampoline_kernelINS0_14default_configENS1_32segmented_reduce_config_selectorIN3c104HalfEEEZNS1_21segmented_reduce_implIS3_PKS6_PS6_PKlS6_N6hipcub16HIPCUB_304000_NS6detail27convert_result_type_wrapperISA_SB_N2at6native12_GLOBAL__N_110CustomProdEEEEE10hipError_tPvRmT0_T1_jT2_SS_T4_T3_P12ihipStream_tbEUlT_E_NS1_11comp_targetILNS1_3genE3ELNS1_11target_archE908ELNS1_3gpuE7ELNS1_3repE0EEENS1_30default_config_static_selectorELNS0_4arch9wavefront6targetE0EEEvSR_
    .private_segment_fixed_size: 0
    .sgpr_count:     0
    .sgpr_spill_count: 0
    .symbol:         _ZN7rocprim17ROCPRIM_400000_NS6detail17trampoline_kernelINS0_14default_configENS1_32segmented_reduce_config_selectorIN3c104HalfEEEZNS1_21segmented_reduce_implIS3_PKS6_PS6_PKlS6_N6hipcub16HIPCUB_304000_NS6detail27convert_result_type_wrapperISA_SB_N2at6native12_GLOBAL__N_110CustomProdEEEEE10hipError_tPvRmT0_T1_jT2_SS_T4_T3_P12ihipStream_tbEUlT_E_NS1_11comp_targetILNS1_3genE3ELNS1_11target_archE908ELNS1_3gpuE7ELNS1_3repE0EEENS1_30default_config_static_selectorELNS0_4arch9wavefront6targetE0EEEvSR_.kd
    .uniform_work_group_size: 1
    .uses_dynamic_stack: false
    .vgpr_count:     0
    .vgpr_spill_count: 0
    .wavefront_size: 32
  - .args:
      - .offset:         0
        .size:           48
        .value_kind:     by_value
    .group_segment_fixed_size: 0
    .kernarg_segment_align: 8
    .kernarg_segment_size: 48
    .language:       OpenCL C
    .language_version:
      - 2
      - 0
    .max_flat_workgroup_size: 256
    .name:           _ZN7rocprim17ROCPRIM_400000_NS6detail17trampoline_kernelINS0_14default_configENS1_32segmented_reduce_config_selectorIN3c104HalfEEEZNS1_21segmented_reduce_implIS3_PKS6_PS6_PKlS6_N6hipcub16HIPCUB_304000_NS6detail27convert_result_type_wrapperISA_SB_N2at6native12_GLOBAL__N_110CustomProdEEEEE10hipError_tPvRmT0_T1_jT2_SS_T4_T3_P12ihipStream_tbEUlT_E_NS1_11comp_targetILNS1_3genE2ELNS1_11target_archE906ELNS1_3gpuE6ELNS1_3repE0EEENS1_30default_config_static_selectorELNS0_4arch9wavefront6targetE0EEEvSR_
    .private_segment_fixed_size: 0
    .sgpr_count:     0
    .sgpr_spill_count: 0
    .symbol:         _ZN7rocprim17ROCPRIM_400000_NS6detail17trampoline_kernelINS0_14default_configENS1_32segmented_reduce_config_selectorIN3c104HalfEEEZNS1_21segmented_reduce_implIS3_PKS6_PS6_PKlS6_N6hipcub16HIPCUB_304000_NS6detail27convert_result_type_wrapperISA_SB_N2at6native12_GLOBAL__N_110CustomProdEEEEE10hipError_tPvRmT0_T1_jT2_SS_T4_T3_P12ihipStream_tbEUlT_E_NS1_11comp_targetILNS1_3genE2ELNS1_11target_archE906ELNS1_3gpuE6ELNS1_3repE0EEENS1_30default_config_static_selectorELNS0_4arch9wavefront6targetE0EEEvSR_.kd
    .uniform_work_group_size: 1
    .uses_dynamic_stack: false
    .vgpr_count:     0
    .vgpr_spill_count: 0
    .wavefront_size: 32
  - .args:
      - .offset:         0
        .size:           48
        .value_kind:     by_value
    .group_segment_fixed_size: 0
    .kernarg_segment_align: 8
    .kernarg_segment_size: 48
    .language:       OpenCL C
    .language_version:
      - 2
      - 0
    .max_flat_workgroup_size: 256
    .name:           _ZN7rocprim17ROCPRIM_400000_NS6detail17trampoline_kernelINS0_14default_configENS1_32segmented_reduce_config_selectorIN3c104HalfEEEZNS1_21segmented_reduce_implIS3_PKS6_PS6_PKlS6_N6hipcub16HIPCUB_304000_NS6detail27convert_result_type_wrapperISA_SB_N2at6native12_GLOBAL__N_110CustomProdEEEEE10hipError_tPvRmT0_T1_jT2_SS_T4_T3_P12ihipStream_tbEUlT_E_NS1_11comp_targetILNS1_3genE9ELNS1_11target_archE1100ELNS1_3gpuE3ELNS1_3repE0EEENS1_30default_config_static_selectorELNS0_4arch9wavefront6targetE0EEEvSR_
    .private_segment_fixed_size: 0
    .sgpr_count:     0
    .sgpr_spill_count: 0
    .symbol:         _ZN7rocprim17ROCPRIM_400000_NS6detail17trampoline_kernelINS0_14default_configENS1_32segmented_reduce_config_selectorIN3c104HalfEEEZNS1_21segmented_reduce_implIS3_PKS6_PS6_PKlS6_N6hipcub16HIPCUB_304000_NS6detail27convert_result_type_wrapperISA_SB_N2at6native12_GLOBAL__N_110CustomProdEEEEE10hipError_tPvRmT0_T1_jT2_SS_T4_T3_P12ihipStream_tbEUlT_E_NS1_11comp_targetILNS1_3genE9ELNS1_11target_archE1100ELNS1_3gpuE3ELNS1_3repE0EEENS1_30default_config_static_selectorELNS0_4arch9wavefront6targetE0EEEvSR_.kd
    .uniform_work_group_size: 1
    .uses_dynamic_stack: false
    .vgpr_count:     0
    .vgpr_spill_count: 0
    .wavefront_size: 32
  - .args:
      - .offset:         0
        .size:           48
        .value_kind:     by_value
    .group_segment_fixed_size: 0
    .kernarg_segment_align: 8
    .kernarg_segment_size: 48
    .language:       OpenCL C
    .language_version:
      - 2
      - 0
    .max_flat_workgroup_size: 256
    .name:           _ZN7rocprim17ROCPRIM_400000_NS6detail17trampoline_kernelINS0_14default_configENS1_32segmented_reduce_config_selectorIN3c104HalfEEEZNS1_21segmented_reduce_implIS3_PKS6_PS6_PKlS6_N6hipcub16HIPCUB_304000_NS6detail27convert_result_type_wrapperISA_SB_N2at6native12_GLOBAL__N_110CustomProdEEEEE10hipError_tPvRmT0_T1_jT2_SS_T4_T3_P12ihipStream_tbEUlT_E_NS1_11comp_targetILNS1_3genE8ELNS1_11target_archE1030ELNS1_3gpuE2ELNS1_3repE0EEENS1_30default_config_static_selectorELNS0_4arch9wavefront6targetE0EEEvSR_
    .private_segment_fixed_size: 0
    .sgpr_count:     0
    .sgpr_spill_count: 0
    .symbol:         _ZN7rocprim17ROCPRIM_400000_NS6detail17trampoline_kernelINS0_14default_configENS1_32segmented_reduce_config_selectorIN3c104HalfEEEZNS1_21segmented_reduce_implIS3_PKS6_PS6_PKlS6_N6hipcub16HIPCUB_304000_NS6detail27convert_result_type_wrapperISA_SB_N2at6native12_GLOBAL__N_110CustomProdEEEEE10hipError_tPvRmT0_T1_jT2_SS_T4_T3_P12ihipStream_tbEUlT_E_NS1_11comp_targetILNS1_3genE8ELNS1_11target_archE1030ELNS1_3gpuE2ELNS1_3repE0EEENS1_30default_config_static_selectorELNS0_4arch9wavefront6targetE0EEEvSR_.kd
    .uniform_work_group_size: 1
    .uses_dynamic_stack: false
    .vgpr_count:     0
    .vgpr_spill_count: 0
    .wavefront_size: 32
  - .args:
      - .offset:         0
        .size:           4
        .value_kind:     by_value
      - .address_space:  global
        .offset:         8
        .size:           8
        .value_kind:     global_buffer
      - .address_space:  global
        .offset:         16
        .size:           8
        .value_kind:     global_buffer
      - .address_space:  global
        .offset:         24
        .size:           8
        .value_kind:     global_buffer
      - .address_space:  global
        .offset:         32
        .size:           8
        .value_kind:     global_buffer
      - .offset:         40
        .size:           8
        .value_kind:     by_value
      - .offset:         48
        .size:           8
        .value_kind:     by_value
      - .offset:         56
        .size:           1
        .value_kind:     by_value
      - .offset:         58
        .size:           2
        .value_kind:     by_value
      - .offset:         64
        .size:           8
        .value_kind:     by_value
      - .offset:         72
        .size:           8
        .value_kind:     by_value
      - .offset:         80
        .size:           8
        .value_kind:     by_value
      - .offset:         88
        .size:           8
        .value_kind:     by_value
      - .offset:         96
        .size:           8
        .value_kind:     by_value
      - .offset:         104
        .size:           8
        .value_kind:     by_value
      - .offset:         112
        .size:           8
        .value_kind:     by_value
      - .offset:         120
        .size:           4
        .value_kind:     hidden_block_count_x
      - .offset:         124
        .size:           4
        .value_kind:     hidden_block_count_y
      - .offset:         128
        .size:           4
        .value_kind:     hidden_block_count_z
      - .offset:         132
        .size:           2
        .value_kind:     hidden_group_size_x
      - .offset:         134
        .size:           2
        .value_kind:     hidden_group_size_y
      - .offset:         136
        .size:           2
        .value_kind:     hidden_group_size_z
      - .offset:         138
        .size:           2
        .value_kind:     hidden_remainder_x
      - .offset:         140
        .size:           2
        .value_kind:     hidden_remainder_y
      - .offset:         142
        .size:           2
        .value_kind:     hidden_remainder_z
      - .offset:         160
        .size:           8
        .value_kind:     hidden_global_offset_x
      - .offset:         168
        .size:           8
        .value_kind:     hidden_global_offset_y
      - .offset:         176
        .size:           8
        .value_kind:     hidden_global_offset_z
      - .offset:         184
        .size:           2
        .value_kind:     hidden_grid_dims
    .group_segment_fixed_size: 0
    .kernarg_segment_align: 8
    .kernarg_segment_size: 376
    .language:       OpenCL C
    .language_version:
      - 2
      - 0
    .max_flat_workgroup_size: 1024
    .name:           _ZN2at6native12_GLOBAL__N_129segment_reduce_forward_kernelIN3c108BFloat16ElEEvNS0_13ReductionTypeEPT_PKS6_PKT0_SC_llbS6_lllllll
    .private_segment_fixed_size: 0
    .sgpr_count:     46
    .sgpr_spill_count: 0
    .symbol:         _ZN2at6native12_GLOBAL__N_129segment_reduce_forward_kernelIN3c108BFloat16ElEEvNS0_13ReductionTypeEPT_PKS6_PKT0_SC_llbS6_lllllll.kd
    .uniform_work_group_size: 1
    .uses_dynamic_stack: false
    .vgpr_count:     21
    .vgpr_spill_count: 0
    .wavefront_size: 32
  - .args:
      - .offset:         0
        .size:           48
        .value_kind:     by_value
    .group_segment_fixed_size: 16
    .kernarg_segment_align: 8
    .kernarg_segment_size: 48
    .language:       OpenCL C
    .language_version:
      - 2
      - 0
    .max_flat_workgroup_size: 256
    .name:           _ZN7rocprim17ROCPRIM_400000_NS6detail17trampoline_kernelINS0_14default_configENS1_32segmented_reduce_config_selectorIN3c108BFloat16EEEZNS1_21segmented_reduce_implIS3_PKS6_PS6_PKlS6_N6hipcub16HIPCUB_304000_NS6detail27convert_result_type_wrapperISA_SB_N2at6native12_GLOBAL__N_19CustomMaxEEEEE10hipError_tPvRmT0_T1_jT2_SS_T4_T3_P12ihipStream_tbEUlT_E_NS1_11comp_targetILNS1_3genE0ELNS1_11target_archE4294967295ELNS1_3gpuE0ELNS1_3repE0EEENS1_30default_config_static_selectorELNS0_4arch9wavefront6targetE0EEEvSR_
    .private_segment_fixed_size: 0
    .sgpr_count:     34
    .sgpr_spill_count: 0
    .symbol:         _ZN7rocprim17ROCPRIM_400000_NS6detail17trampoline_kernelINS0_14default_configENS1_32segmented_reduce_config_selectorIN3c108BFloat16EEEZNS1_21segmented_reduce_implIS3_PKS6_PS6_PKlS6_N6hipcub16HIPCUB_304000_NS6detail27convert_result_type_wrapperISA_SB_N2at6native12_GLOBAL__N_19CustomMaxEEEEE10hipError_tPvRmT0_T1_jT2_SS_T4_T3_P12ihipStream_tbEUlT_E_NS1_11comp_targetILNS1_3genE0ELNS1_11target_archE4294967295ELNS1_3gpuE0ELNS1_3repE0EEENS1_30default_config_static_selectorELNS0_4arch9wavefront6targetE0EEEvSR_.kd
    .uniform_work_group_size: 1
    .uses_dynamic_stack: false
    .vgpr_count:     24
    .vgpr_spill_count: 0
    .wavefront_size: 32
  - .args:
      - .offset:         0
        .size:           48
        .value_kind:     by_value
    .group_segment_fixed_size: 0
    .kernarg_segment_align: 8
    .kernarg_segment_size: 48
    .language:       OpenCL C
    .language_version:
      - 2
      - 0
    .max_flat_workgroup_size: 256
    .name:           _ZN7rocprim17ROCPRIM_400000_NS6detail17trampoline_kernelINS0_14default_configENS1_32segmented_reduce_config_selectorIN3c108BFloat16EEEZNS1_21segmented_reduce_implIS3_PKS6_PS6_PKlS6_N6hipcub16HIPCUB_304000_NS6detail27convert_result_type_wrapperISA_SB_N2at6native12_GLOBAL__N_19CustomMaxEEEEE10hipError_tPvRmT0_T1_jT2_SS_T4_T3_P12ihipStream_tbEUlT_E_NS1_11comp_targetILNS1_3genE5ELNS1_11target_archE942ELNS1_3gpuE9ELNS1_3repE0EEENS1_30default_config_static_selectorELNS0_4arch9wavefront6targetE0EEEvSR_
    .private_segment_fixed_size: 0
    .sgpr_count:     0
    .sgpr_spill_count: 0
    .symbol:         _ZN7rocprim17ROCPRIM_400000_NS6detail17trampoline_kernelINS0_14default_configENS1_32segmented_reduce_config_selectorIN3c108BFloat16EEEZNS1_21segmented_reduce_implIS3_PKS6_PS6_PKlS6_N6hipcub16HIPCUB_304000_NS6detail27convert_result_type_wrapperISA_SB_N2at6native12_GLOBAL__N_19CustomMaxEEEEE10hipError_tPvRmT0_T1_jT2_SS_T4_T3_P12ihipStream_tbEUlT_E_NS1_11comp_targetILNS1_3genE5ELNS1_11target_archE942ELNS1_3gpuE9ELNS1_3repE0EEENS1_30default_config_static_selectorELNS0_4arch9wavefront6targetE0EEEvSR_.kd
    .uniform_work_group_size: 1
    .uses_dynamic_stack: false
    .vgpr_count:     0
    .vgpr_spill_count: 0
    .wavefront_size: 32
  - .args:
      - .offset:         0
        .size:           48
        .value_kind:     by_value
    .group_segment_fixed_size: 0
    .kernarg_segment_align: 8
    .kernarg_segment_size: 48
    .language:       OpenCL C
    .language_version:
      - 2
      - 0
    .max_flat_workgroup_size: 256
    .name:           _ZN7rocprim17ROCPRIM_400000_NS6detail17trampoline_kernelINS0_14default_configENS1_32segmented_reduce_config_selectorIN3c108BFloat16EEEZNS1_21segmented_reduce_implIS3_PKS6_PS6_PKlS6_N6hipcub16HIPCUB_304000_NS6detail27convert_result_type_wrapperISA_SB_N2at6native12_GLOBAL__N_19CustomMaxEEEEE10hipError_tPvRmT0_T1_jT2_SS_T4_T3_P12ihipStream_tbEUlT_E_NS1_11comp_targetILNS1_3genE10ELNS1_11target_archE1201ELNS1_3gpuE5ELNS1_3repE0EEENS1_30default_config_static_selectorELNS0_4arch9wavefront6targetE0EEEvSR_
    .private_segment_fixed_size: 0
    .sgpr_count:     0
    .sgpr_spill_count: 0
    .symbol:         _ZN7rocprim17ROCPRIM_400000_NS6detail17trampoline_kernelINS0_14default_configENS1_32segmented_reduce_config_selectorIN3c108BFloat16EEEZNS1_21segmented_reduce_implIS3_PKS6_PS6_PKlS6_N6hipcub16HIPCUB_304000_NS6detail27convert_result_type_wrapperISA_SB_N2at6native12_GLOBAL__N_19CustomMaxEEEEE10hipError_tPvRmT0_T1_jT2_SS_T4_T3_P12ihipStream_tbEUlT_E_NS1_11comp_targetILNS1_3genE10ELNS1_11target_archE1201ELNS1_3gpuE5ELNS1_3repE0EEENS1_30default_config_static_selectorELNS0_4arch9wavefront6targetE0EEEvSR_.kd
    .uniform_work_group_size: 1
    .uses_dynamic_stack: false
    .vgpr_count:     0
    .vgpr_spill_count: 0
    .wavefront_size: 32
  - .args:
      - .offset:         0
        .size:           48
        .value_kind:     by_value
    .group_segment_fixed_size: 0
    .kernarg_segment_align: 8
    .kernarg_segment_size: 48
    .language:       OpenCL C
    .language_version:
      - 2
      - 0
    .max_flat_workgroup_size: 256
    .name:           _ZN7rocprim17ROCPRIM_400000_NS6detail17trampoline_kernelINS0_14default_configENS1_32segmented_reduce_config_selectorIN3c108BFloat16EEEZNS1_21segmented_reduce_implIS3_PKS6_PS6_PKlS6_N6hipcub16HIPCUB_304000_NS6detail27convert_result_type_wrapperISA_SB_N2at6native12_GLOBAL__N_19CustomMaxEEEEE10hipError_tPvRmT0_T1_jT2_SS_T4_T3_P12ihipStream_tbEUlT_E_NS1_11comp_targetILNS1_3genE4ELNS1_11target_archE910ELNS1_3gpuE8ELNS1_3repE0EEENS1_30default_config_static_selectorELNS0_4arch9wavefront6targetE0EEEvSR_
    .private_segment_fixed_size: 0
    .sgpr_count:     0
    .sgpr_spill_count: 0
    .symbol:         _ZN7rocprim17ROCPRIM_400000_NS6detail17trampoline_kernelINS0_14default_configENS1_32segmented_reduce_config_selectorIN3c108BFloat16EEEZNS1_21segmented_reduce_implIS3_PKS6_PS6_PKlS6_N6hipcub16HIPCUB_304000_NS6detail27convert_result_type_wrapperISA_SB_N2at6native12_GLOBAL__N_19CustomMaxEEEEE10hipError_tPvRmT0_T1_jT2_SS_T4_T3_P12ihipStream_tbEUlT_E_NS1_11comp_targetILNS1_3genE4ELNS1_11target_archE910ELNS1_3gpuE8ELNS1_3repE0EEENS1_30default_config_static_selectorELNS0_4arch9wavefront6targetE0EEEvSR_.kd
    .uniform_work_group_size: 1
    .uses_dynamic_stack: false
    .vgpr_count:     0
    .vgpr_spill_count: 0
    .wavefront_size: 32
  - .args:
      - .offset:         0
        .size:           48
        .value_kind:     by_value
    .group_segment_fixed_size: 0
    .kernarg_segment_align: 8
    .kernarg_segment_size: 48
    .language:       OpenCL C
    .language_version:
      - 2
      - 0
    .max_flat_workgroup_size: 256
    .name:           _ZN7rocprim17ROCPRIM_400000_NS6detail17trampoline_kernelINS0_14default_configENS1_32segmented_reduce_config_selectorIN3c108BFloat16EEEZNS1_21segmented_reduce_implIS3_PKS6_PS6_PKlS6_N6hipcub16HIPCUB_304000_NS6detail27convert_result_type_wrapperISA_SB_N2at6native12_GLOBAL__N_19CustomMaxEEEEE10hipError_tPvRmT0_T1_jT2_SS_T4_T3_P12ihipStream_tbEUlT_E_NS1_11comp_targetILNS1_3genE3ELNS1_11target_archE908ELNS1_3gpuE7ELNS1_3repE0EEENS1_30default_config_static_selectorELNS0_4arch9wavefront6targetE0EEEvSR_
    .private_segment_fixed_size: 0
    .sgpr_count:     0
    .sgpr_spill_count: 0
    .symbol:         _ZN7rocprim17ROCPRIM_400000_NS6detail17trampoline_kernelINS0_14default_configENS1_32segmented_reduce_config_selectorIN3c108BFloat16EEEZNS1_21segmented_reduce_implIS3_PKS6_PS6_PKlS6_N6hipcub16HIPCUB_304000_NS6detail27convert_result_type_wrapperISA_SB_N2at6native12_GLOBAL__N_19CustomMaxEEEEE10hipError_tPvRmT0_T1_jT2_SS_T4_T3_P12ihipStream_tbEUlT_E_NS1_11comp_targetILNS1_3genE3ELNS1_11target_archE908ELNS1_3gpuE7ELNS1_3repE0EEENS1_30default_config_static_selectorELNS0_4arch9wavefront6targetE0EEEvSR_.kd
    .uniform_work_group_size: 1
    .uses_dynamic_stack: false
    .vgpr_count:     0
    .vgpr_spill_count: 0
    .wavefront_size: 32
  - .args:
      - .offset:         0
        .size:           48
        .value_kind:     by_value
    .group_segment_fixed_size: 0
    .kernarg_segment_align: 8
    .kernarg_segment_size: 48
    .language:       OpenCL C
    .language_version:
      - 2
      - 0
    .max_flat_workgroup_size: 256
    .name:           _ZN7rocprim17ROCPRIM_400000_NS6detail17trampoline_kernelINS0_14default_configENS1_32segmented_reduce_config_selectorIN3c108BFloat16EEEZNS1_21segmented_reduce_implIS3_PKS6_PS6_PKlS6_N6hipcub16HIPCUB_304000_NS6detail27convert_result_type_wrapperISA_SB_N2at6native12_GLOBAL__N_19CustomMaxEEEEE10hipError_tPvRmT0_T1_jT2_SS_T4_T3_P12ihipStream_tbEUlT_E_NS1_11comp_targetILNS1_3genE2ELNS1_11target_archE906ELNS1_3gpuE6ELNS1_3repE0EEENS1_30default_config_static_selectorELNS0_4arch9wavefront6targetE0EEEvSR_
    .private_segment_fixed_size: 0
    .sgpr_count:     0
    .sgpr_spill_count: 0
    .symbol:         _ZN7rocprim17ROCPRIM_400000_NS6detail17trampoline_kernelINS0_14default_configENS1_32segmented_reduce_config_selectorIN3c108BFloat16EEEZNS1_21segmented_reduce_implIS3_PKS6_PS6_PKlS6_N6hipcub16HIPCUB_304000_NS6detail27convert_result_type_wrapperISA_SB_N2at6native12_GLOBAL__N_19CustomMaxEEEEE10hipError_tPvRmT0_T1_jT2_SS_T4_T3_P12ihipStream_tbEUlT_E_NS1_11comp_targetILNS1_3genE2ELNS1_11target_archE906ELNS1_3gpuE6ELNS1_3repE0EEENS1_30default_config_static_selectorELNS0_4arch9wavefront6targetE0EEEvSR_.kd
    .uniform_work_group_size: 1
    .uses_dynamic_stack: false
    .vgpr_count:     0
    .vgpr_spill_count: 0
    .wavefront_size: 32
  - .args:
      - .offset:         0
        .size:           48
        .value_kind:     by_value
    .group_segment_fixed_size: 0
    .kernarg_segment_align: 8
    .kernarg_segment_size: 48
    .language:       OpenCL C
    .language_version:
      - 2
      - 0
    .max_flat_workgroup_size: 256
    .name:           _ZN7rocprim17ROCPRIM_400000_NS6detail17trampoline_kernelINS0_14default_configENS1_32segmented_reduce_config_selectorIN3c108BFloat16EEEZNS1_21segmented_reduce_implIS3_PKS6_PS6_PKlS6_N6hipcub16HIPCUB_304000_NS6detail27convert_result_type_wrapperISA_SB_N2at6native12_GLOBAL__N_19CustomMaxEEEEE10hipError_tPvRmT0_T1_jT2_SS_T4_T3_P12ihipStream_tbEUlT_E_NS1_11comp_targetILNS1_3genE9ELNS1_11target_archE1100ELNS1_3gpuE3ELNS1_3repE0EEENS1_30default_config_static_selectorELNS0_4arch9wavefront6targetE0EEEvSR_
    .private_segment_fixed_size: 0
    .sgpr_count:     0
    .sgpr_spill_count: 0
    .symbol:         _ZN7rocprim17ROCPRIM_400000_NS6detail17trampoline_kernelINS0_14default_configENS1_32segmented_reduce_config_selectorIN3c108BFloat16EEEZNS1_21segmented_reduce_implIS3_PKS6_PS6_PKlS6_N6hipcub16HIPCUB_304000_NS6detail27convert_result_type_wrapperISA_SB_N2at6native12_GLOBAL__N_19CustomMaxEEEEE10hipError_tPvRmT0_T1_jT2_SS_T4_T3_P12ihipStream_tbEUlT_E_NS1_11comp_targetILNS1_3genE9ELNS1_11target_archE1100ELNS1_3gpuE3ELNS1_3repE0EEENS1_30default_config_static_selectorELNS0_4arch9wavefront6targetE0EEEvSR_.kd
    .uniform_work_group_size: 1
    .uses_dynamic_stack: false
    .vgpr_count:     0
    .vgpr_spill_count: 0
    .wavefront_size: 32
  - .args:
      - .offset:         0
        .size:           48
        .value_kind:     by_value
    .group_segment_fixed_size: 0
    .kernarg_segment_align: 8
    .kernarg_segment_size: 48
    .language:       OpenCL C
    .language_version:
      - 2
      - 0
    .max_flat_workgroup_size: 256
    .name:           _ZN7rocprim17ROCPRIM_400000_NS6detail17trampoline_kernelINS0_14default_configENS1_32segmented_reduce_config_selectorIN3c108BFloat16EEEZNS1_21segmented_reduce_implIS3_PKS6_PS6_PKlS6_N6hipcub16HIPCUB_304000_NS6detail27convert_result_type_wrapperISA_SB_N2at6native12_GLOBAL__N_19CustomMaxEEEEE10hipError_tPvRmT0_T1_jT2_SS_T4_T3_P12ihipStream_tbEUlT_E_NS1_11comp_targetILNS1_3genE8ELNS1_11target_archE1030ELNS1_3gpuE2ELNS1_3repE0EEENS1_30default_config_static_selectorELNS0_4arch9wavefront6targetE0EEEvSR_
    .private_segment_fixed_size: 0
    .sgpr_count:     0
    .sgpr_spill_count: 0
    .symbol:         _ZN7rocprim17ROCPRIM_400000_NS6detail17trampoline_kernelINS0_14default_configENS1_32segmented_reduce_config_selectorIN3c108BFloat16EEEZNS1_21segmented_reduce_implIS3_PKS6_PS6_PKlS6_N6hipcub16HIPCUB_304000_NS6detail27convert_result_type_wrapperISA_SB_N2at6native12_GLOBAL__N_19CustomMaxEEEEE10hipError_tPvRmT0_T1_jT2_SS_T4_T3_P12ihipStream_tbEUlT_E_NS1_11comp_targetILNS1_3genE8ELNS1_11target_archE1030ELNS1_3gpuE2ELNS1_3repE0EEENS1_30default_config_static_selectorELNS0_4arch9wavefront6targetE0EEEvSR_.kd
    .uniform_work_group_size: 1
    .uses_dynamic_stack: false
    .vgpr_count:     0
    .vgpr_spill_count: 0
    .wavefront_size: 32
  - .args:
      - .offset:         0
        .size:           48
        .value_kind:     by_value
    .group_segment_fixed_size: 16
    .kernarg_segment_align: 8
    .kernarg_segment_size: 48
    .language:       OpenCL C
    .language_version:
      - 2
      - 0
    .max_flat_workgroup_size: 256
    .name:           _ZN7rocprim17ROCPRIM_400000_NS6detail17trampoline_kernelINS0_14default_configENS1_32segmented_reduce_config_selectorIN3c108BFloat16EEEZNS1_21segmented_reduce_implIS3_PKS6_PS6_PKlS6_N6hipcub16HIPCUB_304000_NS6detail27convert_result_type_wrapperISA_SB_N2at6native12_GLOBAL__N_19CustomSumEEEEE10hipError_tPvRmT0_T1_jT2_SS_T4_T3_P12ihipStream_tbEUlT_E_NS1_11comp_targetILNS1_3genE0ELNS1_11target_archE4294967295ELNS1_3gpuE0ELNS1_3repE0EEENS1_30default_config_static_selectorELNS0_4arch9wavefront6targetE0EEEvSR_
    .private_segment_fixed_size: 0
    .sgpr_count:     34
    .sgpr_spill_count: 0
    .symbol:         _ZN7rocprim17ROCPRIM_400000_NS6detail17trampoline_kernelINS0_14default_configENS1_32segmented_reduce_config_selectorIN3c108BFloat16EEEZNS1_21segmented_reduce_implIS3_PKS6_PS6_PKlS6_N6hipcub16HIPCUB_304000_NS6detail27convert_result_type_wrapperISA_SB_N2at6native12_GLOBAL__N_19CustomSumEEEEE10hipError_tPvRmT0_T1_jT2_SS_T4_T3_P12ihipStream_tbEUlT_E_NS1_11comp_targetILNS1_3genE0ELNS1_11target_archE4294967295ELNS1_3gpuE0ELNS1_3repE0EEENS1_30default_config_static_selectorELNS0_4arch9wavefront6targetE0EEEvSR_.kd
    .uniform_work_group_size: 1
    .uses_dynamic_stack: false
    .vgpr_count:     23
    .vgpr_spill_count: 0
    .wavefront_size: 32
  - .args:
      - .offset:         0
        .size:           48
        .value_kind:     by_value
    .group_segment_fixed_size: 0
    .kernarg_segment_align: 8
    .kernarg_segment_size: 48
    .language:       OpenCL C
    .language_version:
      - 2
      - 0
    .max_flat_workgroup_size: 256
    .name:           _ZN7rocprim17ROCPRIM_400000_NS6detail17trampoline_kernelINS0_14default_configENS1_32segmented_reduce_config_selectorIN3c108BFloat16EEEZNS1_21segmented_reduce_implIS3_PKS6_PS6_PKlS6_N6hipcub16HIPCUB_304000_NS6detail27convert_result_type_wrapperISA_SB_N2at6native12_GLOBAL__N_19CustomSumEEEEE10hipError_tPvRmT0_T1_jT2_SS_T4_T3_P12ihipStream_tbEUlT_E_NS1_11comp_targetILNS1_3genE5ELNS1_11target_archE942ELNS1_3gpuE9ELNS1_3repE0EEENS1_30default_config_static_selectorELNS0_4arch9wavefront6targetE0EEEvSR_
    .private_segment_fixed_size: 0
    .sgpr_count:     0
    .sgpr_spill_count: 0
    .symbol:         _ZN7rocprim17ROCPRIM_400000_NS6detail17trampoline_kernelINS0_14default_configENS1_32segmented_reduce_config_selectorIN3c108BFloat16EEEZNS1_21segmented_reduce_implIS3_PKS6_PS6_PKlS6_N6hipcub16HIPCUB_304000_NS6detail27convert_result_type_wrapperISA_SB_N2at6native12_GLOBAL__N_19CustomSumEEEEE10hipError_tPvRmT0_T1_jT2_SS_T4_T3_P12ihipStream_tbEUlT_E_NS1_11comp_targetILNS1_3genE5ELNS1_11target_archE942ELNS1_3gpuE9ELNS1_3repE0EEENS1_30default_config_static_selectorELNS0_4arch9wavefront6targetE0EEEvSR_.kd
    .uniform_work_group_size: 1
    .uses_dynamic_stack: false
    .vgpr_count:     0
    .vgpr_spill_count: 0
    .wavefront_size: 32
  - .args:
      - .offset:         0
        .size:           48
        .value_kind:     by_value
    .group_segment_fixed_size: 0
    .kernarg_segment_align: 8
    .kernarg_segment_size: 48
    .language:       OpenCL C
    .language_version:
      - 2
      - 0
    .max_flat_workgroup_size: 256
    .name:           _ZN7rocprim17ROCPRIM_400000_NS6detail17trampoline_kernelINS0_14default_configENS1_32segmented_reduce_config_selectorIN3c108BFloat16EEEZNS1_21segmented_reduce_implIS3_PKS6_PS6_PKlS6_N6hipcub16HIPCUB_304000_NS6detail27convert_result_type_wrapperISA_SB_N2at6native12_GLOBAL__N_19CustomSumEEEEE10hipError_tPvRmT0_T1_jT2_SS_T4_T3_P12ihipStream_tbEUlT_E_NS1_11comp_targetILNS1_3genE10ELNS1_11target_archE1201ELNS1_3gpuE5ELNS1_3repE0EEENS1_30default_config_static_selectorELNS0_4arch9wavefront6targetE0EEEvSR_
    .private_segment_fixed_size: 0
    .sgpr_count:     0
    .sgpr_spill_count: 0
    .symbol:         _ZN7rocprim17ROCPRIM_400000_NS6detail17trampoline_kernelINS0_14default_configENS1_32segmented_reduce_config_selectorIN3c108BFloat16EEEZNS1_21segmented_reduce_implIS3_PKS6_PS6_PKlS6_N6hipcub16HIPCUB_304000_NS6detail27convert_result_type_wrapperISA_SB_N2at6native12_GLOBAL__N_19CustomSumEEEEE10hipError_tPvRmT0_T1_jT2_SS_T4_T3_P12ihipStream_tbEUlT_E_NS1_11comp_targetILNS1_3genE10ELNS1_11target_archE1201ELNS1_3gpuE5ELNS1_3repE0EEENS1_30default_config_static_selectorELNS0_4arch9wavefront6targetE0EEEvSR_.kd
    .uniform_work_group_size: 1
    .uses_dynamic_stack: false
    .vgpr_count:     0
    .vgpr_spill_count: 0
    .wavefront_size: 32
  - .args:
      - .offset:         0
        .size:           48
        .value_kind:     by_value
    .group_segment_fixed_size: 0
    .kernarg_segment_align: 8
    .kernarg_segment_size: 48
    .language:       OpenCL C
    .language_version:
      - 2
      - 0
    .max_flat_workgroup_size: 256
    .name:           _ZN7rocprim17ROCPRIM_400000_NS6detail17trampoline_kernelINS0_14default_configENS1_32segmented_reduce_config_selectorIN3c108BFloat16EEEZNS1_21segmented_reduce_implIS3_PKS6_PS6_PKlS6_N6hipcub16HIPCUB_304000_NS6detail27convert_result_type_wrapperISA_SB_N2at6native12_GLOBAL__N_19CustomSumEEEEE10hipError_tPvRmT0_T1_jT2_SS_T4_T3_P12ihipStream_tbEUlT_E_NS1_11comp_targetILNS1_3genE4ELNS1_11target_archE910ELNS1_3gpuE8ELNS1_3repE0EEENS1_30default_config_static_selectorELNS0_4arch9wavefront6targetE0EEEvSR_
    .private_segment_fixed_size: 0
    .sgpr_count:     0
    .sgpr_spill_count: 0
    .symbol:         _ZN7rocprim17ROCPRIM_400000_NS6detail17trampoline_kernelINS0_14default_configENS1_32segmented_reduce_config_selectorIN3c108BFloat16EEEZNS1_21segmented_reduce_implIS3_PKS6_PS6_PKlS6_N6hipcub16HIPCUB_304000_NS6detail27convert_result_type_wrapperISA_SB_N2at6native12_GLOBAL__N_19CustomSumEEEEE10hipError_tPvRmT0_T1_jT2_SS_T4_T3_P12ihipStream_tbEUlT_E_NS1_11comp_targetILNS1_3genE4ELNS1_11target_archE910ELNS1_3gpuE8ELNS1_3repE0EEENS1_30default_config_static_selectorELNS0_4arch9wavefront6targetE0EEEvSR_.kd
    .uniform_work_group_size: 1
    .uses_dynamic_stack: false
    .vgpr_count:     0
    .vgpr_spill_count: 0
    .wavefront_size: 32
  - .args:
      - .offset:         0
        .size:           48
        .value_kind:     by_value
    .group_segment_fixed_size: 0
    .kernarg_segment_align: 8
    .kernarg_segment_size: 48
    .language:       OpenCL C
    .language_version:
      - 2
      - 0
    .max_flat_workgroup_size: 256
    .name:           _ZN7rocprim17ROCPRIM_400000_NS6detail17trampoline_kernelINS0_14default_configENS1_32segmented_reduce_config_selectorIN3c108BFloat16EEEZNS1_21segmented_reduce_implIS3_PKS6_PS6_PKlS6_N6hipcub16HIPCUB_304000_NS6detail27convert_result_type_wrapperISA_SB_N2at6native12_GLOBAL__N_19CustomSumEEEEE10hipError_tPvRmT0_T1_jT2_SS_T4_T3_P12ihipStream_tbEUlT_E_NS1_11comp_targetILNS1_3genE3ELNS1_11target_archE908ELNS1_3gpuE7ELNS1_3repE0EEENS1_30default_config_static_selectorELNS0_4arch9wavefront6targetE0EEEvSR_
    .private_segment_fixed_size: 0
    .sgpr_count:     0
    .sgpr_spill_count: 0
    .symbol:         _ZN7rocprim17ROCPRIM_400000_NS6detail17trampoline_kernelINS0_14default_configENS1_32segmented_reduce_config_selectorIN3c108BFloat16EEEZNS1_21segmented_reduce_implIS3_PKS6_PS6_PKlS6_N6hipcub16HIPCUB_304000_NS6detail27convert_result_type_wrapperISA_SB_N2at6native12_GLOBAL__N_19CustomSumEEEEE10hipError_tPvRmT0_T1_jT2_SS_T4_T3_P12ihipStream_tbEUlT_E_NS1_11comp_targetILNS1_3genE3ELNS1_11target_archE908ELNS1_3gpuE7ELNS1_3repE0EEENS1_30default_config_static_selectorELNS0_4arch9wavefront6targetE0EEEvSR_.kd
    .uniform_work_group_size: 1
    .uses_dynamic_stack: false
    .vgpr_count:     0
    .vgpr_spill_count: 0
    .wavefront_size: 32
  - .args:
      - .offset:         0
        .size:           48
        .value_kind:     by_value
    .group_segment_fixed_size: 0
    .kernarg_segment_align: 8
    .kernarg_segment_size: 48
    .language:       OpenCL C
    .language_version:
      - 2
      - 0
    .max_flat_workgroup_size: 256
    .name:           _ZN7rocprim17ROCPRIM_400000_NS6detail17trampoline_kernelINS0_14default_configENS1_32segmented_reduce_config_selectorIN3c108BFloat16EEEZNS1_21segmented_reduce_implIS3_PKS6_PS6_PKlS6_N6hipcub16HIPCUB_304000_NS6detail27convert_result_type_wrapperISA_SB_N2at6native12_GLOBAL__N_19CustomSumEEEEE10hipError_tPvRmT0_T1_jT2_SS_T4_T3_P12ihipStream_tbEUlT_E_NS1_11comp_targetILNS1_3genE2ELNS1_11target_archE906ELNS1_3gpuE6ELNS1_3repE0EEENS1_30default_config_static_selectorELNS0_4arch9wavefront6targetE0EEEvSR_
    .private_segment_fixed_size: 0
    .sgpr_count:     0
    .sgpr_spill_count: 0
    .symbol:         _ZN7rocprim17ROCPRIM_400000_NS6detail17trampoline_kernelINS0_14default_configENS1_32segmented_reduce_config_selectorIN3c108BFloat16EEEZNS1_21segmented_reduce_implIS3_PKS6_PS6_PKlS6_N6hipcub16HIPCUB_304000_NS6detail27convert_result_type_wrapperISA_SB_N2at6native12_GLOBAL__N_19CustomSumEEEEE10hipError_tPvRmT0_T1_jT2_SS_T4_T3_P12ihipStream_tbEUlT_E_NS1_11comp_targetILNS1_3genE2ELNS1_11target_archE906ELNS1_3gpuE6ELNS1_3repE0EEENS1_30default_config_static_selectorELNS0_4arch9wavefront6targetE0EEEvSR_.kd
    .uniform_work_group_size: 1
    .uses_dynamic_stack: false
    .vgpr_count:     0
    .vgpr_spill_count: 0
    .wavefront_size: 32
  - .args:
      - .offset:         0
        .size:           48
        .value_kind:     by_value
    .group_segment_fixed_size: 0
    .kernarg_segment_align: 8
    .kernarg_segment_size: 48
    .language:       OpenCL C
    .language_version:
      - 2
      - 0
    .max_flat_workgroup_size: 256
    .name:           _ZN7rocprim17ROCPRIM_400000_NS6detail17trampoline_kernelINS0_14default_configENS1_32segmented_reduce_config_selectorIN3c108BFloat16EEEZNS1_21segmented_reduce_implIS3_PKS6_PS6_PKlS6_N6hipcub16HIPCUB_304000_NS6detail27convert_result_type_wrapperISA_SB_N2at6native12_GLOBAL__N_19CustomSumEEEEE10hipError_tPvRmT0_T1_jT2_SS_T4_T3_P12ihipStream_tbEUlT_E_NS1_11comp_targetILNS1_3genE9ELNS1_11target_archE1100ELNS1_3gpuE3ELNS1_3repE0EEENS1_30default_config_static_selectorELNS0_4arch9wavefront6targetE0EEEvSR_
    .private_segment_fixed_size: 0
    .sgpr_count:     0
    .sgpr_spill_count: 0
    .symbol:         _ZN7rocprim17ROCPRIM_400000_NS6detail17trampoline_kernelINS0_14default_configENS1_32segmented_reduce_config_selectorIN3c108BFloat16EEEZNS1_21segmented_reduce_implIS3_PKS6_PS6_PKlS6_N6hipcub16HIPCUB_304000_NS6detail27convert_result_type_wrapperISA_SB_N2at6native12_GLOBAL__N_19CustomSumEEEEE10hipError_tPvRmT0_T1_jT2_SS_T4_T3_P12ihipStream_tbEUlT_E_NS1_11comp_targetILNS1_3genE9ELNS1_11target_archE1100ELNS1_3gpuE3ELNS1_3repE0EEENS1_30default_config_static_selectorELNS0_4arch9wavefront6targetE0EEEvSR_.kd
    .uniform_work_group_size: 1
    .uses_dynamic_stack: false
    .vgpr_count:     0
    .vgpr_spill_count: 0
    .wavefront_size: 32
  - .args:
      - .offset:         0
        .size:           48
        .value_kind:     by_value
    .group_segment_fixed_size: 0
    .kernarg_segment_align: 8
    .kernarg_segment_size: 48
    .language:       OpenCL C
    .language_version:
      - 2
      - 0
    .max_flat_workgroup_size: 256
    .name:           _ZN7rocprim17ROCPRIM_400000_NS6detail17trampoline_kernelINS0_14default_configENS1_32segmented_reduce_config_selectorIN3c108BFloat16EEEZNS1_21segmented_reduce_implIS3_PKS6_PS6_PKlS6_N6hipcub16HIPCUB_304000_NS6detail27convert_result_type_wrapperISA_SB_N2at6native12_GLOBAL__N_19CustomSumEEEEE10hipError_tPvRmT0_T1_jT2_SS_T4_T3_P12ihipStream_tbEUlT_E_NS1_11comp_targetILNS1_3genE8ELNS1_11target_archE1030ELNS1_3gpuE2ELNS1_3repE0EEENS1_30default_config_static_selectorELNS0_4arch9wavefront6targetE0EEEvSR_
    .private_segment_fixed_size: 0
    .sgpr_count:     0
    .sgpr_spill_count: 0
    .symbol:         _ZN7rocprim17ROCPRIM_400000_NS6detail17trampoline_kernelINS0_14default_configENS1_32segmented_reduce_config_selectorIN3c108BFloat16EEEZNS1_21segmented_reduce_implIS3_PKS6_PS6_PKlS6_N6hipcub16HIPCUB_304000_NS6detail27convert_result_type_wrapperISA_SB_N2at6native12_GLOBAL__N_19CustomSumEEEEE10hipError_tPvRmT0_T1_jT2_SS_T4_T3_P12ihipStream_tbEUlT_E_NS1_11comp_targetILNS1_3genE8ELNS1_11target_archE1030ELNS1_3gpuE2ELNS1_3repE0EEENS1_30default_config_static_selectorELNS0_4arch9wavefront6targetE0EEEvSR_.kd
    .uniform_work_group_size: 1
    .uses_dynamic_stack: false
    .vgpr_count:     0
    .vgpr_spill_count: 0
    .wavefront_size: 32
  - .args:
      - .address_space:  global
        .offset:         0
        .size:           8
        .value_kind:     global_buffer
      - .address_space:  global
        .offset:         8
        .size:           8
        .value_kind:     global_buffer
      - .offset:         16
        .size:           8
        .value_kind:     by_value
      - .offset:         24
        .size:           1
        .value_kind:     by_value
      - .offset:         26
        .size:           2
        .value_kind:     by_value
      - .offset:         32
        .size:           4
        .value_kind:     hidden_block_count_x
      - .offset:         36
        .size:           4
        .value_kind:     hidden_block_count_y
      - .offset:         40
        .size:           4
        .value_kind:     hidden_block_count_z
      - .offset:         44
        .size:           2
        .value_kind:     hidden_group_size_x
      - .offset:         46
        .size:           2
        .value_kind:     hidden_group_size_y
      - .offset:         48
        .size:           2
        .value_kind:     hidden_group_size_z
      - .offset:         50
        .size:           2
        .value_kind:     hidden_remainder_x
      - .offset:         52
        .size:           2
        .value_kind:     hidden_remainder_y
      - .offset:         54
        .size:           2
        .value_kind:     hidden_remainder_z
      - .offset:         72
        .size:           8
        .value_kind:     hidden_global_offset_x
      - .offset:         80
        .size:           8
        .value_kind:     hidden_global_offset_y
      - .offset:         88
        .size:           8
        .value_kind:     hidden_global_offset_z
      - .offset:         96
        .size:           2
        .value_kind:     hidden_grid_dims
    .group_segment_fixed_size: 0
    .kernarg_segment_align: 8
    .kernarg_segment_size: 288
    .language:       OpenCL C
    .language_version:
      - 2
      - 0
    .max_flat_workgroup_size: 1024
    .name:           _ZN2at6native12_GLOBAL__N_119post_sum_div_kernelIN3c108BFloat16ElEEvPT_PKT0_lbS5_
    .private_segment_fixed_size: 0
    .sgpr_count:     21
    .sgpr_spill_count: 0
    .symbol:         _ZN2at6native12_GLOBAL__N_119post_sum_div_kernelIN3c108BFloat16ElEEvPT_PKT0_lbS5_.kd
    .uniform_work_group_size: 1
    .uses_dynamic_stack: false
    .vgpr_count:     13
    .vgpr_spill_count: 0
    .wavefront_size: 32
  - .args:
      - .offset:         0
        .size:           48
        .value_kind:     by_value
    .group_segment_fixed_size: 16
    .kernarg_segment_align: 8
    .kernarg_segment_size: 48
    .language:       OpenCL C
    .language_version:
      - 2
      - 0
    .max_flat_workgroup_size: 256
    .name:           _ZN7rocprim17ROCPRIM_400000_NS6detail17trampoline_kernelINS0_14default_configENS1_32segmented_reduce_config_selectorIN3c108BFloat16EEEZNS1_21segmented_reduce_implIS3_PKS6_PS6_PKlS6_N6hipcub16HIPCUB_304000_NS6detail27convert_result_type_wrapperISA_SB_N2at6native12_GLOBAL__N_19CustomMinEEEEE10hipError_tPvRmT0_T1_jT2_SS_T4_T3_P12ihipStream_tbEUlT_E_NS1_11comp_targetILNS1_3genE0ELNS1_11target_archE4294967295ELNS1_3gpuE0ELNS1_3repE0EEENS1_30default_config_static_selectorELNS0_4arch9wavefront6targetE0EEEvSR_
    .private_segment_fixed_size: 0
    .sgpr_count:     34
    .sgpr_spill_count: 0
    .symbol:         _ZN7rocprim17ROCPRIM_400000_NS6detail17trampoline_kernelINS0_14default_configENS1_32segmented_reduce_config_selectorIN3c108BFloat16EEEZNS1_21segmented_reduce_implIS3_PKS6_PS6_PKlS6_N6hipcub16HIPCUB_304000_NS6detail27convert_result_type_wrapperISA_SB_N2at6native12_GLOBAL__N_19CustomMinEEEEE10hipError_tPvRmT0_T1_jT2_SS_T4_T3_P12ihipStream_tbEUlT_E_NS1_11comp_targetILNS1_3genE0ELNS1_11target_archE4294967295ELNS1_3gpuE0ELNS1_3repE0EEENS1_30default_config_static_selectorELNS0_4arch9wavefront6targetE0EEEvSR_.kd
    .uniform_work_group_size: 1
    .uses_dynamic_stack: false
    .vgpr_count:     24
    .vgpr_spill_count: 0
    .wavefront_size: 32
  - .args:
      - .offset:         0
        .size:           48
        .value_kind:     by_value
    .group_segment_fixed_size: 0
    .kernarg_segment_align: 8
    .kernarg_segment_size: 48
    .language:       OpenCL C
    .language_version:
      - 2
      - 0
    .max_flat_workgroup_size: 256
    .name:           _ZN7rocprim17ROCPRIM_400000_NS6detail17trampoline_kernelINS0_14default_configENS1_32segmented_reduce_config_selectorIN3c108BFloat16EEEZNS1_21segmented_reduce_implIS3_PKS6_PS6_PKlS6_N6hipcub16HIPCUB_304000_NS6detail27convert_result_type_wrapperISA_SB_N2at6native12_GLOBAL__N_19CustomMinEEEEE10hipError_tPvRmT0_T1_jT2_SS_T4_T3_P12ihipStream_tbEUlT_E_NS1_11comp_targetILNS1_3genE5ELNS1_11target_archE942ELNS1_3gpuE9ELNS1_3repE0EEENS1_30default_config_static_selectorELNS0_4arch9wavefront6targetE0EEEvSR_
    .private_segment_fixed_size: 0
    .sgpr_count:     0
    .sgpr_spill_count: 0
    .symbol:         _ZN7rocprim17ROCPRIM_400000_NS6detail17trampoline_kernelINS0_14default_configENS1_32segmented_reduce_config_selectorIN3c108BFloat16EEEZNS1_21segmented_reduce_implIS3_PKS6_PS6_PKlS6_N6hipcub16HIPCUB_304000_NS6detail27convert_result_type_wrapperISA_SB_N2at6native12_GLOBAL__N_19CustomMinEEEEE10hipError_tPvRmT0_T1_jT2_SS_T4_T3_P12ihipStream_tbEUlT_E_NS1_11comp_targetILNS1_3genE5ELNS1_11target_archE942ELNS1_3gpuE9ELNS1_3repE0EEENS1_30default_config_static_selectorELNS0_4arch9wavefront6targetE0EEEvSR_.kd
    .uniform_work_group_size: 1
    .uses_dynamic_stack: false
    .vgpr_count:     0
    .vgpr_spill_count: 0
    .wavefront_size: 32
  - .args:
      - .offset:         0
        .size:           48
        .value_kind:     by_value
    .group_segment_fixed_size: 0
    .kernarg_segment_align: 8
    .kernarg_segment_size: 48
    .language:       OpenCL C
    .language_version:
      - 2
      - 0
    .max_flat_workgroup_size: 256
    .name:           _ZN7rocprim17ROCPRIM_400000_NS6detail17trampoline_kernelINS0_14default_configENS1_32segmented_reduce_config_selectorIN3c108BFloat16EEEZNS1_21segmented_reduce_implIS3_PKS6_PS6_PKlS6_N6hipcub16HIPCUB_304000_NS6detail27convert_result_type_wrapperISA_SB_N2at6native12_GLOBAL__N_19CustomMinEEEEE10hipError_tPvRmT0_T1_jT2_SS_T4_T3_P12ihipStream_tbEUlT_E_NS1_11comp_targetILNS1_3genE10ELNS1_11target_archE1201ELNS1_3gpuE5ELNS1_3repE0EEENS1_30default_config_static_selectorELNS0_4arch9wavefront6targetE0EEEvSR_
    .private_segment_fixed_size: 0
    .sgpr_count:     0
    .sgpr_spill_count: 0
    .symbol:         _ZN7rocprim17ROCPRIM_400000_NS6detail17trampoline_kernelINS0_14default_configENS1_32segmented_reduce_config_selectorIN3c108BFloat16EEEZNS1_21segmented_reduce_implIS3_PKS6_PS6_PKlS6_N6hipcub16HIPCUB_304000_NS6detail27convert_result_type_wrapperISA_SB_N2at6native12_GLOBAL__N_19CustomMinEEEEE10hipError_tPvRmT0_T1_jT2_SS_T4_T3_P12ihipStream_tbEUlT_E_NS1_11comp_targetILNS1_3genE10ELNS1_11target_archE1201ELNS1_3gpuE5ELNS1_3repE0EEENS1_30default_config_static_selectorELNS0_4arch9wavefront6targetE0EEEvSR_.kd
    .uniform_work_group_size: 1
    .uses_dynamic_stack: false
    .vgpr_count:     0
    .vgpr_spill_count: 0
    .wavefront_size: 32
  - .args:
      - .offset:         0
        .size:           48
        .value_kind:     by_value
    .group_segment_fixed_size: 0
    .kernarg_segment_align: 8
    .kernarg_segment_size: 48
    .language:       OpenCL C
    .language_version:
      - 2
      - 0
    .max_flat_workgroup_size: 256
    .name:           _ZN7rocprim17ROCPRIM_400000_NS6detail17trampoline_kernelINS0_14default_configENS1_32segmented_reduce_config_selectorIN3c108BFloat16EEEZNS1_21segmented_reduce_implIS3_PKS6_PS6_PKlS6_N6hipcub16HIPCUB_304000_NS6detail27convert_result_type_wrapperISA_SB_N2at6native12_GLOBAL__N_19CustomMinEEEEE10hipError_tPvRmT0_T1_jT2_SS_T4_T3_P12ihipStream_tbEUlT_E_NS1_11comp_targetILNS1_3genE4ELNS1_11target_archE910ELNS1_3gpuE8ELNS1_3repE0EEENS1_30default_config_static_selectorELNS0_4arch9wavefront6targetE0EEEvSR_
    .private_segment_fixed_size: 0
    .sgpr_count:     0
    .sgpr_spill_count: 0
    .symbol:         _ZN7rocprim17ROCPRIM_400000_NS6detail17trampoline_kernelINS0_14default_configENS1_32segmented_reduce_config_selectorIN3c108BFloat16EEEZNS1_21segmented_reduce_implIS3_PKS6_PS6_PKlS6_N6hipcub16HIPCUB_304000_NS6detail27convert_result_type_wrapperISA_SB_N2at6native12_GLOBAL__N_19CustomMinEEEEE10hipError_tPvRmT0_T1_jT2_SS_T4_T3_P12ihipStream_tbEUlT_E_NS1_11comp_targetILNS1_3genE4ELNS1_11target_archE910ELNS1_3gpuE8ELNS1_3repE0EEENS1_30default_config_static_selectorELNS0_4arch9wavefront6targetE0EEEvSR_.kd
    .uniform_work_group_size: 1
    .uses_dynamic_stack: false
    .vgpr_count:     0
    .vgpr_spill_count: 0
    .wavefront_size: 32
  - .args:
      - .offset:         0
        .size:           48
        .value_kind:     by_value
    .group_segment_fixed_size: 0
    .kernarg_segment_align: 8
    .kernarg_segment_size: 48
    .language:       OpenCL C
    .language_version:
      - 2
      - 0
    .max_flat_workgroup_size: 256
    .name:           _ZN7rocprim17ROCPRIM_400000_NS6detail17trampoline_kernelINS0_14default_configENS1_32segmented_reduce_config_selectorIN3c108BFloat16EEEZNS1_21segmented_reduce_implIS3_PKS6_PS6_PKlS6_N6hipcub16HIPCUB_304000_NS6detail27convert_result_type_wrapperISA_SB_N2at6native12_GLOBAL__N_19CustomMinEEEEE10hipError_tPvRmT0_T1_jT2_SS_T4_T3_P12ihipStream_tbEUlT_E_NS1_11comp_targetILNS1_3genE3ELNS1_11target_archE908ELNS1_3gpuE7ELNS1_3repE0EEENS1_30default_config_static_selectorELNS0_4arch9wavefront6targetE0EEEvSR_
    .private_segment_fixed_size: 0
    .sgpr_count:     0
    .sgpr_spill_count: 0
    .symbol:         _ZN7rocprim17ROCPRIM_400000_NS6detail17trampoline_kernelINS0_14default_configENS1_32segmented_reduce_config_selectorIN3c108BFloat16EEEZNS1_21segmented_reduce_implIS3_PKS6_PS6_PKlS6_N6hipcub16HIPCUB_304000_NS6detail27convert_result_type_wrapperISA_SB_N2at6native12_GLOBAL__N_19CustomMinEEEEE10hipError_tPvRmT0_T1_jT2_SS_T4_T3_P12ihipStream_tbEUlT_E_NS1_11comp_targetILNS1_3genE3ELNS1_11target_archE908ELNS1_3gpuE7ELNS1_3repE0EEENS1_30default_config_static_selectorELNS0_4arch9wavefront6targetE0EEEvSR_.kd
    .uniform_work_group_size: 1
    .uses_dynamic_stack: false
    .vgpr_count:     0
    .vgpr_spill_count: 0
    .wavefront_size: 32
  - .args:
      - .offset:         0
        .size:           48
        .value_kind:     by_value
    .group_segment_fixed_size: 0
    .kernarg_segment_align: 8
    .kernarg_segment_size: 48
    .language:       OpenCL C
    .language_version:
      - 2
      - 0
    .max_flat_workgroup_size: 256
    .name:           _ZN7rocprim17ROCPRIM_400000_NS6detail17trampoline_kernelINS0_14default_configENS1_32segmented_reduce_config_selectorIN3c108BFloat16EEEZNS1_21segmented_reduce_implIS3_PKS6_PS6_PKlS6_N6hipcub16HIPCUB_304000_NS6detail27convert_result_type_wrapperISA_SB_N2at6native12_GLOBAL__N_19CustomMinEEEEE10hipError_tPvRmT0_T1_jT2_SS_T4_T3_P12ihipStream_tbEUlT_E_NS1_11comp_targetILNS1_3genE2ELNS1_11target_archE906ELNS1_3gpuE6ELNS1_3repE0EEENS1_30default_config_static_selectorELNS0_4arch9wavefront6targetE0EEEvSR_
    .private_segment_fixed_size: 0
    .sgpr_count:     0
    .sgpr_spill_count: 0
    .symbol:         _ZN7rocprim17ROCPRIM_400000_NS6detail17trampoline_kernelINS0_14default_configENS1_32segmented_reduce_config_selectorIN3c108BFloat16EEEZNS1_21segmented_reduce_implIS3_PKS6_PS6_PKlS6_N6hipcub16HIPCUB_304000_NS6detail27convert_result_type_wrapperISA_SB_N2at6native12_GLOBAL__N_19CustomMinEEEEE10hipError_tPvRmT0_T1_jT2_SS_T4_T3_P12ihipStream_tbEUlT_E_NS1_11comp_targetILNS1_3genE2ELNS1_11target_archE906ELNS1_3gpuE6ELNS1_3repE0EEENS1_30default_config_static_selectorELNS0_4arch9wavefront6targetE0EEEvSR_.kd
    .uniform_work_group_size: 1
    .uses_dynamic_stack: false
    .vgpr_count:     0
    .vgpr_spill_count: 0
    .wavefront_size: 32
  - .args:
      - .offset:         0
        .size:           48
        .value_kind:     by_value
    .group_segment_fixed_size: 0
    .kernarg_segment_align: 8
    .kernarg_segment_size: 48
    .language:       OpenCL C
    .language_version:
      - 2
      - 0
    .max_flat_workgroup_size: 256
    .name:           _ZN7rocprim17ROCPRIM_400000_NS6detail17trampoline_kernelINS0_14default_configENS1_32segmented_reduce_config_selectorIN3c108BFloat16EEEZNS1_21segmented_reduce_implIS3_PKS6_PS6_PKlS6_N6hipcub16HIPCUB_304000_NS6detail27convert_result_type_wrapperISA_SB_N2at6native12_GLOBAL__N_19CustomMinEEEEE10hipError_tPvRmT0_T1_jT2_SS_T4_T3_P12ihipStream_tbEUlT_E_NS1_11comp_targetILNS1_3genE9ELNS1_11target_archE1100ELNS1_3gpuE3ELNS1_3repE0EEENS1_30default_config_static_selectorELNS0_4arch9wavefront6targetE0EEEvSR_
    .private_segment_fixed_size: 0
    .sgpr_count:     0
    .sgpr_spill_count: 0
    .symbol:         _ZN7rocprim17ROCPRIM_400000_NS6detail17trampoline_kernelINS0_14default_configENS1_32segmented_reduce_config_selectorIN3c108BFloat16EEEZNS1_21segmented_reduce_implIS3_PKS6_PS6_PKlS6_N6hipcub16HIPCUB_304000_NS6detail27convert_result_type_wrapperISA_SB_N2at6native12_GLOBAL__N_19CustomMinEEEEE10hipError_tPvRmT0_T1_jT2_SS_T4_T3_P12ihipStream_tbEUlT_E_NS1_11comp_targetILNS1_3genE9ELNS1_11target_archE1100ELNS1_3gpuE3ELNS1_3repE0EEENS1_30default_config_static_selectorELNS0_4arch9wavefront6targetE0EEEvSR_.kd
    .uniform_work_group_size: 1
    .uses_dynamic_stack: false
    .vgpr_count:     0
    .vgpr_spill_count: 0
    .wavefront_size: 32
  - .args:
      - .offset:         0
        .size:           48
        .value_kind:     by_value
    .group_segment_fixed_size: 0
    .kernarg_segment_align: 8
    .kernarg_segment_size: 48
    .language:       OpenCL C
    .language_version:
      - 2
      - 0
    .max_flat_workgroup_size: 256
    .name:           _ZN7rocprim17ROCPRIM_400000_NS6detail17trampoline_kernelINS0_14default_configENS1_32segmented_reduce_config_selectorIN3c108BFloat16EEEZNS1_21segmented_reduce_implIS3_PKS6_PS6_PKlS6_N6hipcub16HIPCUB_304000_NS6detail27convert_result_type_wrapperISA_SB_N2at6native12_GLOBAL__N_19CustomMinEEEEE10hipError_tPvRmT0_T1_jT2_SS_T4_T3_P12ihipStream_tbEUlT_E_NS1_11comp_targetILNS1_3genE8ELNS1_11target_archE1030ELNS1_3gpuE2ELNS1_3repE0EEENS1_30default_config_static_selectorELNS0_4arch9wavefront6targetE0EEEvSR_
    .private_segment_fixed_size: 0
    .sgpr_count:     0
    .sgpr_spill_count: 0
    .symbol:         _ZN7rocprim17ROCPRIM_400000_NS6detail17trampoline_kernelINS0_14default_configENS1_32segmented_reduce_config_selectorIN3c108BFloat16EEEZNS1_21segmented_reduce_implIS3_PKS6_PS6_PKlS6_N6hipcub16HIPCUB_304000_NS6detail27convert_result_type_wrapperISA_SB_N2at6native12_GLOBAL__N_19CustomMinEEEEE10hipError_tPvRmT0_T1_jT2_SS_T4_T3_P12ihipStream_tbEUlT_E_NS1_11comp_targetILNS1_3genE8ELNS1_11target_archE1030ELNS1_3gpuE2ELNS1_3repE0EEENS1_30default_config_static_selectorELNS0_4arch9wavefront6targetE0EEEvSR_.kd
    .uniform_work_group_size: 1
    .uses_dynamic_stack: false
    .vgpr_count:     0
    .vgpr_spill_count: 0
    .wavefront_size: 32
  - .args:
      - .offset:         0
        .size:           48
        .value_kind:     by_value
    .group_segment_fixed_size: 16
    .kernarg_segment_align: 8
    .kernarg_segment_size: 48
    .language:       OpenCL C
    .language_version:
      - 2
      - 0
    .max_flat_workgroup_size: 256
    .name:           _ZN7rocprim17ROCPRIM_400000_NS6detail17trampoline_kernelINS0_14default_configENS1_32segmented_reduce_config_selectorIN3c108BFloat16EEEZNS1_21segmented_reduce_implIS3_PKS6_PS6_PKlS6_N6hipcub16HIPCUB_304000_NS6detail27convert_result_type_wrapperISA_SB_N2at6native12_GLOBAL__N_110CustomProdEEEEE10hipError_tPvRmT0_T1_jT2_SS_T4_T3_P12ihipStream_tbEUlT_E_NS1_11comp_targetILNS1_3genE0ELNS1_11target_archE4294967295ELNS1_3gpuE0ELNS1_3repE0EEENS1_30default_config_static_selectorELNS0_4arch9wavefront6targetE0EEEvSR_
    .private_segment_fixed_size: 0
    .sgpr_count:     34
    .sgpr_spill_count: 0
    .symbol:         _ZN7rocprim17ROCPRIM_400000_NS6detail17trampoline_kernelINS0_14default_configENS1_32segmented_reduce_config_selectorIN3c108BFloat16EEEZNS1_21segmented_reduce_implIS3_PKS6_PS6_PKlS6_N6hipcub16HIPCUB_304000_NS6detail27convert_result_type_wrapperISA_SB_N2at6native12_GLOBAL__N_110CustomProdEEEEE10hipError_tPvRmT0_T1_jT2_SS_T4_T3_P12ihipStream_tbEUlT_E_NS1_11comp_targetILNS1_3genE0ELNS1_11target_archE4294967295ELNS1_3gpuE0ELNS1_3repE0EEENS1_30default_config_static_selectorELNS0_4arch9wavefront6targetE0EEEvSR_.kd
    .uniform_work_group_size: 1
    .uses_dynamic_stack: false
    .vgpr_count:     23
    .vgpr_spill_count: 0
    .wavefront_size: 32
  - .args:
      - .offset:         0
        .size:           48
        .value_kind:     by_value
    .group_segment_fixed_size: 0
    .kernarg_segment_align: 8
    .kernarg_segment_size: 48
    .language:       OpenCL C
    .language_version:
      - 2
      - 0
    .max_flat_workgroup_size: 256
    .name:           _ZN7rocprim17ROCPRIM_400000_NS6detail17trampoline_kernelINS0_14default_configENS1_32segmented_reduce_config_selectorIN3c108BFloat16EEEZNS1_21segmented_reduce_implIS3_PKS6_PS6_PKlS6_N6hipcub16HIPCUB_304000_NS6detail27convert_result_type_wrapperISA_SB_N2at6native12_GLOBAL__N_110CustomProdEEEEE10hipError_tPvRmT0_T1_jT2_SS_T4_T3_P12ihipStream_tbEUlT_E_NS1_11comp_targetILNS1_3genE5ELNS1_11target_archE942ELNS1_3gpuE9ELNS1_3repE0EEENS1_30default_config_static_selectorELNS0_4arch9wavefront6targetE0EEEvSR_
    .private_segment_fixed_size: 0
    .sgpr_count:     0
    .sgpr_spill_count: 0
    .symbol:         _ZN7rocprim17ROCPRIM_400000_NS6detail17trampoline_kernelINS0_14default_configENS1_32segmented_reduce_config_selectorIN3c108BFloat16EEEZNS1_21segmented_reduce_implIS3_PKS6_PS6_PKlS6_N6hipcub16HIPCUB_304000_NS6detail27convert_result_type_wrapperISA_SB_N2at6native12_GLOBAL__N_110CustomProdEEEEE10hipError_tPvRmT0_T1_jT2_SS_T4_T3_P12ihipStream_tbEUlT_E_NS1_11comp_targetILNS1_3genE5ELNS1_11target_archE942ELNS1_3gpuE9ELNS1_3repE0EEENS1_30default_config_static_selectorELNS0_4arch9wavefront6targetE0EEEvSR_.kd
    .uniform_work_group_size: 1
    .uses_dynamic_stack: false
    .vgpr_count:     0
    .vgpr_spill_count: 0
    .wavefront_size: 32
  - .args:
      - .offset:         0
        .size:           48
        .value_kind:     by_value
    .group_segment_fixed_size: 0
    .kernarg_segment_align: 8
    .kernarg_segment_size: 48
    .language:       OpenCL C
    .language_version:
      - 2
      - 0
    .max_flat_workgroup_size: 256
    .name:           _ZN7rocprim17ROCPRIM_400000_NS6detail17trampoline_kernelINS0_14default_configENS1_32segmented_reduce_config_selectorIN3c108BFloat16EEEZNS1_21segmented_reduce_implIS3_PKS6_PS6_PKlS6_N6hipcub16HIPCUB_304000_NS6detail27convert_result_type_wrapperISA_SB_N2at6native12_GLOBAL__N_110CustomProdEEEEE10hipError_tPvRmT0_T1_jT2_SS_T4_T3_P12ihipStream_tbEUlT_E_NS1_11comp_targetILNS1_3genE10ELNS1_11target_archE1201ELNS1_3gpuE5ELNS1_3repE0EEENS1_30default_config_static_selectorELNS0_4arch9wavefront6targetE0EEEvSR_
    .private_segment_fixed_size: 0
    .sgpr_count:     0
    .sgpr_spill_count: 0
    .symbol:         _ZN7rocprim17ROCPRIM_400000_NS6detail17trampoline_kernelINS0_14default_configENS1_32segmented_reduce_config_selectorIN3c108BFloat16EEEZNS1_21segmented_reduce_implIS3_PKS6_PS6_PKlS6_N6hipcub16HIPCUB_304000_NS6detail27convert_result_type_wrapperISA_SB_N2at6native12_GLOBAL__N_110CustomProdEEEEE10hipError_tPvRmT0_T1_jT2_SS_T4_T3_P12ihipStream_tbEUlT_E_NS1_11comp_targetILNS1_3genE10ELNS1_11target_archE1201ELNS1_3gpuE5ELNS1_3repE0EEENS1_30default_config_static_selectorELNS0_4arch9wavefront6targetE0EEEvSR_.kd
    .uniform_work_group_size: 1
    .uses_dynamic_stack: false
    .vgpr_count:     0
    .vgpr_spill_count: 0
    .wavefront_size: 32
  - .args:
      - .offset:         0
        .size:           48
        .value_kind:     by_value
    .group_segment_fixed_size: 0
    .kernarg_segment_align: 8
    .kernarg_segment_size: 48
    .language:       OpenCL C
    .language_version:
      - 2
      - 0
    .max_flat_workgroup_size: 256
    .name:           _ZN7rocprim17ROCPRIM_400000_NS6detail17trampoline_kernelINS0_14default_configENS1_32segmented_reduce_config_selectorIN3c108BFloat16EEEZNS1_21segmented_reduce_implIS3_PKS6_PS6_PKlS6_N6hipcub16HIPCUB_304000_NS6detail27convert_result_type_wrapperISA_SB_N2at6native12_GLOBAL__N_110CustomProdEEEEE10hipError_tPvRmT0_T1_jT2_SS_T4_T3_P12ihipStream_tbEUlT_E_NS1_11comp_targetILNS1_3genE4ELNS1_11target_archE910ELNS1_3gpuE8ELNS1_3repE0EEENS1_30default_config_static_selectorELNS0_4arch9wavefront6targetE0EEEvSR_
    .private_segment_fixed_size: 0
    .sgpr_count:     0
    .sgpr_spill_count: 0
    .symbol:         _ZN7rocprim17ROCPRIM_400000_NS6detail17trampoline_kernelINS0_14default_configENS1_32segmented_reduce_config_selectorIN3c108BFloat16EEEZNS1_21segmented_reduce_implIS3_PKS6_PS6_PKlS6_N6hipcub16HIPCUB_304000_NS6detail27convert_result_type_wrapperISA_SB_N2at6native12_GLOBAL__N_110CustomProdEEEEE10hipError_tPvRmT0_T1_jT2_SS_T4_T3_P12ihipStream_tbEUlT_E_NS1_11comp_targetILNS1_3genE4ELNS1_11target_archE910ELNS1_3gpuE8ELNS1_3repE0EEENS1_30default_config_static_selectorELNS0_4arch9wavefront6targetE0EEEvSR_.kd
    .uniform_work_group_size: 1
    .uses_dynamic_stack: false
    .vgpr_count:     0
    .vgpr_spill_count: 0
    .wavefront_size: 32
  - .args:
      - .offset:         0
        .size:           48
        .value_kind:     by_value
    .group_segment_fixed_size: 0
    .kernarg_segment_align: 8
    .kernarg_segment_size: 48
    .language:       OpenCL C
    .language_version:
      - 2
      - 0
    .max_flat_workgroup_size: 256
    .name:           _ZN7rocprim17ROCPRIM_400000_NS6detail17trampoline_kernelINS0_14default_configENS1_32segmented_reduce_config_selectorIN3c108BFloat16EEEZNS1_21segmented_reduce_implIS3_PKS6_PS6_PKlS6_N6hipcub16HIPCUB_304000_NS6detail27convert_result_type_wrapperISA_SB_N2at6native12_GLOBAL__N_110CustomProdEEEEE10hipError_tPvRmT0_T1_jT2_SS_T4_T3_P12ihipStream_tbEUlT_E_NS1_11comp_targetILNS1_3genE3ELNS1_11target_archE908ELNS1_3gpuE7ELNS1_3repE0EEENS1_30default_config_static_selectorELNS0_4arch9wavefront6targetE0EEEvSR_
    .private_segment_fixed_size: 0
    .sgpr_count:     0
    .sgpr_spill_count: 0
    .symbol:         _ZN7rocprim17ROCPRIM_400000_NS6detail17trampoline_kernelINS0_14default_configENS1_32segmented_reduce_config_selectorIN3c108BFloat16EEEZNS1_21segmented_reduce_implIS3_PKS6_PS6_PKlS6_N6hipcub16HIPCUB_304000_NS6detail27convert_result_type_wrapperISA_SB_N2at6native12_GLOBAL__N_110CustomProdEEEEE10hipError_tPvRmT0_T1_jT2_SS_T4_T3_P12ihipStream_tbEUlT_E_NS1_11comp_targetILNS1_3genE3ELNS1_11target_archE908ELNS1_3gpuE7ELNS1_3repE0EEENS1_30default_config_static_selectorELNS0_4arch9wavefront6targetE0EEEvSR_.kd
    .uniform_work_group_size: 1
    .uses_dynamic_stack: false
    .vgpr_count:     0
    .vgpr_spill_count: 0
    .wavefront_size: 32
  - .args:
      - .offset:         0
        .size:           48
        .value_kind:     by_value
    .group_segment_fixed_size: 0
    .kernarg_segment_align: 8
    .kernarg_segment_size: 48
    .language:       OpenCL C
    .language_version:
      - 2
      - 0
    .max_flat_workgroup_size: 256
    .name:           _ZN7rocprim17ROCPRIM_400000_NS6detail17trampoline_kernelINS0_14default_configENS1_32segmented_reduce_config_selectorIN3c108BFloat16EEEZNS1_21segmented_reduce_implIS3_PKS6_PS6_PKlS6_N6hipcub16HIPCUB_304000_NS6detail27convert_result_type_wrapperISA_SB_N2at6native12_GLOBAL__N_110CustomProdEEEEE10hipError_tPvRmT0_T1_jT2_SS_T4_T3_P12ihipStream_tbEUlT_E_NS1_11comp_targetILNS1_3genE2ELNS1_11target_archE906ELNS1_3gpuE6ELNS1_3repE0EEENS1_30default_config_static_selectorELNS0_4arch9wavefront6targetE0EEEvSR_
    .private_segment_fixed_size: 0
    .sgpr_count:     0
    .sgpr_spill_count: 0
    .symbol:         _ZN7rocprim17ROCPRIM_400000_NS6detail17trampoline_kernelINS0_14default_configENS1_32segmented_reduce_config_selectorIN3c108BFloat16EEEZNS1_21segmented_reduce_implIS3_PKS6_PS6_PKlS6_N6hipcub16HIPCUB_304000_NS6detail27convert_result_type_wrapperISA_SB_N2at6native12_GLOBAL__N_110CustomProdEEEEE10hipError_tPvRmT0_T1_jT2_SS_T4_T3_P12ihipStream_tbEUlT_E_NS1_11comp_targetILNS1_3genE2ELNS1_11target_archE906ELNS1_3gpuE6ELNS1_3repE0EEENS1_30default_config_static_selectorELNS0_4arch9wavefront6targetE0EEEvSR_.kd
    .uniform_work_group_size: 1
    .uses_dynamic_stack: false
    .vgpr_count:     0
    .vgpr_spill_count: 0
    .wavefront_size: 32
  - .args:
      - .offset:         0
        .size:           48
        .value_kind:     by_value
    .group_segment_fixed_size: 0
    .kernarg_segment_align: 8
    .kernarg_segment_size: 48
    .language:       OpenCL C
    .language_version:
      - 2
      - 0
    .max_flat_workgroup_size: 256
    .name:           _ZN7rocprim17ROCPRIM_400000_NS6detail17trampoline_kernelINS0_14default_configENS1_32segmented_reduce_config_selectorIN3c108BFloat16EEEZNS1_21segmented_reduce_implIS3_PKS6_PS6_PKlS6_N6hipcub16HIPCUB_304000_NS6detail27convert_result_type_wrapperISA_SB_N2at6native12_GLOBAL__N_110CustomProdEEEEE10hipError_tPvRmT0_T1_jT2_SS_T4_T3_P12ihipStream_tbEUlT_E_NS1_11comp_targetILNS1_3genE9ELNS1_11target_archE1100ELNS1_3gpuE3ELNS1_3repE0EEENS1_30default_config_static_selectorELNS0_4arch9wavefront6targetE0EEEvSR_
    .private_segment_fixed_size: 0
    .sgpr_count:     0
    .sgpr_spill_count: 0
    .symbol:         _ZN7rocprim17ROCPRIM_400000_NS6detail17trampoline_kernelINS0_14default_configENS1_32segmented_reduce_config_selectorIN3c108BFloat16EEEZNS1_21segmented_reduce_implIS3_PKS6_PS6_PKlS6_N6hipcub16HIPCUB_304000_NS6detail27convert_result_type_wrapperISA_SB_N2at6native12_GLOBAL__N_110CustomProdEEEEE10hipError_tPvRmT0_T1_jT2_SS_T4_T3_P12ihipStream_tbEUlT_E_NS1_11comp_targetILNS1_3genE9ELNS1_11target_archE1100ELNS1_3gpuE3ELNS1_3repE0EEENS1_30default_config_static_selectorELNS0_4arch9wavefront6targetE0EEEvSR_.kd
    .uniform_work_group_size: 1
    .uses_dynamic_stack: false
    .vgpr_count:     0
    .vgpr_spill_count: 0
    .wavefront_size: 32
  - .args:
      - .offset:         0
        .size:           48
        .value_kind:     by_value
    .group_segment_fixed_size: 0
    .kernarg_segment_align: 8
    .kernarg_segment_size: 48
    .language:       OpenCL C
    .language_version:
      - 2
      - 0
    .max_flat_workgroup_size: 256
    .name:           _ZN7rocprim17ROCPRIM_400000_NS6detail17trampoline_kernelINS0_14default_configENS1_32segmented_reduce_config_selectorIN3c108BFloat16EEEZNS1_21segmented_reduce_implIS3_PKS6_PS6_PKlS6_N6hipcub16HIPCUB_304000_NS6detail27convert_result_type_wrapperISA_SB_N2at6native12_GLOBAL__N_110CustomProdEEEEE10hipError_tPvRmT0_T1_jT2_SS_T4_T3_P12ihipStream_tbEUlT_E_NS1_11comp_targetILNS1_3genE8ELNS1_11target_archE1030ELNS1_3gpuE2ELNS1_3repE0EEENS1_30default_config_static_selectorELNS0_4arch9wavefront6targetE0EEEvSR_
    .private_segment_fixed_size: 0
    .sgpr_count:     0
    .sgpr_spill_count: 0
    .symbol:         _ZN7rocprim17ROCPRIM_400000_NS6detail17trampoline_kernelINS0_14default_configENS1_32segmented_reduce_config_selectorIN3c108BFloat16EEEZNS1_21segmented_reduce_implIS3_PKS6_PS6_PKlS6_N6hipcub16HIPCUB_304000_NS6detail27convert_result_type_wrapperISA_SB_N2at6native12_GLOBAL__N_110CustomProdEEEEE10hipError_tPvRmT0_T1_jT2_SS_T4_T3_P12ihipStream_tbEUlT_E_NS1_11comp_targetILNS1_3genE8ELNS1_11target_archE1030ELNS1_3gpuE2ELNS1_3repE0EEENS1_30default_config_static_selectorELNS0_4arch9wavefront6targetE0EEEvSR_.kd
    .uniform_work_group_size: 1
    .uses_dynamic_stack: false
    .vgpr_count:     0
    .vgpr_spill_count: 0
    .wavefront_size: 32
amdhsa.target:   amdgcn-amd-amdhsa--gfx1250
amdhsa.version:
  - 1
  - 2
...

	.end_amdgpu_metadata
